;; amdgpu-corpus repo=ROCm/hipCUB kind=compiled arch=gfx1100 opt=O3
	.text
	.amdgcn_target "amdgcn-amd-amdhsa--gfx1100"
	.amdhsa_code_object_version 6
	.section	.text._Z21inclusive_scan_kernelILj377ELN6hipcub18BlockScanAlgorithmE1EhEvPT1_,"axG",@progbits,_Z21inclusive_scan_kernelILj377ELN6hipcub18BlockScanAlgorithmE1EhEvPT1_,comdat
	.protected	_Z21inclusive_scan_kernelILj377ELN6hipcub18BlockScanAlgorithmE1EhEvPT1_ ; -- Begin function _Z21inclusive_scan_kernelILj377ELN6hipcub18BlockScanAlgorithmE1EhEvPT1_
	.globl	_Z21inclusive_scan_kernelILj377ELN6hipcub18BlockScanAlgorithmE1EhEvPT1_
	.p2align	8
	.type	_Z21inclusive_scan_kernelILj377ELN6hipcub18BlockScanAlgorithmE1EhEvPT1_,@function
_Z21inclusive_scan_kernelILj377ELN6hipcub18BlockScanAlgorithmE1EhEvPT1_: ; @_Z21inclusive_scan_kernelILj377ELN6hipcub18BlockScanAlgorithmE1EhEvPT1_
; %bb.0:
	s_load_b64 s[0:1], s[0:1], 0x0
	v_mad_u64_u32 v[1:2], null, 0x179, s15, v[0:1]
	s_waitcnt lgkmcnt(0)
	global_load_u8 v3, v1, s[0:1]
	v_add_co_u32 v1, s0, s0, v1
	s_delay_alu instid0(VALU_DEP_1)
	v_add_co_ci_u32_e64 v2, null, s1, 0, s0
	s_mov_b32 s0, exec_lo
	s_waitcnt vmcnt(0)
	ds_store_b8 v0, v3
	s_waitcnt lgkmcnt(0)
	s_barrier
	buffer_gl0_inv
	v_cmpx_gt_u32_e32 32, v0
	s_cbranch_execz .LBB0_2
; %bb.1:
	v_mul_u32_u24_e32 v7, 12, v0
	v_mbcnt_lo_u32_b32 v18, -1, 0
	ds_load_b96 v[4:6], v7
	v_add_nc_u32_e32 v21, -1, v18
	s_waitcnt lgkmcnt(0)
	v_lshrrev_b32_e32 v8, 8, v4
	v_lshrrev_b32_e32 v9, 16, v4
	;; [unrolled: 1-line block ×5, first 2 shown]
	v_add_nc_u16 v10, v8, v4
	v_lshrrev_b32_e32 v14, 24, v5
	v_lshrrev_b32_e32 v15, 8, v6
	v_lshrrev_b32_e32 v16, 16, v6
	v_lshrrev_b32_e32 v17, 24, v6
	v_add_nc_u16 v10, v10, v9
	s_delay_alu instid0(VALU_DEP_1) | instskip(NEXT) | instid1(VALU_DEP_1)
	v_add_nc_u16 v10, v10, v11
	v_add_nc_u16 v10, v10, v5
	s_delay_alu instid0(VALU_DEP_1) | instskip(NEXT) | instid1(VALU_DEP_1)
	v_add_nc_u16 v10, v10, v12
	;; [unrolled: 3-line block ×5, first 2 shown]
	v_and_b32_e32 v19, 0xff, v10
	s_delay_alu instid0(VALU_DEP_1) | instskip(SKIP_1) | instid1(VALU_DEP_1)
	v_mov_b32_dpp v19, v19 row_shr:1 row_mask:0xf bank_mask:0xf
	v_and_b32_e32 v20, 15, v18
	v_cmp_ne_u32_e32 vcc_lo, 0, v20
	s_delay_alu instid0(VALU_DEP_3) | instskip(SKIP_1) | instid1(VALU_DEP_2)
	v_cndmask_b32_e32 v19, 0, v19, vcc_lo
	v_cmp_lt_u32_e32 vcc_lo, 1, v20
	v_add_nc_u16 v10, v19, v10
	s_delay_alu instid0(VALU_DEP_1) | instskip(NEXT) | instid1(VALU_DEP_1)
	v_and_b32_e32 v19, 0xff, v10
	v_mov_b32_dpp v19, v19 row_shr:2 row_mask:0xf bank_mask:0xf
	s_delay_alu instid0(VALU_DEP_1) | instskip(SKIP_1) | instid1(VALU_DEP_2)
	v_cndmask_b32_e32 v19, 0, v19, vcc_lo
	v_cmp_lt_u32_e32 vcc_lo, 3, v20
	v_add_nc_u16 v10, v10, v19
	s_delay_alu instid0(VALU_DEP_1) | instskip(NEXT) | instid1(VALU_DEP_1)
	v_and_b32_e32 v19, 0xff, v10
	v_mov_b32_dpp v19, v19 row_shr:4 row_mask:0xf bank_mask:0xf
	s_delay_alu instid0(VALU_DEP_1) | instskip(SKIP_2) | instid1(VALU_DEP_3)
	v_cndmask_b32_e32 v19, 0, v19, vcc_lo
	v_cmp_lt_u32_e32 vcc_lo, 7, v20
	v_and_b32_e32 v20, 16, v18
	v_add_nc_u16 v10, v10, v19
	s_delay_alu instid0(VALU_DEP_1) | instskip(NEXT) | instid1(VALU_DEP_1)
	v_and_b32_e32 v19, 0xff, v10
	v_mov_b32_dpp v19, v19 row_shr:8 row_mask:0xf bank_mask:0xf
	s_delay_alu instid0(VALU_DEP_1) | instskip(SKIP_1) | instid1(VALU_DEP_2)
	v_cndmask_b32_e32 v19, 0, v19, vcc_lo
	v_cmp_ne_u32_e32 vcc_lo, 0, v20
	v_add_nc_u16 v10, v10, v19
	s_delay_alu instid0(VALU_DEP_1) | instskip(SKIP_4) | instid1(VALU_DEP_2)
	v_and_b32_e32 v19, 0xff, v10
	ds_swizzle_b32 v19, v19 offset:swizzle(BROADCAST,32,15)
	s_waitcnt lgkmcnt(0)
	v_cndmask_b32_e32 v19, 0, v19, vcc_lo
	v_cmp_gt_i32_e32 vcc_lo, 0, v21
	v_add_nc_u16 v10, v10, v19
	v_cndmask_b32_e32 v18, v21, v18, vcc_lo
	v_cmp_eq_u32_e32 vcc_lo, 0, v0
	s_delay_alu instid0(VALU_DEP_3) | instskip(NEXT) | instid1(VALU_DEP_3)
	v_and_b32_e32 v10, 0xff, v10
	v_lshlrev_b32_e32 v18, 2, v18
	ds_bpermute_b32 v10, v18, v10
	s_waitcnt lgkmcnt(0)
	v_add_nc_u16 v4, v4, v10
	s_delay_alu instid0(VALU_DEP_1) | instskip(NEXT) | instid1(VALU_DEP_1)
	v_cndmask_b32_e32 v3, v4, v3, vcc_lo
	v_add_nc_u16 v4, v3, v8
	v_and_b32_e32 v3, 0xff, v3
	s_delay_alu instid0(VALU_DEP_2) | instskip(SKIP_1) | instid1(VALU_DEP_2)
	v_add_nc_u16 v8, v4, v9
	v_lshlrev_b16 v4, 8, v4
	v_add_nc_u16 v9, v8, v11
	s_delay_alu instid0(VALU_DEP_2) | instskip(SKIP_1) | instid1(VALU_DEP_3)
	v_or_b32_e32 v3, v3, v4
	v_and_b32_e32 v4, 0xff, v8
	v_add_nc_u16 v5, v9, v5
	v_lshlrev_b16 v9, 8, v9
	s_delay_alu instid0(VALU_DEP_4) | instskip(NEXT) | instid1(VALU_DEP_3)
	v_and_b32_e32 v3, 0xffff, v3
	v_add_nc_u16 v10, v5, v12
	v_and_b32_e32 v5, 0xff, v5
	s_delay_alu instid0(VALU_DEP_4) | instskip(NEXT) | instid1(VALU_DEP_3)
	v_or_b32_e32 v4, v4, v9
	v_add_nc_u16 v11, v10, v13
	v_lshlrev_b16 v10, 8, v10
	s_delay_alu instid0(VALU_DEP_3) | instskip(NEXT) | instid1(VALU_DEP_3)
	v_lshlrev_b32_e32 v4, 16, v4
	v_add_nc_u16 v12, v11, v14
	v_and_b32_e32 v11, 0xff, v11
	s_delay_alu instid0(VALU_DEP_4) | instskip(NEXT) | instid1(VALU_DEP_4)
	v_or_b32_e32 v5, v5, v10
	v_or_b32_e32 v3, v3, v4
	s_delay_alu instid0(VALU_DEP_4) | instskip(SKIP_1) | instid1(VALU_DEP_4)
	v_add_nc_u16 v6, v12, v6
	v_lshlrev_b16 v12, 8, v12
	v_and_b32_e32 v5, 0xffff, v5
	s_delay_alu instid0(VALU_DEP_3) | instskip(SKIP_1) | instid1(VALU_DEP_4)
	v_add_nc_u16 v13, v6, v15
	v_and_b32_e32 v6, 0xff, v6
	v_or_b32_e32 v9, v11, v12
	s_delay_alu instid0(VALU_DEP_3) | instskip(SKIP_1) | instid1(VALU_DEP_3)
	v_add_nc_u16 v8, v13, v16
	v_lshlrev_b16 v13, 8, v13
	v_lshlrev_b32_e32 v9, 16, v9
	s_delay_alu instid0(VALU_DEP_3) | instskip(SKIP_1) | instid1(VALU_DEP_4)
	v_add_nc_u16 v14, v8, v17
	v_and_b32_e32 v8, 0xff, v8
	v_or_b32_e32 v6, v6, v13
	s_delay_alu instid0(VALU_DEP_4) | instskip(NEXT) | instid1(VALU_DEP_4)
	v_or_b32_e32 v4, v5, v9
	v_lshlrev_b16 v14, 8, v14
	s_delay_alu instid0(VALU_DEP_3) | instskip(NEXT) | instid1(VALU_DEP_2)
	v_and_b32_e32 v6, 0xffff, v6
	v_or_b32_e32 v8, v8, v14
	s_delay_alu instid0(VALU_DEP_1) | instskip(NEXT) | instid1(VALU_DEP_1)
	v_lshlrev_b32_e32 v8, 16, v8
	v_or_b32_e32 v5, v6, v8
	ds_store_b96 v7, v[3:5]
.LBB0_2:
	s_or_b32 exec_lo, exec_lo, s0
	s_waitcnt lgkmcnt(0)
	s_barrier
	buffer_gl0_inv
	ds_load_u8 v0, v0
	s_waitcnt lgkmcnt(0)
	global_store_b8 v[1:2], v0, off
	s_nop 0
	s_sendmsg sendmsg(MSG_DEALLOC_VGPRS)
	s_endpgm
	.section	.rodata,"a",@progbits
	.p2align	6, 0x0
	.amdhsa_kernel _Z21inclusive_scan_kernelILj377ELN6hipcub18BlockScanAlgorithmE1EhEvPT1_
		.amdhsa_group_segment_fixed_size 384
		.amdhsa_private_segment_fixed_size 0
		.amdhsa_kernarg_size 8
		.amdhsa_user_sgpr_count 15
		.amdhsa_user_sgpr_dispatch_ptr 0
		.amdhsa_user_sgpr_queue_ptr 0
		.amdhsa_user_sgpr_kernarg_segment_ptr 1
		.amdhsa_user_sgpr_dispatch_id 0
		.amdhsa_user_sgpr_private_segment_size 0
		.amdhsa_wavefront_size32 1
		.amdhsa_uses_dynamic_stack 0
		.amdhsa_enable_private_segment 0
		.amdhsa_system_sgpr_workgroup_id_x 1
		.amdhsa_system_sgpr_workgroup_id_y 0
		.amdhsa_system_sgpr_workgroup_id_z 0
		.amdhsa_system_sgpr_workgroup_info 0
		.amdhsa_system_vgpr_workitem_id 0
		.amdhsa_next_free_vgpr 22
		.amdhsa_next_free_sgpr 16
		.amdhsa_reserve_vcc 1
		.amdhsa_float_round_mode_32 0
		.amdhsa_float_round_mode_16_64 0
		.amdhsa_float_denorm_mode_32 3
		.amdhsa_float_denorm_mode_16_64 3
		.amdhsa_dx10_clamp 1
		.amdhsa_ieee_mode 1
		.amdhsa_fp16_overflow 0
		.amdhsa_workgroup_processor_mode 1
		.amdhsa_memory_ordered 1
		.amdhsa_forward_progress 0
		.amdhsa_shared_vgpr_count 0
		.amdhsa_exception_fp_ieee_invalid_op 0
		.amdhsa_exception_fp_denorm_src 0
		.amdhsa_exception_fp_ieee_div_zero 0
		.amdhsa_exception_fp_ieee_overflow 0
		.amdhsa_exception_fp_ieee_underflow 0
		.amdhsa_exception_fp_ieee_inexact 0
		.amdhsa_exception_int_div_zero 0
	.end_amdhsa_kernel
	.section	.text._Z21inclusive_scan_kernelILj377ELN6hipcub18BlockScanAlgorithmE1EhEvPT1_,"axG",@progbits,_Z21inclusive_scan_kernelILj377ELN6hipcub18BlockScanAlgorithmE1EhEvPT1_,comdat
.Lfunc_end0:
	.size	_Z21inclusive_scan_kernelILj377ELN6hipcub18BlockScanAlgorithmE1EhEvPT1_, .Lfunc_end0-_Z21inclusive_scan_kernelILj377ELN6hipcub18BlockScanAlgorithmE1EhEvPT1_
                                        ; -- End function
	.section	.AMDGPU.csdata,"",@progbits
; Kernel info:
; codeLenInByte = 896
; NumSgprs: 18
; NumVgprs: 22
; ScratchSize: 0
; MemoryBound: 0
; FloatMode: 240
; IeeeMode: 1
; LDSByteSize: 384 bytes/workgroup (compile time only)
; SGPRBlocks: 2
; VGPRBlocks: 2
; NumSGPRsForWavesPerEU: 18
; NumVGPRsForWavesPerEU: 22
; Occupancy: 15
; WaveLimiterHint : 0
; COMPUTE_PGM_RSRC2:SCRATCH_EN: 0
; COMPUTE_PGM_RSRC2:USER_SGPR: 15
; COMPUTE_PGM_RSRC2:TRAP_HANDLER: 0
; COMPUTE_PGM_RSRC2:TGID_X_EN: 1
; COMPUTE_PGM_RSRC2:TGID_Y_EN: 0
; COMPUTE_PGM_RSRC2:TGID_Z_EN: 0
; COMPUTE_PGM_RSRC2:TIDIG_COMP_CNT: 0
	.section	.text._Z21inclusive_scan_kernelILj377ELN6hipcub18BlockScanAlgorithmE1EiEvPT1_,"axG",@progbits,_Z21inclusive_scan_kernelILj377ELN6hipcub18BlockScanAlgorithmE1EiEvPT1_,comdat
	.protected	_Z21inclusive_scan_kernelILj377ELN6hipcub18BlockScanAlgorithmE1EiEvPT1_ ; -- Begin function _Z21inclusive_scan_kernelILj377ELN6hipcub18BlockScanAlgorithmE1EiEvPT1_
	.globl	_Z21inclusive_scan_kernelILj377ELN6hipcub18BlockScanAlgorithmE1EiEvPT1_
	.p2align	8
	.type	_Z21inclusive_scan_kernelILj377ELN6hipcub18BlockScanAlgorithmE1EiEvPT1_,@function
_Z21inclusive_scan_kernelILj377ELN6hipcub18BlockScanAlgorithmE1EiEvPT1_: ; @_Z21inclusive_scan_kernelILj377ELN6hipcub18BlockScanAlgorithmE1EiEvPT1_
; %bb.0:
	s_load_b64 s[0:1], s[0:1], 0x0
	v_mad_u64_u32 v[1:2], null, 0x179, s15, v[0:1]
	v_dual_mov_b32 v2, 0 :: v_dual_lshlrev_b32 v3, 2, v0
	s_delay_alu instid0(VALU_DEP_1) | instskip(SKIP_1) | instid1(VALU_DEP_1)
	v_lshlrev_b64 v[1:2], 2, v[1:2]
	s_waitcnt lgkmcnt(0)
	v_add_co_u32 v1, vcc_lo, s0, v1
	s_delay_alu instid0(VALU_DEP_2)
	v_add_co_ci_u32_e32 v2, vcc_lo, s1, v2, vcc_lo
	s_mov_b32 s0, exec_lo
	global_load_b32 v4, v[1:2], off
	s_waitcnt vmcnt(0)
	ds_store_b32 v3, v4
	s_waitcnt lgkmcnt(0)
	s_barrier
	buffer_gl0_inv
	v_cmpx_gt_u32_e32 32, v0
	s_cbranch_execz .LBB1_2
; %bb.1:
	v_mul_u32_u24_e32 v5, 12, v0
	v_mbcnt_lo_u32_b32 v19, -1, 0
	s_delay_alu instid0(VALU_DEP_2) | instskip(NEXT) | instid1(VALU_DEP_2)
	v_lshlrev_b32_e32 v17, 2, v5
	v_bfe_i32 v22, v19, 4, 1
	ds_load_2addr_b32 v[5:6], v17 offset1:1
	ds_load_2addr_b32 v[7:8], v17 offset0:2 offset1:3
	ds_load_2addr_b32 v[9:10], v17 offset0:4 offset1:5
	ds_load_2addr_b32 v[11:12], v17 offset0:6 offset1:7
	ds_load_2addr_b32 v[13:14], v17 offset0:8 offset1:9
	ds_load_2addr_b32 v[15:16], v17 offset0:10 offset1:11
	s_waitcnt lgkmcnt(5)
	v_add_nc_u32_e32 v18, v6, v5
	s_waitcnt lgkmcnt(4)
	s_delay_alu instid0(VALU_DEP_1) | instskip(SKIP_1) | instid1(VALU_DEP_1)
	v_add3_u32 v18, v18, v7, v8
	s_waitcnt lgkmcnt(3)
	v_add3_u32 v18, v18, v9, v10
	s_waitcnt lgkmcnt(2)
	s_delay_alu instid0(VALU_DEP_1) | instskip(SKIP_1) | instid1(VALU_DEP_1)
	v_add3_u32 v18, v18, v11, v12
	s_waitcnt lgkmcnt(1)
	v_add3_u32 v18, v18, v13, v14
	s_waitcnt lgkmcnt(0)
	s_delay_alu instid0(VALU_DEP_1) | instskip(NEXT) | instid1(VALU_DEP_1)
	v_add3_u32 v18, v18, v15, v16
	v_mov_b32_dpp v21, v18 row_shr:1 row_mask:0xf bank_mask:0xf
	v_and_b32_e32 v20, 15, v19
	s_delay_alu instid0(VALU_DEP_1) | instskip(NEXT) | instid1(VALU_DEP_3)
	v_cmp_ne_u32_e32 vcc_lo, 0, v20
	v_cndmask_b32_e32 v21, 0, v21, vcc_lo
	v_cmp_lt_u32_e32 vcc_lo, 1, v20
	s_delay_alu instid0(VALU_DEP_2) | instskip(NEXT) | instid1(VALU_DEP_1)
	v_add_nc_u32_e32 v18, v21, v18
	v_mov_b32_dpp v21, v18 row_shr:2 row_mask:0xf bank_mask:0xf
	s_delay_alu instid0(VALU_DEP_1) | instskip(SKIP_1) | instid1(VALU_DEP_2)
	v_cndmask_b32_e32 v21, 0, v21, vcc_lo
	v_cmp_lt_u32_e32 vcc_lo, 3, v20
	v_add_nc_u32_e32 v18, v18, v21
	s_delay_alu instid0(VALU_DEP_1) | instskip(NEXT) | instid1(VALU_DEP_1)
	v_mov_b32_dpp v21, v18 row_shr:4 row_mask:0xf bank_mask:0xf
	v_cndmask_b32_e32 v21, 0, v21, vcc_lo
	v_cmp_lt_u32_e32 vcc_lo, 7, v20
	s_delay_alu instid0(VALU_DEP_2) | instskip(NEXT) | instid1(VALU_DEP_1)
	v_add_nc_u32_e32 v18, v18, v21
	v_mov_b32_dpp v21, v18 row_shr:8 row_mask:0xf bank_mask:0xf
	s_delay_alu instid0(VALU_DEP_1) | instskip(NEXT) | instid1(VALU_DEP_1)
	v_dual_cndmask_b32 v20, 0, v21 :: v_dual_add_nc_u32 v21, -1, v19
	v_add_nc_u32_e32 v18, v18, v20
	s_delay_alu instid0(VALU_DEP_2) | instskip(SKIP_3) | instid1(VALU_DEP_2)
	v_cmp_gt_i32_e32 vcc_lo, 0, v21
	ds_swizzle_b32 v20, v18 offset:swizzle(BROADCAST,32,15)
	v_cndmask_b32_e32 v19, v21, v19, vcc_lo
	v_cmp_eq_u32_e32 vcc_lo, 0, v0
	v_lshlrev_b32_e32 v19, 2, v19
	s_waitcnt lgkmcnt(0)
	v_and_b32_e32 v20, v22, v20
	s_delay_alu instid0(VALU_DEP_1) | instskip(SKIP_3) | instid1(VALU_DEP_1)
	v_add_nc_u32_e32 v18, v18, v20
	ds_bpermute_b32 v18, v19, v18
	s_waitcnt lgkmcnt(0)
	v_add_nc_u32_e32 v5, v18, v5
	v_cndmask_b32_e32 v0, v5, v4, vcc_lo
	s_delay_alu instid0(VALU_DEP_1) | instskip(NEXT) | instid1(VALU_DEP_1)
	v_add_nc_u32_e32 v4, v0, v6
	v_add_nc_u32_e32 v5, v4, v7
	s_delay_alu instid0(VALU_DEP_1) | instskip(NEXT) | instid1(VALU_DEP_1)
	v_add_nc_u32_e32 v6, v5, v8
	v_add_nc_u32_e32 v7, v6, v9
	;; [unrolled: 3-line block ×5, first 2 shown]
	s_delay_alu instid0(VALU_DEP_1)
	v_add_nc_u32_e32 v14, v13, v16
	ds_store_2addr_b32 v17, v0, v4 offset1:1
	ds_store_2addr_b32 v17, v5, v6 offset0:2 offset1:3
	ds_store_2addr_b32 v17, v7, v8 offset0:4 offset1:5
	;; [unrolled: 1-line block ×5, first 2 shown]
.LBB1_2:
	s_or_b32 exec_lo, exec_lo, s0
	s_waitcnt lgkmcnt(0)
	s_barrier
	buffer_gl0_inv
	ds_load_b32 v0, v3
	s_waitcnt lgkmcnt(0)
	global_store_b32 v[1:2], v0, off
	s_nop 0
	s_sendmsg sendmsg(MSG_DEALLOC_VGPRS)
	s_endpgm
	.section	.rodata,"a",@progbits
	.p2align	6, 0x0
	.amdhsa_kernel _Z21inclusive_scan_kernelILj377ELN6hipcub18BlockScanAlgorithmE1EiEvPT1_
		.amdhsa_group_segment_fixed_size 1536
		.amdhsa_private_segment_fixed_size 0
		.amdhsa_kernarg_size 8
		.amdhsa_user_sgpr_count 15
		.amdhsa_user_sgpr_dispatch_ptr 0
		.amdhsa_user_sgpr_queue_ptr 0
		.amdhsa_user_sgpr_kernarg_segment_ptr 1
		.amdhsa_user_sgpr_dispatch_id 0
		.amdhsa_user_sgpr_private_segment_size 0
		.amdhsa_wavefront_size32 1
		.amdhsa_uses_dynamic_stack 0
		.amdhsa_enable_private_segment 0
		.amdhsa_system_sgpr_workgroup_id_x 1
		.amdhsa_system_sgpr_workgroup_id_y 0
		.amdhsa_system_sgpr_workgroup_id_z 0
		.amdhsa_system_sgpr_workgroup_info 0
		.amdhsa_system_vgpr_workitem_id 0
		.amdhsa_next_free_vgpr 23
		.amdhsa_next_free_sgpr 16
		.amdhsa_reserve_vcc 1
		.amdhsa_float_round_mode_32 0
		.amdhsa_float_round_mode_16_64 0
		.amdhsa_float_denorm_mode_32 3
		.amdhsa_float_denorm_mode_16_64 3
		.amdhsa_dx10_clamp 1
		.amdhsa_ieee_mode 1
		.amdhsa_fp16_overflow 0
		.amdhsa_workgroup_processor_mode 1
		.amdhsa_memory_ordered 1
		.amdhsa_forward_progress 0
		.amdhsa_shared_vgpr_count 0
		.amdhsa_exception_fp_ieee_invalid_op 0
		.amdhsa_exception_fp_denorm_src 0
		.amdhsa_exception_fp_ieee_div_zero 0
		.amdhsa_exception_fp_ieee_overflow 0
		.amdhsa_exception_fp_ieee_underflow 0
		.amdhsa_exception_fp_ieee_inexact 0
		.amdhsa_exception_int_div_zero 0
	.end_amdhsa_kernel
	.section	.text._Z21inclusive_scan_kernelILj377ELN6hipcub18BlockScanAlgorithmE1EiEvPT1_,"axG",@progbits,_Z21inclusive_scan_kernelILj377ELN6hipcub18BlockScanAlgorithmE1EiEvPT1_,comdat
.Lfunc_end1:
	.size	_Z21inclusive_scan_kernelILj377ELN6hipcub18BlockScanAlgorithmE1EiEvPT1_, .Lfunc_end1-_Z21inclusive_scan_kernelILj377ELN6hipcub18BlockScanAlgorithmE1EiEvPT1_
                                        ; -- End function
	.section	.AMDGPU.csdata,"",@progbits
; Kernel info:
; codeLenInByte = 608
; NumSgprs: 18
; NumVgprs: 23
; ScratchSize: 0
; MemoryBound: 0
; FloatMode: 240
; IeeeMode: 1
; LDSByteSize: 1536 bytes/workgroup (compile time only)
; SGPRBlocks: 2
; VGPRBlocks: 2
; NumSGPRsForWavesPerEU: 18
; NumVGPRsForWavesPerEU: 23
; Occupancy: 15
; WaveLimiterHint : 0
; COMPUTE_PGM_RSRC2:SCRATCH_EN: 0
; COMPUTE_PGM_RSRC2:USER_SGPR: 15
; COMPUTE_PGM_RSRC2:TRAP_HANDLER: 0
; COMPUTE_PGM_RSRC2:TGID_X_EN: 1
; COMPUTE_PGM_RSRC2:TGID_Y_EN: 0
; COMPUTE_PGM_RSRC2:TGID_Z_EN: 0
; COMPUTE_PGM_RSRC2:TIDIG_COMP_CNT: 0
	.section	.text._Z21inclusive_scan_kernelILj255ELN6hipcub18BlockScanAlgorithmE1EjEvPT1_,"axG",@progbits,_Z21inclusive_scan_kernelILj255ELN6hipcub18BlockScanAlgorithmE1EjEvPT1_,comdat
	.protected	_Z21inclusive_scan_kernelILj255ELN6hipcub18BlockScanAlgorithmE1EjEvPT1_ ; -- Begin function _Z21inclusive_scan_kernelILj255ELN6hipcub18BlockScanAlgorithmE1EjEvPT1_
	.globl	_Z21inclusive_scan_kernelILj255ELN6hipcub18BlockScanAlgorithmE1EjEvPT1_
	.p2align	8
	.type	_Z21inclusive_scan_kernelILj255ELN6hipcub18BlockScanAlgorithmE1EjEvPT1_,@function
_Z21inclusive_scan_kernelILj255ELN6hipcub18BlockScanAlgorithmE1EjEvPT1_: ; @_Z21inclusive_scan_kernelILj255ELN6hipcub18BlockScanAlgorithmE1EjEvPT1_
; %bb.0:
	s_load_b64 s[0:1], s[0:1], 0x0
	v_mad_u64_u32 v[1:2], null, 0xff, s15, v[0:1]
	v_mov_b32_e32 v2, 0
	v_lshrrev_b32_e32 v3, 5, v0
	s_delay_alu instid0(VALU_DEP_1) | instskip(NEXT) | instid1(VALU_DEP_3)
	v_add_lshl_u32 v3, v3, v0, 2
	v_lshlrev_b64 v[1:2], 2, v[1:2]
	s_waitcnt lgkmcnt(0)
	s_delay_alu instid0(VALU_DEP_1) | instskip(NEXT) | instid1(VALU_DEP_2)
	v_add_co_u32 v1, vcc_lo, s0, v1
	v_add_co_ci_u32_e32 v2, vcc_lo, s1, v2, vcc_lo
	s_mov_b32 s0, exec_lo
	global_load_b32 v4, v[1:2], off
	s_waitcnt vmcnt(0)
	ds_store_b32 v3, v4
	s_waitcnt lgkmcnt(0)
	s_barrier
	buffer_gl0_inv
	v_cmpx_gt_u32_e32 32, v0
	s_cbranch_execz .LBB2_2
; %bb.1:
	v_and_b32_e32 v5, 0xfc, v0
	v_mbcnt_lo_u32_b32 v15, -1, 0
	s_delay_alu instid0(VALU_DEP_2) | instskip(NEXT) | instid1(VALU_DEP_2)
	v_lshl_or_b32 v13, v0, 5, v5
	v_add_nc_u32_e32 v18, -1, v15
	ds_load_2addr_b32 v[5:6], v13 offset1:1
	ds_load_2addr_b32 v[7:8], v13 offset0:2 offset1:3
	ds_load_2addr_b32 v[9:10], v13 offset0:4 offset1:5
	ds_load_2addr_b32 v[11:12], v13 offset0:6 offset1:7
	s_waitcnt lgkmcnt(3)
	v_add_nc_u32_e32 v14, v6, v5
	s_waitcnt lgkmcnt(2)
	s_delay_alu instid0(VALU_DEP_1) | instskip(SKIP_1) | instid1(VALU_DEP_1)
	v_add3_u32 v14, v14, v7, v8
	s_waitcnt lgkmcnt(1)
	v_add3_u32 v14, v14, v9, v10
	s_waitcnt lgkmcnt(0)
	s_delay_alu instid0(VALU_DEP_1) | instskip(NEXT) | instid1(VALU_DEP_1)
	v_add3_u32 v14, v14, v11, v12
	v_mov_b32_dpp v17, v14 row_shr:1 row_mask:0xf bank_mask:0xf
	v_and_b32_e32 v16, 15, v15
	s_delay_alu instid0(VALU_DEP_1) | instskip(NEXT) | instid1(VALU_DEP_3)
	v_cmp_ne_u32_e32 vcc_lo, 0, v16
	v_cndmask_b32_e32 v17, 0, v17, vcc_lo
	v_cmp_lt_u32_e32 vcc_lo, 1, v16
	s_delay_alu instid0(VALU_DEP_2) | instskip(NEXT) | instid1(VALU_DEP_1)
	v_add_nc_u32_e32 v14, v17, v14
	v_mov_b32_dpp v17, v14 row_shr:2 row_mask:0xf bank_mask:0xf
	s_delay_alu instid0(VALU_DEP_1) | instskip(SKIP_1) | instid1(VALU_DEP_2)
	v_cndmask_b32_e32 v17, 0, v17, vcc_lo
	v_cmp_lt_u32_e32 vcc_lo, 3, v16
	v_add_nc_u32_e32 v14, v14, v17
	s_delay_alu instid0(VALU_DEP_1) | instskip(NEXT) | instid1(VALU_DEP_1)
	v_mov_b32_dpp v17, v14 row_shr:4 row_mask:0xf bank_mask:0xf
	v_cndmask_b32_e32 v17, 0, v17, vcc_lo
	v_cmp_lt_u32_e32 vcc_lo, 7, v16
	s_delay_alu instid0(VALU_DEP_2) | instskip(NEXT) | instid1(VALU_DEP_1)
	v_add_nc_u32_e32 v14, v14, v17
	v_mov_b32_dpp v17, v14 row_shr:8 row_mask:0xf bank_mask:0xf
	s_delay_alu instid0(VALU_DEP_1) | instskip(SKIP_2) | instid1(VALU_DEP_3)
	v_cndmask_b32_e32 v16, 0, v17, vcc_lo
	v_bfe_i32 v17, v15, 4, 1
	v_cmp_gt_i32_e32 vcc_lo, 0, v18
	v_add_nc_u32_e32 v14, v14, v16
	v_cndmask_b32_e32 v15, v18, v15, vcc_lo
	v_cmp_eq_u32_e32 vcc_lo, 0, v0
	ds_swizzle_b32 v16, v14 offset:swizzle(BROADCAST,32,15)
	v_lshlrev_b32_e32 v15, 2, v15
	s_waitcnt lgkmcnt(0)
	v_and_b32_e32 v16, v17, v16
	s_delay_alu instid0(VALU_DEP_1) | instskip(SKIP_3) | instid1(VALU_DEP_1)
	v_add_nc_u32_e32 v14, v14, v16
	ds_bpermute_b32 v14, v15, v14
	s_waitcnt lgkmcnt(0)
	v_add_nc_u32_e32 v5, v14, v5
	v_cndmask_b32_e32 v0, v5, v4, vcc_lo
	s_delay_alu instid0(VALU_DEP_1) | instskip(NEXT) | instid1(VALU_DEP_1)
	v_add_nc_u32_e32 v4, v0, v6
	v_add_nc_u32_e32 v5, v4, v7
	s_delay_alu instid0(VALU_DEP_1) | instskip(NEXT) | instid1(VALU_DEP_1)
	v_add_nc_u32_e32 v6, v5, v8
	v_add_nc_u32_e32 v7, v6, v9
	;; [unrolled: 3-line block ×3, first 2 shown]
	s_delay_alu instid0(VALU_DEP_1)
	v_add_nc_u32_e32 v10, v9, v12
	ds_store_2addr_b32 v13, v0, v4 offset1:1
	ds_store_2addr_b32 v13, v5, v6 offset0:2 offset1:3
	ds_store_2addr_b32 v13, v7, v8 offset0:4 offset1:5
	;; [unrolled: 1-line block ×3, first 2 shown]
.LBB2_2:
	s_or_b32 exec_lo, exec_lo, s0
	s_waitcnt lgkmcnt(0)
	s_barrier
	buffer_gl0_inv
	ds_load_b32 v0, v3
	s_waitcnt lgkmcnt(0)
	global_store_b32 v[1:2], v0, off
	s_nop 0
	s_sendmsg sendmsg(MSG_DEALLOC_VGPRS)
	s_endpgm
	.section	.rodata,"a",@progbits
	.p2align	6, 0x0
	.amdhsa_kernel _Z21inclusive_scan_kernelILj255ELN6hipcub18BlockScanAlgorithmE1EjEvPT1_
		.amdhsa_group_segment_fixed_size 1056
		.amdhsa_private_segment_fixed_size 0
		.amdhsa_kernarg_size 8
		.amdhsa_user_sgpr_count 15
		.amdhsa_user_sgpr_dispatch_ptr 0
		.amdhsa_user_sgpr_queue_ptr 0
		.amdhsa_user_sgpr_kernarg_segment_ptr 1
		.amdhsa_user_sgpr_dispatch_id 0
		.amdhsa_user_sgpr_private_segment_size 0
		.amdhsa_wavefront_size32 1
		.amdhsa_uses_dynamic_stack 0
		.amdhsa_enable_private_segment 0
		.amdhsa_system_sgpr_workgroup_id_x 1
		.amdhsa_system_sgpr_workgroup_id_y 0
		.amdhsa_system_sgpr_workgroup_id_z 0
		.amdhsa_system_sgpr_workgroup_info 0
		.amdhsa_system_vgpr_workitem_id 0
		.amdhsa_next_free_vgpr 19
		.amdhsa_next_free_sgpr 16
		.amdhsa_reserve_vcc 1
		.amdhsa_float_round_mode_32 0
		.amdhsa_float_round_mode_16_64 0
		.amdhsa_float_denorm_mode_32 3
		.amdhsa_float_denorm_mode_16_64 3
		.amdhsa_dx10_clamp 1
		.amdhsa_ieee_mode 1
		.amdhsa_fp16_overflow 0
		.amdhsa_workgroup_processor_mode 1
		.amdhsa_memory_ordered 1
		.amdhsa_forward_progress 0
		.amdhsa_shared_vgpr_count 0
		.amdhsa_exception_fp_ieee_invalid_op 0
		.amdhsa_exception_fp_denorm_src 0
		.amdhsa_exception_fp_ieee_div_zero 0
		.amdhsa_exception_fp_ieee_overflow 0
		.amdhsa_exception_fp_ieee_underflow 0
		.amdhsa_exception_fp_ieee_inexact 0
		.amdhsa_exception_int_div_zero 0
	.end_amdhsa_kernel
	.section	.text._Z21inclusive_scan_kernelILj255ELN6hipcub18BlockScanAlgorithmE1EjEvPT1_,"axG",@progbits,_Z21inclusive_scan_kernelILj255ELN6hipcub18BlockScanAlgorithmE1EjEvPT1_,comdat
.Lfunc_end2:
	.size	_Z21inclusive_scan_kernelILj255ELN6hipcub18BlockScanAlgorithmE1EjEvPT1_, .Lfunc_end2-_Z21inclusive_scan_kernelILj255ELN6hipcub18BlockScanAlgorithmE1EjEvPT1_
                                        ; -- End function
	.section	.AMDGPU.csdata,"",@progbits
; Kernel info:
; codeLenInByte = 536
; NumSgprs: 18
; NumVgprs: 19
; ScratchSize: 0
; MemoryBound: 0
; FloatMode: 240
; IeeeMode: 1
; LDSByteSize: 1056 bytes/workgroup (compile time only)
; SGPRBlocks: 2
; VGPRBlocks: 2
; NumSGPRsForWavesPerEU: 18
; NumVGPRsForWavesPerEU: 19
; Occupancy: 16
; WaveLimiterHint : 0
; COMPUTE_PGM_RSRC2:SCRATCH_EN: 0
; COMPUTE_PGM_RSRC2:USER_SGPR: 15
; COMPUTE_PGM_RSRC2:TRAP_HANDLER: 0
; COMPUTE_PGM_RSRC2:TGID_X_EN: 1
; COMPUTE_PGM_RSRC2:TGID_Y_EN: 0
; COMPUTE_PGM_RSRC2:TGID_Z_EN: 0
; COMPUTE_PGM_RSRC2:TIDIG_COMP_CNT: 0
	.section	.text._Z21inclusive_scan_kernelILj162ELN6hipcub18BlockScanAlgorithmE1EsEvPT1_,"axG",@progbits,_Z21inclusive_scan_kernelILj162ELN6hipcub18BlockScanAlgorithmE1EsEvPT1_,comdat
	.protected	_Z21inclusive_scan_kernelILj162ELN6hipcub18BlockScanAlgorithmE1EsEvPT1_ ; -- Begin function _Z21inclusive_scan_kernelILj162ELN6hipcub18BlockScanAlgorithmE1EsEvPT1_
	.globl	_Z21inclusive_scan_kernelILj162ELN6hipcub18BlockScanAlgorithmE1EsEvPT1_
	.p2align	8
	.type	_Z21inclusive_scan_kernelILj162ELN6hipcub18BlockScanAlgorithmE1EsEvPT1_,@function
_Z21inclusive_scan_kernelILj162ELN6hipcub18BlockScanAlgorithmE1EsEvPT1_: ; @_Z21inclusive_scan_kernelILj162ELN6hipcub18BlockScanAlgorithmE1EsEvPT1_
; %bb.0:
	s_load_b64 s[0:1], s[0:1], 0x0
	v_mad_u64_u32 v[1:2], null, 0xa2, s15, v[0:1]
	v_dual_mov_b32 v2, 0 :: v_dual_lshlrev_b32 v3, 1, v0
	s_delay_alu instid0(VALU_DEP_1) | instskip(SKIP_1) | instid1(VALU_DEP_1)
	v_lshlrev_b64 v[1:2], 1, v[1:2]
	s_waitcnt lgkmcnt(0)
	v_add_co_u32 v1, vcc_lo, s0, v1
	s_delay_alu instid0(VALU_DEP_2)
	v_add_co_ci_u32_e32 v2, vcc_lo, s1, v2, vcc_lo
	s_mov_b32 s0, exec_lo
	global_load_u16 v4, v[1:2], off
	s_waitcnt vmcnt(0)
	ds_store_b16 v3, v4
	s_waitcnt lgkmcnt(0)
	s_barrier
	buffer_gl0_inv
	v_cmpx_gt_u32_e32 32, v0
	s_cbranch_execz .LBB3_2
; %bb.1:
	v_mul_u32_u24_e32 v5, 6, v0
	v_mbcnt_lo_u32_b32 v13, -1, 0
	s_delay_alu instid0(VALU_DEP_2)
	v_lshlrev_b32_e32 v8, 1, v5
	ds_load_b96 v[5:7], v8
	s_waitcnt lgkmcnt(0)
	v_lshrrev_b32_e32 v9, 16, v5
	v_lshrrev_b32_e32 v11, 16, v6
	;; [unrolled: 1-line block ×3, first 2 shown]
	s_delay_alu instid0(VALU_DEP_3) | instskip(NEXT) | instid1(VALU_DEP_1)
	v_add_nc_u16 v10, v9, v5
	v_add_nc_u16 v10, v10, v6
	s_delay_alu instid0(VALU_DEP_1) | instskip(NEXT) | instid1(VALU_DEP_1)
	v_add_nc_u16 v10, v10, v11
	v_add_nc_u16 v10, v10, v7
	s_delay_alu instid0(VALU_DEP_1) | instskip(NEXT) | instid1(VALU_DEP_1)
	v_add_nc_u16 v10, v10, v12
	v_and_b32_e32 v14, 0xffff, v10
	s_delay_alu instid0(VALU_DEP_1) | instskip(SKIP_1) | instid1(VALU_DEP_1)
	v_mov_b32_dpp v14, v14 row_shr:1 row_mask:0xf bank_mask:0xf
	v_and_b32_e32 v15, 15, v13
	v_cmp_ne_u32_e32 vcc_lo, 0, v15
	s_delay_alu instid0(VALU_DEP_3) | instskip(SKIP_1) | instid1(VALU_DEP_2)
	v_cndmask_b32_e32 v14, 0, v14, vcc_lo
	v_cmp_lt_u32_e32 vcc_lo, 1, v15
	v_add_nc_u16 v10, v14, v10
	s_delay_alu instid0(VALU_DEP_1) | instskip(NEXT) | instid1(VALU_DEP_1)
	v_and_b32_e32 v14, 0xffff, v10
	v_mov_b32_dpp v14, v14 row_shr:2 row_mask:0xf bank_mask:0xf
	s_delay_alu instid0(VALU_DEP_1) | instskip(SKIP_1) | instid1(VALU_DEP_2)
	v_cndmask_b32_e32 v14, 0, v14, vcc_lo
	v_cmp_lt_u32_e32 vcc_lo, 3, v15
	v_add_nc_u16 v10, v10, v14
	s_delay_alu instid0(VALU_DEP_1) | instskip(NEXT) | instid1(VALU_DEP_1)
	v_and_b32_e32 v14, 0xffff, v10
	v_mov_b32_dpp v14, v14 row_shr:4 row_mask:0xf bank_mask:0xf
	s_delay_alu instid0(VALU_DEP_1) | instskip(SKIP_2) | instid1(VALU_DEP_3)
	v_cndmask_b32_e32 v14, 0, v14, vcc_lo
	v_cmp_lt_u32_e32 vcc_lo, 7, v15
	v_and_b32_e32 v15, 16, v13
	v_add_nc_u16 v10, v10, v14
	s_delay_alu instid0(VALU_DEP_1) | instskip(NEXT) | instid1(VALU_DEP_1)
	v_and_b32_e32 v14, 0xffff, v10
	v_mov_b32_dpp v14, v14 row_shr:8 row_mask:0xf bank_mask:0xf
	s_delay_alu instid0(VALU_DEP_1) | instskip(SKIP_2) | instid1(VALU_DEP_3)
	v_cndmask_b32_e32 v14, 0, v14, vcc_lo
	v_cmp_ne_u32_e32 vcc_lo, 0, v15
	v_add_nc_u32_e32 v15, -1, v13
	v_add_nc_u16 v10, v10, v14
	s_delay_alu instid0(VALU_DEP_1) | instskip(SKIP_4) | instid1(VALU_DEP_2)
	v_and_b32_e32 v14, 0xffff, v10
	ds_swizzle_b32 v14, v14 offset:swizzle(BROADCAST,32,15)
	s_waitcnt lgkmcnt(0)
	v_cndmask_b32_e32 v14, 0, v14, vcc_lo
	v_cmp_gt_i32_e32 vcc_lo, 0, v15
	v_add_nc_u16 v10, v10, v14
	v_cndmask_b32_e32 v13, v15, v13, vcc_lo
	v_cmp_eq_u32_e32 vcc_lo, 0, v0
	s_delay_alu instid0(VALU_DEP_3) | instskip(NEXT) | instid1(VALU_DEP_3)
	v_and_b32_e32 v10, 0xffff, v10
	v_lshlrev_b32_e32 v13, 2, v13
	ds_bpermute_b32 v10, v13, v10
	s_waitcnt lgkmcnt(0)
	v_add_nc_u16 v5, v5, v10
	s_delay_alu instid0(VALU_DEP_1) | instskip(NEXT) | instid1(VALU_DEP_1)
	v_cndmask_b32_e32 v0, v5, v4, vcc_lo
	v_add_nc_u16 v4, v0, v9
	s_delay_alu instid0(VALU_DEP_1) | instskip(SKIP_1) | instid1(VALU_DEP_2)
	v_add_nc_u16 v5, v4, v6
	v_perm_b32 v4, v4, v0, 0x5040100
	v_add_nc_u16 v6, v5, v11
	s_delay_alu instid0(VALU_DEP_1) | instskip(SKIP_1) | instid1(VALU_DEP_2)
	v_add_nc_u16 v7, v6, v7
	v_perm_b32 v5, v6, v5, 0x5040100
	v_add_nc_u16 v9, v7, v12
	s_delay_alu instid0(VALU_DEP_1)
	v_perm_b32 v6, v9, v7, 0x5040100
	ds_store_b96 v8, v[4:6]
.LBB3_2:
	s_or_b32 exec_lo, exec_lo, s0
	s_waitcnt lgkmcnt(0)
	s_barrier
	buffer_gl0_inv
	ds_load_u16 v0, v3
	s_waitcnt lgkmcnt(0)
	global_store_b16 v[1:2], v0, off
	s_nop 0
	s_sendmsg sendmsg(MSG_DEALLOC_VGPRS)
	s_endpgm
	.section	.rodata,"a",@progbits
	.p2align	6, 0x0
	.amdhsa_kernel _Z21inclusive_scan_kernelILj162ELN6hipcub18BlockScanAlgorithmE1EsEvPT1_
		.amdhsa_group_segment_fixed_size 384
		.amdhsa_private_segment_fixed_size 0
		.amdhsa_kernarg_size 8
		.amdhsa_user_sgpr_count 15
		.amdhsa_user_sgpr_dispatch_ptr 0
		.amdhsa_user_sgpr_queue_ptr 0
		.amdhsa_user_sgpr_kernarg_segment_ptr 1
		.amdhsa_user_sgpr_dispatch_id 0
		.amdhsa_user_sgpr_private_segment_size 0
		.amdhsa_wavefront_size32 1
		.amdhsa_uses_dynamic_stack 0
		.amdhsa_enable_private_segment 0
		.amdhsa_system_sgpr_workgroup_id_x 1
		.amdhsa_system_sgpr_workgroup_id_y 0
		.amdhsa_system_sgpr_workgroup_id_z 0
		.amdhsa_system_sgpr_workgroup_info 0
		.amdhsa_system_vgpr_workitem_id 0
		.amdhsa_next_free_vgpr 16
		.amdhsa_next_free_sgpr 16
		.amdhsa_reserve_vcc 1
		.amdhsa_float_round_mode_32 0
		.amdhsa_float_round_mode_16_64 0
		.amdhsa_float_denorm_mode_32 3
		.amdhsa_float_denorm_mode_16_64 3
		.amdhsa_dx10_clamp 1
		.amdhsa_ieee_mode 1
		.amdhsa_fp16_overflow 0
		.amdhsa_workgroup_processor_mode 1
		.amdhsa_memory_ordered 1
		.amdhsa_forward_progress 0
		.amdhsa_shared_vgpr_count 0
		.amdhsa_exception_fp_ieee_invalid_op 0
		.amdhsa_exception_fp_denorm_src 0
		.amdhsa_exception_fp_ieee_div_zero 0
		.amdhsa_exception_fp_ieee_overflow 0
		.amdhsa_exception_fp_ieee_underflow 0
		.amdhsa_exception_fp_ieee_inexact 0
		.amdhsa_exception_int_div_zero 0
	.end_amdhsa_kernel
	.section	.text._Z21inclusive_scan_kernelILj162ELN6hipcub18BlockScanAlgorithmE1EsEvPT1_,"axG",@progbits,_Z21inclusive_scan_kernelILj162ELN6hipcub18BlockScanAlgorithmE1EsEvPT1_,comdat
.Lfunc_end3:
	.size	_Z21inclusive_scan_kernelILj162ELN6hipcub18BlockScanAlgorithmE1EsEvPT1_, .Lfunc_end3-_Z21inclusive_scan_kernelILj162ELN6hipcub18BlockScanAlgorithmE1EsEvPT1_
                                        ; -- End function
	.section	.AMDGPU.csdata,"",@progbits
; Kernel info:
; codeLenInByte = 620
; NumSgprs: 18
; NumVgprs: 16
; ScratchSize: 0
; MemoryBound: 0
; FloatMode: 240
; IeeeMode: 1
; LDSByteSize: 384 bytes/workgroup (compile time only)
; SGPRBlocks: 2
; VGPRBlocks: 1
; NumSGPRsForWavesPerEU: 18
; NumVGPRsForWavesPerEU: 16
; Occupancy: 15
; WaveLimiterHint : 0
; COMPUTE_PGM_RSRC2:SCRATCH_EN: 0
; COMPUTE_PGM_RSRC2:USER_SGPR: 15
; COMPUTE_PGM_RSRC2:TRAP_HANDLER: 0
; COMPUTE_PGM_RSRC2:TGID_X_EN: 1
; COMPUTE_PGM_RSRC2:TGID_Y_EN: 0
; COMPUTE_PGM_RSRC2:TGID_Z_EN: 0
; COMPUTE_PGM_RSRC2:TIDIG_COMP_CNT: 0
	.section	.text._Z21inclusive_scan_kernelILj37ELN6hipcub18BlockScanAlgorithmE1ElEvPT1_,"axG",@progbits,_Z21inclusive_scan_kernelILj37ELN6hipcub18BlockScanAlgorithmE1ElEvPT1_,comdat
	.protected	_Z21inclusive_scan_kernelILj37ELN6hipcub18BlockScanAlgorithmE1ElEvPT1_ ; -- Begin function _Z21inclusive_scan_kernelILj37ELN6hipcub18BlockScanAlgorithmE1ElEvPT1_
	.globl	_Z21inclusive_scan_kernelILj37ELN6hipcub18BlockScanAlgorithmE1ElEvPT1_
	.p2align	8
	.type	_Z21inclusive_scan_kernelILj37ELN6hipcub18BlockScanAlgorithmE1ElEvPT1_,@function
_Z21inclusive_scan_kernelILj37ELN6hipcub18BlockScanAlgorithmE1ElEvPT1_: ; @_Z21inclusive_scan_kernelILj37ELN6hipcub18BlockScanAlgorithmE1ElEvPT1_
; %bb.0:
	s_load_b64 s[0:1], s[0:1], 0x0
	v_mad_u64_u32 v[1:2], null, s15, 37, v[0:1]
	v_mov_b32_e32 v2, 0
	s_delay_alu instid0(VALU_DEP_1) | instskip(SKIP_1) | instid1(VALU_DEP_1)
	v_lshlrev_b64 v[1:2], 3, v[1:2]
	s_waitcnt lgkmcnt(0)
	v_add_co_u32 v5, vcc_lo, s0, v1
	s_delay_alu instid0(VALU_DEP_2)
	v_add_co_ci_u32_e32 v6, vcc_lo, s1, v2, vcc_lo
	v_lshrrev_b32_e32 v1, 5, v0
	s_mov_b32 s0, exec_lo
	global_load_b64 v[7:8], v[5:6], off
	v_add_lshl_u32 v13, v1, v0, 3
	s_waitcnt vmcnt(0)
	ds_store_b64 v13, v[7:8]
	s_waitcnt lgkmcnt(0)
	s_barrier
	buffer_gl0_inv
	v_cmpx_gt_u32_e32 32, v0
	s_cbranch_execz .LBB4_10
; %bb.1:
	v_lshrrev_b32_e32 v1, 1, v0
	v_mbcnt_lo_u32_b32 v15, -1, 0
	s_mov_b32 s1, exec_lo
	s_delay_alu instid0(VALU_DEP_2) | instskip(NEXT) | instid1(VALU_DEP_1)
	v_and_b32_e32 v1, 24, v1
	v_lshl_or_b32 v14, v0, 4, v1
	ds_load_2addr_b64 v[1:4], v14 offset1:1
	s_waitcnt lgkmcnt(0)
	v_add_co_u32 v9, vcc_lo, v3, v1
	v_add_co_ci_u32_e32 v10, vcc_lo, v4, v2, vcc_lo
	v_and_b32_e32 v16, 15, v15
	s_delay_alu instid0(VALU_DEP_3) | instskip(NEXT) | instid1(VALU_DEP_3)
	v_mov_b32_dpp v18, v9 row_shr:1 row_mask:0xf bank_mask:0xf
	v_dual_mov_b32 v12, v10 :: v_dual_mov_b32 v11, v9
	v_mov_b32_dpp v17, v10 row_shr:1 row_mask:0xf bank_mask:0xf
	s_delay_alu instid0(VALU_DEP_4)
	v_cmpx_ne_u32_e32 0, v16
; %bb.2:
	s_delay_alu instid0(VALU_DEP_4) | instskip(SKIP_1) | instid1(VALU_DEP_2)
	v_add_co_u32 v9, vcc_lo, v9, v18
	v_add_co_ci_u32_e32 v10, vcc_lo, 0, v10, vcc_lo
	v_add_co_u32 v11, vcc_lo, 0, v9
	s_delay_alu instid0(VALU_DEP_2) | instskip(NEXT) | instid1(VALU_DEP_1)
	v_add_co_ci_u32_e32 v12, vcc_lo, v17, v10, vcc_lo
	v_mov_b32_e32 v10, v12
; %bb.3:
	s_or_b32 exec_lo, exec_lo, s1
	v_mov_b32_dpp v18, v9 row_shr:2 row_mask:0xf bank_mask:0xf
	s_delay_alu instid0(VALU_DEP_2)
	v_mov_b32_dpp v17, v10 row_shr:2 row_mask:0xf bank_mask:0xf
	s_mov_b32 s1, exec_lo
	v_cmpx_lt_u32_e32 1, v16
; %bb.4:
	s_delay_alu instid0(VALU_DEP_3) | instskip(SKIP_1) | instid1(VALU_DEP_2)
	v_add_co_u32 v9, vcc_lo, v11, v18
	v_add_co_ci_u32_e32 v10, vcc_lo, 0, v12, vcc_lo
	v_add_co_u32 v11, vcc_lo, 0, v9
	s_delay_alu instid0(VALU_DEP_2) | instskip(NEXT) | instid1(VALU_DEP_1)
	v_add_co_ci_u32_e32 v12, vcc_lo, v17, v10, vcc_lo
	v_mov_b32_e32 v10, v12
; %bb.5:
	s_or_b32 exec_lo, exec_lo, s1
	v_mov_b32_dpp v18, v9 row_shr:4 row_mask:0xf bank_mask:0xf
	s_delay_alu instid0(VALU_DEP_2)
	v_mov_b32_dpp v17, v10 row_shr:4 row_mask:0xf bank_mask:0xf
	s_mov_b32 s1, exec_lo
	v_cmpx_lt_u32_e32 3, v16
; %bb.6:
	s_delay_alu instid0(VALU_DEP_3) | instskip(SKIP_1) | instid1(VALU_DEP_2)
	;; [unrolled: 15-line block ×3, first 2 shown]
	v_add_co_u32 v9, vcc_lo, v11, v18
	v_add_co_ci_u32_e32 v10, vcc_lo, 0, v12, vcc_lo
	v_add_co_u32 v11, vcc_lo, 0, v9
	s_delay_alu instid0(VALU_DEP_2) | instskip(NEXT) | instid1(VALU_DEP_1)
	v_add_co_ci_u32_e32 v12, vcc_lo, v17, v10, vcc_lo
	v_mov_b32_e32 v10, v12
; %bb.9:
	s_or_b32 exec_lo, exec_lo, s1
	ds_swizzle_b32 v16, v9 offset:swizzle(BROADCAST,32,15)
	ds_swizzle_b32 v17, v10 offset:swizzle(BROADCAST,32,15)
	v_add_nc_u32_e32 v18, -1, v15
	v_and_b32_e32 v19, 16, v15
	s_delay_alu instid0(VALU_DEP_2) | instskip(SKIP_1) | instid1(VALU_DEP_1)
	v_cmp_gt_i32_e32 vcc_lo, 0, v18
	v_cndmask_b32_e32 v15, v18, v15, vcc_lo
	v_lshlrev_b32_e32 v15, 2, v15
	s_waitcnt lgkmcnt(1)
	v_add_co_u32 v11, vcc_lo, v11, v16
	v_add_co_ci_u32_e32 v12, vcc_lo, 0, v12, vcc_lo
	v_cmp_eq_u32_e32 vcc_lo, 0, v19
	s_delay_alu instid0(VALU_DEP_3) | instskip(SKIP_1) | instid1(VALU_DEP_3)
	v_cndmask_b32_e32 v9, v11, v9, vcc_lo
	s_waitcnt lgkmcnt(0)
	v_add_nc_u32_e32 v11, v17, v12
	ds_bpermute_b32 v9, v15, v9
	v_cndmask_b32_e32 v10, v11, v10, vcc_lo
	ds_bpermute_b32 v10, v15, v10
	s_waitcnt lgkmcnt(1)
	v_add_co_u32 v1, vcc_lo, v1, v9
	v_add_co_ci_u32_e32 v2, vcc_lo, 0, v2, vcc_lo
	s_delay_alu instid0(VALU_DEP_2) | instskip(SKIP_1) | instid1(VALU_DEP_2)
	v_add_co_u32 v9, vcc_lo, v1, 0
	s_waitcnt lgkmcnt(0)
	v_add_co_ci_u32_e32 v1, vcc_lo, v2, v10, vcc_lo
	v_cmp_eq_u32_e32 vcc_lo, 0, v0
	s_delay_alu instid0(VALU_DEP_3) | instskip(NEXT) | instid1(VALU_DEP_3)
	v_cndmask_b32_e32 v0, v9, v7, vcc_lo
	v_cndmask_b32_e32 v1, v1, v8, vcc_lo
	s_delay_alu instid0(VALU_DEP_2) | instskip(NEXT) | instid1(VALU_DEP_2)
	v_add_co_u32 v2, vcc_lo, v0, v3
	v_add_co_ci_u32_e32 v3, vcc_lo, v1, v4, vcc_lo
	ds_store_2addr_b64 v14, v[0:1], v[2:3] offset1:1
.LBB4_10:
	s_or_b32 exec_lo, exec_lo, s0
	s_waitcnt lgkmcnt(0)
	s_barrier
	buffer_gl0_inv
	ds_load_b64 v[0:1], v13
	s_waitcnt lgkmcnt(0)
	global_store_b64 v[5:6], v[0:1], off
	s_nop 0
	s_sendmsg sendmsg(MSG_DEALLOC_VGPRS)
	s_endpgm
	.section	.rodata,"a",@progbits
	.p2align	6, 0x0
	.amdhsa_kernel _Z21inclusive_scan_kernelILj37ELN6hipcub18BlockScanAlgorithmE1ElEvPT1_
		.amdhsa_group_segment_fixed_size 528
		.amdhsa_private_segment_fixed_size 0
		.amdhsa_kernarg_size 8
		.amdhsa_user_sgpr_count 15
		.amdhsa_user_sgpr_dispatch_ptr 0
		.amdhsa_user_sgpr_queue_ptr 0
		.amdhsa_user_sgpr_kernarg_segment_ptr 1
		.amdhsa_user_sgpr_dispatch_id 0
		.amdhsa_user_sgpr_private_segment_size 0
		.amdhsa_wavefront_size32 1
		.amdhsa_uses_dynamic_stack 0
		.amdhsa_enable_private_segment 0
		.amdhsa_system_sgpr_workgroup_id_x 1
		.amdhsa_system_sgpr_workgroup_id_y 0
		.amdhsa_system_sgpr_workgroup_id_z 0
		.amdhsa_system_sgpr_workgroup_info 0
		.amdhsa_system_vgpr_workitem_id 0
		.amdhsa_next_free_vgpr 20
		.amdhsa_next_free_sgpr 16
		.amdhsa_reserve_vcc 1
		.amdhsa_float_round_mode_32 0
		.amdhsa_float_round_mode_16_64 0
		.amdhsa_float_denorm_mode_32 3
		.amdhsa_float_denorm_mode_16_64 3
		.amdhsa_dx10_clamp 1
		.amdhsa_ieee_mode 1
		.amdhsa_fp16_overflow 0
		.amdhsa_workgroup_processor_mode 1
		.amdhsa_memory_ordered 1
		.amdhsa_forward_progress 0
		.amdhsa_shared_vgpr_count 0
		.amdhsa_exception_fp_ieee_invalid_op 0
		.amdhsa_exception_fp_denorm_src 0
		.amdhsa_exception_fp_ieee_div_zero 0
		.amdhsa_exception_fp_ieee_overflow 0
		.amdhsa_exception_fp_ieee_underflow 0
		.amdhsa_exception_fp_ieee_inexact 0
		.amdhsa_exception_int_div_zero 0
	.end_amdhsa_kernel
	.section	.text._Z21inclusive_scan_kernelILj37ELN6hipcub18BlockScanAlgorithmE1ElEvPT1_,"axG",@progbits,_Z21inclusive_scan_kernelILj37ELN6hipcub18BlockScanAlgorithmE1ElEvPT1_,comdat
.Lfunc_end4:
	.size	_Z21inclusive_scan_kernelILj37ELN6hipcub18BlockScanAlgorithmE1ElEvPT1_, .Lfunc_end4-_Z21inclusive_scan_kernelILj37ELN6hipcub18BlockScanAlgorithmE1ElEvPT1_
                                        ; -- End function
	.section	.AMDGPU.csdata,"",@progbits
; Kernel info:
; codeLenInByte = 676
; NumSgprs: 18
; NumVgprs: 20
; ScratchSize: 0
; MemoryBound: 0
; FloatMode: 240
; IeeeMode: 1
; LDSByteSize: 528 bytes/workgroup (compile time only)
; SGPRBlocks: 2
; VGPRBlocks: 2
; NumSGPRsForWavesPerEU: 18
; NumVGPRsForWavesPerEU: 20
; Occupancy: 16
; WaveLimiterHint : 0
; COMPUTE_PGM_RSRC2:SCRATCH_EN: 0
; COMPUTE_PGM_RSRC2:USER_SGPR: 15
; COMPUTE_PGM_RSRC2:TRAP_HANDLER: 0
; COMPUTE_PGM_RSRC2:TGID_X_EN: 1
; COMPUTE_PGM_RSRC2:TGID_Y_EN: 0
; COMPUTE_PGM_RSRC2:TGID_Z_EN: 0
; COMPUTE_PGM_RSRC2:TIDIG_COMP_CNT: 0
	.section	.text._Z21inclusive_scan_kernelILj65ELN6hipcub18BlockScanAlgorithmE1EmEvPT1_,"axG",@progbits,_Z21inclusive_scan_kernelILj65ELN6hipcub18BlockScanAlgorithmE1EmEvPT1_,comdat
	.protected	_Z21inclusive_scan_kernelILj65ELN6hipcub18BlockScanAlgorithmE1EmEvPT1_ ; -- Begin function _Z21inclusive_scan_kernelILj65ELN6hipcub18BlockScanAlgorithmE1EmEvPT1_
	.globl	_Z21inclusive_scan_kernelILj65ELN6hipcub18BlockScanAlgorithmE1EmEvPT1_
	.p2align	8
	.type	_Z21inclusive_scan_kernelILj65ELN6hipcub18BlockScanAlgorithmE1EmEvPT1_,@function
_Z21inclusive_scan_kernelILj65ELN6hipcub18BlockScanAlgorithmE1EmEvPT1_: ; @_Z21inclusive_scan_kernelILj65ELN6hipcub18BlockScanAlgorithmE1EmEvPT1_
; %bb.0:
	s_load_b64 s[0:1], s[0:1], 0x0
	v_mad_u64_u32 v[1:2], null, 0x41, s15, v[0:1]
	v_dual_mov_b32 v2, 0 :: v_dual_lshlrev_b32 v15, 3, v0
	s_delay_alu instid0(VALU_DEP_1) | instskip(SKIP_1) | instid1(VALU_DEP_1)
	v_lshlrev_b64 v[1:2], 3, v[1:2]
	s_waitcnt lgkmcnt(0)
	v_add_co_u32 v5, vcc_lo, s0, v1
	s_delay_alu instid0(VALU_DEP_2)
	v_add_co_ci_u32_e32 v6, vcc_lo, s1, v2, vcc_lo
	s_mov_b32 s0, exec_lo
	global_load_b64 v[7:8], v[5:6], off
	s_waitcnt vmcnt(0)
	ds_store_b64 v15, v[7:8]
	s_waitcnt lgkmcnt(0)
	s_barrier
	buffer_gl0_inv
	v_cmpx_gt_u32_e32 32, v0
	s_cbranch_execz .LBB5_10
; %bb.1:
	v_mul_u32_u24_e32 v1, 3, v0
	v_mbcnt_lo_u32_b32 v17, -1, 0
	s_mov_b32 s1, exec_lo
	s_delay_alu instid0(VALU_DEP_2) | instskip(NEXT) | instid1(VALU_DEP_2)
	v_lshlrev_b32_e32 v16, 3, v1
	v_and_b32_e32 v18, 15, v17
	ds_load_2addr_b64 v[1:4], v16 offset1:1
	ds_load_b64 v[9:10], v16 offset:16
	s_waitcnt lgkmcnt(1)
	v_add_co_u32 v11, vcc_lo, v3, v1
	v_add_co_ci_u32_e32 v12, vcc_lo, v4, v2, vcc_lo
	s_waitcnt lgkmcnt(0)
	s_delay_alu instid0(VALU_DEP_2) | instskip(NEXT) | instid1(VALU_DEP_2)
	v_add_co_u32 v11, vcc_lo, v11, v9
	v_add_co_ci_u32_e32 v12, vcc_lo, v12, v10, vcc_lo
	s_delay_alu instid0(VALU_DEP_2) | instskip(NEXT) | instid1(VALU_DEP_2)
	v_mov_b32_dpp v20, v11 row_shr:1 row_mask:0xf bank_mask:0xf
	v_dual_mov_b32 v14, v12 :: v_dual_mov_b32 v13, v11
	v_mov_b32_dpp v19, v12 row_shr:1 row_mask:0xf bank_mask:0xf
	v_cmpx_ne_u32_e32 0, v18
; %bb.2:
	s_delay_alu instid0(VALU_DEP_4) | instskip(SKIP_1) | instid1(VALU_DEP_2)
	v_add_co_u32 v11, vcc_lo, v11, v20
	v_add_co_ci_u32_e32 v12, vcc_lo, 0, v12, vcc_lo
	v_add_co_u32 v13, vcc_lo, 0, v11
	s_delay_alu instid0(VALU_DEP_2) | instskip(NEXT) | instid1(VALU_DEP_1)
	v_add_co_ci_u32_e32 v14, vcc_lo, v19, v12, vcc_lo
	v_mov_b32_e32 v12, v14
; %bb.3:
	s_or_b32 exec_lo, exec_lo, s1
	v_mov_b32_dpp v20, v11 row_shr:2 row_mask:0xf bank_mask:0xf
	s_delay_alu instid0(VALU_DEP_2)
	v_mov_b32_dpp v19, v12 row_shr:2 row_mask:0xf bank_mask:0xf
	s_mov_b32 s1, exec_lo
	v_cmpx_lt_u32_e32 1, v18
; %bb.4:
	s_delay_alu instid0(VALU_DEP_3) | instskip(SKIP_1) | instid1(VALU_DEP_2)
	v_add_co_u32 v11, vcc_lo, v13, v20
	v_add_co_ci_u32_e32 v12, vcc_lo, 0, v14, vcc_lo
	v_add_co_u32 v13, vcc_lo, 0, v11
	s_delay_alu instid0(VALU_DEP_2) | instskip(NEXT) | instid1(VALU_DEP_1)
	v_add_co_ci_u32_e32 v14, vcc_lo, v19, v12, vcc_lo
	v_mov_b32_e32 v12, v14
; %bb.5:
	s_or_b32 exec_lo, exec_lo, s1
	v_mov_b32_dpp v20, v11 row_shr:4 row_mask:0xf bank_mask:0xf
	s_delay_alu instid0(VALU_DEP_2)
	v_mov_b32_dpp v19, v12 row_shr:4 row_mask:0xf bank_mask:0xf
	s_mov_b32 s1, exec_lo
	v_cmpx_lt_u32_e32 3, v18
; %bb.6:
	s_delay_alu instid0(VALU_DEP_3) | instskip(SKIP_1) | instid1(VALU_DEP_2)
	;; [unrolled: 15-line block ×3, first 2 shown]
	v_add_co_u32 v11, vcc_lo, v13, v20
	v_add_co_ci_u32_e32 v12, vcc_lo, 0, v14, vcc_lo
	v_add_co_u32 v13, vcc_lo, 0, v11
	s_delay_alu instid0(VALU_DEP_2) | instskip(NEXT) | instid1(VALU_DEP_1)
	v_add_co_ci_u32_e32 v14, vcc_lo, v19, v12, vcc_lo
	v_mov_b32_e32 v12, v14
; %bb.9:
	s_or_b32 exec_lo, exec_lo, s1
	ds_swizzle_b32 v18, v11 offset:swizzle(BROADCAST,32,15)
	ds_swizzle_b32 v19, v12 offset:swizzle(BROADCAST,32,15)
	v_add_nc_u32_e32 v20, -1, v17
	v_and_b32_e32 v21, 16, v17
	s_delay_alu instid0(VALU_DEP_2) | instskip(SKIP_1) | instid1(VALU_DEP_1)
	v_cmp_gt_i32_e32 vcc_lo, 0, v20
	v_cndmask_b32_e32 v17, v20, v17, vcc_lo
	v_lshlrev_b32_e32 v17, 2, v17
	s_waitcnt lgkmcnt(1)
	v_add_co_u32 v13, vcc_lo, v13, v18
	v_add_co_ci_u32_e32 v14, vcc_lo, 0, v14, vcc_lo
	v_cmp_eq_u32_e32 vcc_lo, 0, v21
	s_delay_alu instid0(VALU_DEP_3) | instskip(SKIP_1) | instid1(VALU_DEP_3)
	v_cndmask_b32_e32 v11, v13, v11, vcc_lo
	s_waitcnt lgkmcnt(0)
	v_add_nc_u32_e32 v13, v19, v14
	ds_bpermute_b32 v11, v17, v11
	v_cndmask_b32_e32 v12, v13, v12, vcc_lo
	ds_bpermute_b32 v12, v17, v12
	s_waitcnt lgkmcnt(1)
	v_add_co_u32 v1, vcc_lo, v1, v11
	v_add_co_ci_u32_e32 v2, vcc_lo, 0, v2, vcc_lo
	s_delay_alu instid0(VALU_DEP_2) | instskip(SKIP_1) | instid1(VALU_DEP_2)
	v_add_co_u32 v11, vcc_lo, v1, 0
	s_waitcnt lgkmcnt(0)
	v_add_co_ci_u32_e32 v1, vcc_lo, v2, v12, vcc_lo
	v_cmp_eq_u32_e32 vcc_lo, 0, v0
	s_delay_alu instid0(VALU_DEP_2) | instskip(NEXT) | instid1(VALU_DEP_1)
	v_dual_cndmask_b32 v0, v11, v7 :: v_dual_cndmask_b32 v1, v1, v8
	v_add_co_u32 v2, vcc_lo, v0, v3
	s_delay_alu instid0(VALU_DEP_2) | instskip(NEXT) | instid1(VALU_DEP_2)
	v_add_co_ci_u32_e32 v3, vcc_lo, v1, v4, vcc_lo
	v_add_co_u32 v7, vcc_lo, v2, v9
	s_delay_alu instid0(VALU_DEP_2)
	v_add_co_ci_u32_e32 v8, vcc_lo, v3, v10, vcc_lo
	ds_store_2addr_b64 v16, v[0:1], v[2:3] offset1:1
	ds_store_b64 v16, v[7:8] offset:16
.LBB5_10:
	s_or_b32 exec_lo, exec_lo, s0
	s_waitcnt lgkmcnt(0)
	s_barrier
	buffer_gl0_inv
	ds_load_b64 v[0:1], v15
	s_waitcnt lgkmcnt(0)
	global_store_b64 v[5:6], v[0:1], off
	s_nop 0
	s_sendmsg sendmsg(MSG_DEALLOC_VGPRS)
	s_endpgm
	.section	.rodata,"a",@progbits
	.p2align	6, 0x0
	.amdhsa_kernel _Z21inclusive_scan_kernelILj65ELN6hipcub18BlockScanAlgorithmE1EmEvPT1_
		.amdhsa_group_segment_fixed_size 768
		.amdhsa_private_segment_fixed_size 0
		.amdhsa_kernarg_size 8
		.amdhsa_user_sgpr_count 15
		.amdhsa_user_sgpr_dispatch_ptr 0
		.amdhsa_user_sgpr_queue_ptr 0
		.amdhsa_user_sgpr_kernarg_segment_ptr 1
		.amdhsa_user_sgpr_dispatch_id 0
		.amdhsa_user_sgpr_private_segment_size 0
		.amdhsa_wavefront_size32 1
		.amdhsa_uses_dynamic_stack 0
		.amdhsa_enable_private_segment 0
		.amdhsa_system_sgpr_workgroup_id_x 1
		.amdhsa_system_sgpr_workgroup_id_y 0
		.amdhsa_system_sgpr_workgroup_id_z 0
		.amdhsa_system_sgpr_workgroup_info 0
		.amdhsa_system_vgpr_workitem_id 0
		.amdhsa_next_free_vgpr 22
		.amdhsa_next_free_sgpr 16
		.amdhsa_reserve_vcc 1
		.amdhsa_float_round_mode_32 0
		.amdhsa_float_round_mode_16_64 0
		.amdhsa_float_denorm_mode_32 3
		.amdhsa_float_denorm_mode_16_64 3
		.amdhsa_dx10_clamp 1
		.amdhsa_ieee_mode 1
		.amdhsa_fp16_overflow 0
		.amdhsa_workgroup_processor_mode 1
		.amdhsa_memory_ordered 1
		.amdhsa_forward_progress 0
		.amdhsa_shared_vgpr_count 0
		.amdhsa_exception_fp_ieee_invalid_op 0
		.amdhsa_exception_fp_denorm_src 0
		.amdhsa_exception_fp_ieee_div_zero 0
		.amdhsa_exception_fp_ieee_overflow 0
		.amdhsa_exception_fp_ieee_underflow 0
		.amdhsa_exception_fp_ieee_inexact 0
		.amdhsa_exception_int_div_zero 0
	.end_amdhsa_kernel
	.section	.text._Z21inclusive_scan_kernelILj65ELN6hipcub18BlockScanAlgorithmE1EmEvPT1_,"axG",@progbits,_Z21inclusive_scan_kernelILj65ELN6hipcub18BlockScanAlgorithmE1EmEvPT1_,comdat
.Lfunc_end5:
	.size	_Z21inclusive_scan_kernelILj65ELN6hipcub18BlockScanAlgorithmE1EmEvPT1_, .Lfunc_end5-_Z21inclusive_scan_kernelILj65ELN6hipcub18BlockScanAlgorithmE1EmEvPT1_
                                        ; -- End function
	.section	.AMDGPU.csdata,"",@progbits
; Kernel info:
; codeLenInByte = 712
; NumSgprs: 18
; NumVgprs: 22
; ScratchSize: 0
; MemoryBound: 0
; FloatMode: 240
; IeeeMode: 1
; LDSByteSize: 768 bytes/workgroup (compile time only)
; SGPRBlocks: 2
; VGPRBlocks: 2
; NumSGPRsForWavesPerEU: 18
; NumVGPRsForWavesPerEU: 22
; Occupancy: 16
; WaveLimiterHint : 0
; COMPUTE_PGM_RSRC2:SCRATCH_EN: 0
; COMPUTE_PGM_RSRC2:USER_SGPR: 15
; COMPUTE_PGM_RSRC2:TRAP_HANDLER: 0
; COMPUTE_PGM_RSRC2:TGID_X_EN: 1
; COMPUTE_PGM_RSRC2:TGID_Y_EN: 0
; COMPUTE_PGM_RSRC2:TGID_Z_EN: 0
; COMPUTE_PGM_RSRC2:TIDIG_COMP_CNT: 0
	.section	.text._Z21inclusive_scan_kernelILj512ELN6hipcub18BlockScanAlgorithmE1EiEvPT1_,"axG",@progbits,_Z21inclusive_scan_kernelILj512ELN6hipcub18BlockScanAlgorithmE1EiEvPT1_,comdat
	.protected	_Z21inclusive_scan_kernelILj512ELN6hipcub18BlockScanAlgorithmE1EiEvPT1_ ; -- Begin function _Z21inclusive_scan_kernelILj512ELN6hipcub18BlockScanAlgorithmE1EiEvPT1_
	.globl	_Z21inclusive_scan_kernelILj512ELN6hipcub18BlockScanAlgorithmE1EiEvPT1_
	.p2align	8
	.type	_Z21inclusive_scan_kernelILj512ELN6hipcub18BlockScanAlgorithmE1EiEvPT1_,@function
_Z21inclusive_scan_kernelILj512ELN6hipcub18BlockScanAlgorithmE1EiEvPT1_: ; @_Z21inclusive_scan_kernelILj512ELN6hipcub18BlockScanAlgorithmE1EiEvPT1_
; %bb.0:
	s_load_b64 s[0:1], s[0:1], 0x0
	v_mov_b32_e32 v2, 0
	v_lshl_or_b32 v1, s15, 9, v0
	v_lshrrev_b32_e32 v3, 5, v0
	s_delay_alu instid0(VALU_DEP_2) | instskip(NEXT) | instid1(VALU_DEP_2)
	v_lshlrev_b64 v[1:2], 2, v[1:2]
	v_add_lshl_u32 v3, v3, v0, 2
	s_waitcnt lgkmcnt(0)
	s_delay_alu instid0(VALU_DEP_2) | instskip(NEXT) | instid1(VALU_DEP_3)
	v_add_co_u32 v1, vcc_lo, s0, v1
	v_add_co_ci_u32_e32 v2, vcc_lo, s1, v2, vcc_lo
	s_mov_b32 s0, exec_lo
	global_load_b32 v4, v[1:2], off
	s_waitcnt vmcnt(0)
	ds_store_b32 v3, v4
	s_waitcnt lgkmcnt(0)
	s_barrier
	buffer_gl0_inv
	v_cmpx_gt_u32_e32 32, v0
	s_cbranch_execz .LBB6_2
; %bb.1:
	v_lshlrev_b32_e32 v5, 1, v0
	v_mbcnt_lo_u32_b32 v23, -1, 0
	s_delay_alu instid0(VALU_DEP_2) | instskip(NEXT) | instid1(VALU_DEP_2)
	v_and_b32_e32 v5, 0x3fc, v5
	v_bfe_i32 v26, v23, 4, 1
	s_delay_alu instid0(VALU_DEP_2)
	v_lshl_or_b32 v21, v0, 6, v5
	ds_load_2addr_b32 v[5:6], v21 offset1:1
	ds_load_2addr_b32 v[7:8], v21 offset0:2 offset1:3
	ds_load_2addr_b32 v[9:10], v21 offset0:4 offset1:5
	;; [unrolled: 1-line block ×4, first 2 shown]
	s_waitcnt lgkmcnt(4)
	v_add_nc_u32_e32 v15, v6, v5
	s_waitcnt lgkmcnt(3)
	s_delay_alu instid0(VALU_DEP_1)
	v_add3_u32 v17, v15, v7, v8
	ds_load_2addr_b32 v[15:16], v21 offset0:10 offset1:11
	s_waitcnt lgkmcnt(3)
	v_add3_u32 v22, v17, v9, v10
	ds_load_2addr_b32 v[17:18], v21 offset0:12 offset1:13
	ds_load_2addr_b32 v[19:20], v21 offset0:14 offset1:15
	s_waitcnt lgkmcnt(4)
	v_add3_u32 v22, v22, v11, v12
	s_waitcnt lgkmcnt(3)
	s_delay_alu instid0(VALU_DEP_1) | instskip(SKIP_1) | instid1(VALU_DEP_1)
	v_add3_u32 v22, v22, v13, v14
	s_waitcnt lgkmcnt(2)
	v_add3_u32 v22, v22, v15, v16
	s_waitcnt lgkmcnt(1)
	s_delay_alu instid0(VALU_DEP_1) | instskip(SKIP_1) | instid1(VALU_DEP_1)
	v_add3_u32 v22, v22, v17, v18
	s_waitcnt lgkmcnt(0)
	v_add3_u32 v22, v22, v19, v20
	s_delay_alu instid0(VALU_DEP_1) | instskip(SKIP_1) | instid1(VALU_DEP_1)
	v_mov_b32_dpp v25, v22 row_shr:1 row_mask:0xf bank_mask:0xf
	v_and_b32_e32 v24, 15, v23
	v_cmp_ne_u32_e32 vcc_lo, 0, v24
	s_delay_alu instid0(VALU_DEP_3) | instskip(SKIP_1) | instid1(VALU_DEP_2)
	v_cndmask_b32_e32 v25, 0, v25, vcc_lo
	v_cmp_lt_u32_e32 vcc_lo, 1, v24
	v_add_nc_u32_e32 v22, v25, v22
	s_delay_alu instid0(VALU_DEP_1) | instskip(NEXT) | instid1(VALU_DEP_1)
	v_mov_b32_dpp v25, v22 row_shr:2 row_mask:0xf bank_mask:0xf
	v_cndmask_b32_e32 v25, 0, v25, vcc_lo
	v_cmp_lt_u32_e32 vcc_lo, 3, v24
	s_delay_alu instid0(VALU_DEP_2) | instskip(NEXT) | instid1(VALU_DEP_1)
	v_add_nc_u32_e32 v22, v22, v25
	v_mov_b32_dpp v25, v22 row_shr:4 row_mask:0xf bank_mask:0xf
	s_delay_alu instid0(VALU_DEP_1) | instskip(SKIP_1) | instid1(VALU_DEP_2)
	v_cndmask_b32_e32 v25, 0, v25, vcc_lo
	v_cmp_lt_u32_e32 vcc_lo, 7, v24
	v_add_nc_u32_e32 v22, v22, v25
	s_delay_alu instid0(VALU_DEP_1) | instskip(NEXT) | instid1(VALU_DEP_1)
	v_mov_b32_dpp v25, v22 row_shr:8 row_mask:0xf bank_mask:0xf
	v_dual_cndmask_b32 v24, 0, v25 :: v_dual_add_nc_u32 v25, -1, v23
	s_delay_alu instid0(VALU_DEP_1) | instskip(NEXT) | instid1(VALU_DEP_2)
	v_add_nc_u32_e32 v22, v22, v24
	v_cmp_gt_i32_e32 vcc_lo, 0, v25
	ds_swizzle_b32 v24, v22 offset:swizzle(BROADCAST,32,15)
	v_cndmask_b32_e32 v23, v25, v23, vcc_lo
	v_cmp_eq_u32_e32 vcc_lo, 0, v0
	s_delay_alu instid0(VALU_DEP_2) | instskip(SKIP_2) | instid1(VALU_DEP_1)
	v_lshlrev_b32_e32 v23, 2, v23
	s_waitcnt lgkmcnt(0)
	v_and_b32_e32 v24, v26, v24
	v_add_nc_u32_e32 v22, v22, v24
	ds_bpermute_b32 v22, v23, v22
	s_waitcnt lgkmcnt(0)
	v_add_nc_u32_e32 v5, v22, v5
	s_delay_alu instid0(VALU_DEP_1) | instskip(NEXT) | instid1(VALU_DEP_1)
	v_cndmask_b32_e32 v0, v5, v4, vcc_lo
	v_add_nc_u32_e32 v4, v0, v6
	s_delay_alu instid0(VALU_DEP_1) | instskip(NEXT) | instid1(VALU_DEP_1)
	v_add_nc_u32_e32 v5, v4, v7
	v_add_nc_u32_e32 v6, v5, v8
	s_delay_alu instid0(VALU_DEP_1) | instskip(NEXT) | instid1(VALU_DEP_1)
	v_add_nc_u32_e32 v7, v6, v9
	;; [unrolled: 3-line block ×7, first 2 shown]
	v_add_nc_u32_e32 v18, v17, v20
	ds_store_2addr_b32 v21, v0, v4 offset1:1
	ds_store_2addr_b32 v21, v5, v6 offset0:2 offset1:3
	ds_store_2addr_b32 v21, v7, v8 offset0:4 offset1:5
	;; [unrolled: 1-line block ×7, first 2 shown]
.LBB6_2:
	s_or_b32 exec_lo, exec_lo, s0
	s_waitcnt lgkmcnt(0)
	s_barrier
	buffer_gl0_inv
	ds_load_b32 v0, v3
	s_waitcnt lgkmcnt(0)
	global_store_b32 v[1:2], v0, off
	s_nop 0
	s_sendmsg sendmsg(MSG_DEALLOC_VGPRS)
	s_endpgm
	.section	.rodata,"a",@progbits
	.p2align	6, 0x0
	.amdhsa_kernel _Z21inclusive_scan_kernelILj512ELN6hipcub18BlockScanAlgorithmE1EiEvPT1_
		.amdhsa_group_segment_fixed_size 2112
		.amdhsa_private_segment_fixed_size 0
		.amdhsa_kernarg_size 8
		.amdhsa_user_sgpr_count 15
		.amdhsa_user_sgpr_dispatch_ptr 0
		.amdhsa_user_sgpr_queue_ptr 0
		.amdhsa_user_sgpr_kernarg_segment_ptr 1
		.amdhsa_user_sgpr_dispatch_id 0
		.amdhsa_user_sgpr_private_segment_size 0
		.amdhsa_wavefront_size32 1
		.amdhsa_uses_dynamic_stack 0
		.amdhsa_enable_private_segment 0
		.amdhsa_system_sgpr_workgroup_id_x 1
		.amdhsa_system_sgpr_workgroup_id_y 0
		.amdhsa_system_sgpr_workgroup_id_z 0
		.amdhsa_system_sgpr_workgroup_info 0
		.amdhsa_system_vgpr_workitem_id 0
		.amdhsa_next_free_vgpr 27
		.amdhsa_next_free_sgpr 16
		.amdhsa_reserve_vcc 1
		.amdhsa_float_round_mode_32 0
		.amdhsa_float_round_mode_16_64 0
		.amdhsa_float_denorm_mode_32 3
		.amdhsa_float_denorm_mode_16_64 3
		.amdhsa_dx10_clamp 1
		.amdhsa_ieee_mode 1
		.amdhsa_fp16_overflow 0
		.amdhsa_workgroup_processor_mode 1
		.amdhsa_memory_ordered 1
		.amdhsa_forward_progress 0
		.amdhsa_shared_vgpr_count 0
		.amdhsa_exception_fp_ieee_invalid_op 0
		.amdhsa_exception_fp_denorm_src 0
		.amdhsa_exception_fp_ieee_div_zero 0
		.amdhsa_exception_fp_ieee_overflow 0
		.amdhsa_exception_fp_ieee_underflow 0
		.amdhsa_exception_fp_ieee_inexact 0
		.amdhsa_exception_int_div_zero 0
	.end_amdhsa_kernel
	.section	.text._Z21inclusive_scan_kernelILj512ELN6hipcub18BlockScanAlgorithmE1EiEvPT1_,"axG",@progbits,_Z21inclusive_scan_kernelILj512ELN6hipcub18BlockScanAlgorithmE1EiEvPT1_,comdat
.Lfunc_end6:
	.size	_Z21inclusive_scan_kernelILj512ELN6hipcub18BlockScanAlgorithmE1EiEvPT1_, .Lfunc_end6-_Z21inclusive_scan_kernelILj512ELN6hipcub18BlockScanAlgorithmE1EiEvPT1_
                                        ; -- End function
	.section	.AMDGPU.csdata,"",@progbits
; Kernel info:
; codeLenInByte = 708
; NumSgprs: 18
; NumVgprs: 27
; ScratchSize: 0
; MemoryBound: 0
; FloatMode: 240
; IeeeMode: 1
; LDSByteSize: 2112 bytes/workgroup (compile time only)
; SGPRBlocks: 2
; VGPRBlocks: 3
; NumSGPRsForWavesPerEU: 18
; NumVGPRsForWavesPerEU: 27
; Occupancy: 16
; WaveLimiterHint : 0
; COMPUTE_PGM_RSRC2:SCRATCH_EN: 0
; COMPUTE_PGM_RSRC2:USER_SGPR: 15
; COMPUTE_PGM_RSRC2:TRAP_HANDLER: 0
; COMPUTE_PGM_RSRC2:TGID_X_EN: 1
; COMPUTE_PGM_RSRC2:TGID_Y_EN: 0
; COMPUTE_PGM_RSRC2:TGID_Z_EN: 0
; COMPUTE_PGM_RSRC2:TIDIG_COMP_CNT: 0
	.section	.text._Z21inclusive_scan_kernelILj256ELN6hipcub18BlockScanAlgorithmE1EiEvPT1_,"axG",@progbits,_Z21inclusive_scan_kernelILj256ELN6hipcub18BlockScanAlgorithmE1EiEvPT1_,comdat
	.protected	_Z21inclusive_scan_kernelILj256ELN6hipcub18BlockScanAlgorithmE1EiEvPT1_ ; -- Begin function _Z21inclusive_scan_kernelILj256ELN6hipcub18BlockScanAlgorithmE1EiEvPT1_
	.globl	_Z21inclusive_scan_kernelILj256ELN6hipcub18BlockScanAlgorithmE1EiEvPT1_
	.p2align	8
	.type	_Z21inclusive_scan_kernelILj256ELN6hipcub18BlockScanAlgorithmE1EiEvPT1_,@function
_Z21inclusive_scan_kernelILj256ELN6hipcub18BlockScanAlgorithmE1EiEvPT1_: ; @_Z21inclusive_scan_kernelILj256ELN6hipcub18BlockScanAlgorithmE1EiEvPT1_
; %bb.0:
	s_load_b64 s[0:1], s[0:1], 0x0
	v_mov_b32_e32 v2, 0
	v_lshl_or_b32 v1, s15, 8, v0
	v_lshrrev_b32_e32 v3, 5, v0
	s_delay_alu instid0(VALU_DEP_2) | instskip(NEXT) | instid1(VALU_DEP_2)
	v_lshlrev_b64 v[1:2], 2, v[1:2]
	v_add_lshl_u32 v3, v3, v0, 2
	s_waitcnt lgkmcnt(0)
	s_delay_alu instid0(VALU_DEP_2) | instskip(NEXT) | instid1(VALU_DEP_3)
	v_add_co_u32 v1, vcc_lo, s0, v1
	v_add_co_ci_u32_e32 v2, vcc_lo, s1, v2, vcc_lo
	s_mov_b32 s0, exec_lo
	global_load_b32 v4, v[1:2], off
	s_waitcnt vmcnt(0)
	ds_store_b32 v3, v4
	s_waitcnt lgkmcnt(0)
	s_barrier
	buffer_gl0_inv
	v_cmpx_gt_u32_e32 32, v0
	s_cbranch_execz .LBB7_2
; %bb.1:
	v_and_b32_e32 v5, 0xfc, v0
	v_mbcnt_lo_u32_b32 v15, -1, 0
	s_delay_alu instid0(VALU_DEP_2) | instskip(NEXT) | instid1(VALU_DEP_2)
	v_lshl_or_b32 v13, v0, 5, v5
	v_add_nc_u32_e32 v18, -1, v15
	ds_load_2addr_b32 v[5:6], v13 offset1:1
	ds_load_2addr_b32 v[7:8], v13 offset0:2 offset1:3
	ds_load_2addr_b32 v[9:10], v13 offset0:4 offset1:5
	;; [unrolled: 1-line block ×3, first 2 shown]
	s_waitcnt lgkmcnt(3)
	v_add_nc_u32_e32 v14, v6, v5
	s_waitcnt lgkmcnt(2)
	s_delay_alu instid0(VALU_DEP_1) | instskip(SKIP_1) | instid1(VALU_DEP_1)
	v_add3_u32 v14, v14, v7, v8
	s_waitcnt lgkmcnt(1)
	v_add3_u32 v14, v14, v9, v10
	s_waitcnt lgkmcnt(0)
	s_delay_alu instid0(VALU_DEP_1) | instskip(NEXT) | instid1(VALU_DEP_1)
	v_add3_u32 v14, v14, v11, v12
	v_mov_b32_dpp v17, v14 row_shr:1 row_mask:0xf bank_mask:0xf
	v_and_b32_e32 v16, 15, v15
	s_delay_alu instid0(VALU_DEP_1) | instskip(NEXT) | instid1(VALU_DEP_3)
	v_cmp_ne_u32_e32 vcc_lo, 0, v16
	v_cndmask_b32_e32 v17, 0, v17, vcc_lo
	v_cmp_lt_u32_e32 vcc_lo, 1, v16
	s_delay_alu instid0(VALU_DEP_2) | instskip(NEXT) | instid1(VALU_DEP_1)
	v_add_nc_u32_e32 v14, v17, v14
	v_mov_b32_dpp v17, v14 row_shr:2 row_mask:0xf bank_mask:0xf
	s_delay_alu instid0(VALU_DEP_1) | instskip(SKIP_1) | instid1(VALU_DEP_2)
	v_cndmask_b32_e32 v17, 0, v17, vcc_lo
	v_cmp_lt_u32_e32 vcc_lo, 3, v16
	v_add_nc_u32_e32 v14, v14, v17
	s_delay_alu instid0(VALU_DEP_1) | instskip(NEXT) | instid1(VALU_DEP_1)
	v_mov_b32_dpp v17, v14 row_shr:4 row_mask:0xf bank_mask:0xf
	v_cndmask_b32_e32 v17, 0, v17, vcc_lo
	v_cmp_lt_u32_e32 vcc_lo, 7, v16
	s_delay_alu instid0(VALU_DEP_2) | instskip(NEXT) | instid1(VALU_DEP_1)
	v_add_nc_u32_e32 v14, v14, v17
	v_mov_b32_dpp v17, v14 row_shr:8 row_mask:0xf bank_mask:0xf
	s_delay_alu instid0(VALU_DEP_1) | instskip(SKIP_2) | instid1(VALU_DEP_3)
	v_cndmask_b32_e32 v16, 0, v17, vcc_lo
	v_bfe_i32 v17, v15, 4, 1
	v_cmp_gt_i32_e32 vcc_lo, 0, v18
	v_add_nc_u32_e32 v14, v14, v16
	v_cndmask_b32_e32 v15, v18, v15, vcc_lo
	v_cmp_eq_u32_e32 vcc_lo, 0, v0
	ds_swizzle_b32 v16, v14 offset:swizzle(BROADCAST,32,15)
	v_lshlrev_b32_e32 v15, 2, v15
	s_waitcnt lgkmcnt(0)
	v_and_b32_e32 v16, v17, v16
	s_delay_alu instid0(VALU_DEP_1) | instskip(SKIP_3) | instid1(VALU_DEP_1)
	v_add_nc_u32_e32 v14, v14, v16
	ds_bpermute_b32 v14, v15, v14
	s_waitcnt lgkmcnt(0)
	v_add_nc_u32_e32 v5, v14, v5
	v_cndmask_b32_e32 v0, v5, v4, vcc_lo
	s_delay_alu instid0(VALU_DEP_1) | instskip(NEXT) | instid1(VALU_DEP_1)
	v_add_nc_u32_e32 v4, v0, v6
	v_add_nc_u32_e32 v5, v4, v7
	s_delay_alu instid0(VALU_DEP_1) | instskip(NEXT) | instid1(VALU_DEP_1)
	v_add_nc_u32_e32 v6, v5, v8
	v_add_nc_u32_e32 v7, v6, v9
	;; [unrolled: 3-line block ×3, first 2 shown]
	s_delay_alu instid0(VALU_DEP_1)
	v_add_nc_u32_e32 v10, v9, v12
	ds_store_2addr_b32 v13, v0, v4 offset1:1
	ds_store_2addr_b32 v13, v5, v6 offset0:2 offset1:3
	ds_store_2addr_b32 v13, v7, v8 offset0:4 offset1:5
	;; [unrolled: 1-line block ×3, first 2 shown]
.LBB7_2:
	s_or_b32 exec_lo, exec_lo, s0
	s_waitcnt lgkmcnt(0)
	s_barrier
	buffer_gl0_inv
	ds_load_b32 v0, v3
	s_waitcnt lgkmcnt(0)
	global_store_b32 v[1:2], v0, off
	s_nop 0
	s_sendmsg sendmsg(MSG_DEALLOC_VGPRS)
	s_endpgm
	.section	.rodata,"a",@progbits
	.p2align	6, 0x0
	.amdhsa_kernel _Z21inclusive_scan_kernelILj256ELN6hipcub18BlockScanAlgorithmE1EiEvPT1_
		.amdhsa_group_segment_fixed_size 1056
		.amdhsa_private_segment_fixed_size 0
		.amdhsa_kernarg_size 8
		.amdhsa_user_sgpr_count 15
		.amdhsa_user_sgpr_dispatch_ptr 0
		.amdhsa_user_sgpr_queue_ptr 0
		.amdhsa_user_sgpr_kernarg_segment_ptr 1
		.amdhsa_user_sgpr_dispatch_id 0
		.amdhsa_user_sgpr_private_segment_size 0
		.amdhsa_wavefront_size32 1
		.amdhsa_uses_dynamic_stack 0
		.amdhsa_enable_private_segment 0
		.amdhsa_system_sgpr_workgroup_id_x 1
		.amdhsa_system_sgpr_workgroup_id_y 0
		.amdhsa_system_sgpr_workgroup_id_z 0
		.amdhsa_system_sgpr_workgroup_info 0
		.amdhsa_system_vgpr_workitem_id 0
		.amdhsa_next_free_vgpr 19
		.amdhsa_next_free_sgpr 16
		.amdhsa_reserve_vcc 1
		.amdhsa_float_round_mode_32 0
		.amdhsa_float_round_mode_16_64 0
		.amdhsa_float_denorm_mode_32 3
		.amdhsa_float_denorm_mode_16_64 3
		.amdhsa_dx10_clamp 1
		.amdhsa_ieee_mode 1
		.amdhsa_fp16_overflow 0
		.amdhsa_workgroup_processor_mode 1
		.amdhsa_memory_ordered 1
		.amdhsa_forward_progress 0
		.amdhsa_shared_vgpr_count 0
		.amdhsa_exception_fp_ieee_invalid_op 0
		.amdhsa_exception_fp_denorm_src 0
		.amdhsa_exception_fp_ieee_div_zero 0
		.amdhsa_exception_fp_ieee_overflow 0
		.amdhsa_exception_fp_ieee_underflow 0
		.amdhsa_exception_fp_ieee_inexact 0
		.amdhsa_exception_int_div_zero 0
	.end_amdhsa_kernel
	.section	.text._Z21inclusive_scan_kernelILj256ELN6hipcub18BlockScanAlgorithmE1EiEvPT1_,"axG",@progbits,_Z21inclusive_scan_kernelILj256ELN6hipcub18BlockScanAlgorithmE1EiEvPT1_,comdat
.Lfunc_end7:
	.size	_Z21inclusive_scan_kernelILj256ELN6hipcub18BlockScanAlgorithmE1EiEvPT1_, .Lfunc_end7-_Z21inclusive_scan_kernelILj256ELN6hipcub18BlockScanAlgorithmE1EiEvPT1_
                                        ; -- End function
	.section	.AMDGPU.csdata,"",@progbits
; Kernel info:
; codeLenInByte = 532
; NumSgprs: 18
; NumVgprs: 19
; ScratchSize: 0
; MemoryBound: 0
; FloatMode: 240
; IeeeMode: 1
; LDSByteSize: 1056 bytes/workgroup (compile time only)
; SGPRBlocks: 2
; VGPRBlocks: 2
; NumSGPRsForWavesPerEU: 18
; NumVGPRsForWavesPerEU: 19
; Occupancy: 16
; WaveLimiterHint : 0
; COMPUTE_PGM_RSRC2:SCRATCH_EN: 0
; COMPUTE_PGM_RSRC2:USER_SGPR: 15
; COMPUTE_PGM_RSRC2:TRAP_HANDLER: 0
; COMPUTE_PGM_RSRC2:TGID_X_EN: 1
; COMPUTE_PGM_RSRC2:TGID_Y_EN: 0
; COMPUTE_PGM_RSRC2:TGID_Z_EN: 0
; COMPUTE_PGM_RSRC2:TIDIG_COMP_CNT: 0
	.section	.text._Z21inclusive_scan_kernelILj128ELN6hipcub18BlockScanAlgorithmE1EiEvPT1_,"axG",@progbits,_Z21inclusive_scan_kernelILj128ELN6hipcub18BlockScanAlgorithmE1EiEvPT1_,comdat
	.protected	_Z21inclusive_scan_kernelILj128ELN6hipcub18BlockScanAlgorithmE1EiEvPT1_ ; -- Begin function _Z21inclusive_scan_kernelILj128ELN6hipcub18BlockScanAlgorithmE1EiEvPT1_
	.globl	_Z21inclusive_scan_kernelILj128ELN6hipcub18BlockScanAlgorithmE1EiEvPT1_
	.p2align	8
	.type	_Z21inclusive_scan_kernelILj128ELN6hipcub18BlockScanAlgorithmE1EiEvPT1_,@function
_Z21inclusive_scan_kernelILj128ELN6hipcub18BlockScanAlgorithmE1EiEvPT1_: ; @_Z21inclusive_scan_kernelILj128ELN6hipcub18BlockScanAlgorithmE1EiEvPT1_
; %bb.0:
	s_load_b64 s[0:1], s[0:1], 0x0
	v_mov_b32_e32 v2, 0
	v_lshl_or_b32 v1, s15, 7, v0
	v_lshrrev_b32_e32 v3, 5, v0
	s_delay_alu instid0(VALU_DEP_2) | instskip(NEXT) | instid1(VALU_DEP_2)
	v_lshlrev_b64 v[1:2], 2, v[1:2]
	v_add_lshl_u32 v3, v3, v0, 2
	s_waitcnt lgkmcnt(0)
	s_delay_alu instid0(VALU_DEP_2) | instskip(NEXT) | instid1(VALU_DEP_3)
	v_add_co_u32 v1, vcc_lo, s0, v1
	v_add_co_ci_u32_e32 v2, vcc_lo, s1, v2, vcc_lo
	s_mov_b32 s0, exec_lo
	global_load_b32 v4, v[1:2], off
	s_waitcnt vmcnt(0)
	ds_store_b32 v3, v4
	s_waitcnt lgkmcnt(0)
	s_barrier
	buffer_gl0_inv
	v_cmpx_gt_u32_e32 32, v0
	s_cbranch_execz .LBB8_2
; %bb.1:
	v_lshrrev_b32_e32 v5, 1, v0
	v_mbcnt_lo_u32_b32 v11, -1, 0
	s_delay_alu instid0(VALU_DEP_2) | instskip(NEXT) | instid1(VALU_DEP_2)
	v_and_b32_e32 v5, 60, v5
	v_add_nc_u32_e32 v14, -1, v11
	s_delay_alu instid0(VALU_DEP_2)
	v_lshl_or_b32 v9, v0, 4, v5
	ds_load_2addr_b32 v[5:6], v9 offset1:1
	ds_load_2addr_b32 v[7:8], v9 offset0:2 offset1:3
	s_waitcnt lgkmcnt(1)
	v_add_nc_u32_e32 v10, v6, v5
	s_waitcnt lgkmcnt(0)
	s_delay_alu instid0(VALU_DEP_1) | instskip(NEXT) | instid1(VALU_DEP_1)
	v_add3_u32 v10, v10, v7, v8
	v_mov_b32_dpp v13, v10 row_shr:1 row_mask:0xf bank_mask:0xf
	v_and_b32_e32 v12, 15, v11
	s_delay_alu instid0(VALU_DEP_1) | instskip(NEXT) | instid1(VALU_DEP_3)
	v_cmp_ne_u32_e32 vcc_lo, 0, v12
	v_cndmask_b32_e32 v13, 0, v13, vcc_lo
	v_cmp_lt_u32_e32 vcc_lo, 1, v12
	s_delay_alu instid0(VALU_DEP_2) | instskip(NEXT) | instid1(VALU_DEP_1)
	v_add_nc_u32_e32 v10, v13, v10
	v_mov_b32_dpp v13, v10 row_shr:2 row_mask:0xf bank_mask:0xf
	s_delay_alu instid0(VALU_DEP_1) | instskip(SKIP_1) | instid1(VALU_DEP_2)
	v_cndmask_b32_e32 v13, 0, v13, vcc_lo
	v_cmp_lt_u32_e32 vcc_lo, 3, v12
	v_add_nc_u32_e32 v10, v10, v13
	s_delay_alu instid0(VALU_DEP_1) | instskip(NEXT) | instid1(VALU_DEP_1)
	v_mov_b32_dpp v13, v10 row_shr:4 row_mask:0xf bank_mask:0xf
	v_cndmask_b32_e32 v13, 0, v13, vcc_lo
	v_cmp_lt_u32_e32 vcc_lo, 7, v12
	s_delay_alu instid0(VALU_DEP_2) | instskip(NEXT) | instid1(VALU_DEP_1)
	v_add_nc_u32_e32 v10, v10, v13
	v_mov_b32_dpp v13, v10 row_shr:8 row_mask:0xf bank_mask:0xf
	s_delay_alu instid0(VALU_DEP_1) | instskip(SKIP_3) | instid1(VALU_DEP_4)
	v_cndmask_b32_e32 v12, 0, v13, vcc_lo
	v_cmp_gt_i32_e32 vcc_lo, 0, v14
	v_bfe_i32 v13, v11, 4, 1
	v_cndmask_b32_e32 v11, v14, v11, vcc_lo
	v_add_nc_u32_e32 v10, v10, v12
	v_cmp_eq_u32_e32 vcc_lo, 0, v0
	s_delay_alu instid0(VALU_DEP_3) | instskip(SKIP_3) | instid1(VALU_DEP_1)
	v_lshlrev_b32_e32 v11, 2, v11
	ds_swizzle_b32 v12, v10 offset:swizzle(BROADCAST,32,15)
	s_waitcnt lgkmcnt(0)
	v_and_b32_e32 v12, v13, v12
	v_add_nc_u32_e32 v10, v10, v12
	ds_bpermute_b32 v10, v11, v10
	s_waitcnt lgkmcnt(0)
	v_add_nc_u32_e32 v5, v10, v5
	s_delay_alu instid0(VALU_DEP_1) | instskip(NEXT) | instid1(VALU_DEP_1)
	v_cndmask_b32_e32 v0, v5, v4, vcc_lo
	v_add_nc_u32_e32 v4, v0, v6
	s_delay_alu instid0(VALU_DEP_1) | instskip(NEXT) | instid1(VALU_DEP_1)
	v_add_nc_u32_e32 v5, v4, v7
	v_add_nc_u32_e32 v6, v5, v8
	ds_store_2addr_b32 v9, v0, v4 offset1:1
	ds_store_2addr_b32 v9, v5, v6 offset0:2 offset1:3
.LBB8_2:
	s_or_b32 exec_lo, exec_lo, s0
	s_waitcnt lgkmcnt(0)
	s_barrier
	buffer_gl0_inv
	ds_load_b32 v0, v3
	s_waitcnt lgkmcnt(0)
	global_store_b32 v[1:2], v0, off
	s_nop 0
	s_sendmsg sendmsg(MSG_DEALLOC_VGPRS)
	s_endpgm
	.section	.rodata,"a",@progbits
	.p2align	6, 0x0
	.amdhsa_kernel _Z21inclusive_scan_kernelILj128ELN6hipcub18BlockScanAlgorithmE1EiEvPT1_
		.amdhsa_group_segment_fixed_size 528
		.amdhsa_private_segment_fixed_size 0
		.amdhsa_kernarg_size 8
		.amdhsa_user_sgpr_count 15
		.amdhsa_user_sgpr_dispatch_ptr 0
		.amdhsa_user_sgpr_queue_ptr 0
		.amdhsa_user_sgpr_kernarg_segment_ptr 1
		.amdhsa_user_sgpr_dispatch_id 0
		.amdhsa_user_sgpr_private_segment_size 0
		.amdhsa_wavefront_size32 1
		.amdhsa_uses_dynamic_stack 0
		.amdhsa_enable_private_segment 0
		.amdhsa_system_sgpr_workgroup_id_x 1
		.amdhsa_system_sgpr_workgroup_id_y 0
		.amdhsa_system_sgpr_workgroup_id_z 0
		.amdhsa_system_sgpr_workgroup_info 0
		.amdhsa_system_vgpr_workitem_id 0
		.amdhsa_next_free_vgpr 15
		.amdhsa_next_free_sgpr 16
		.amdhsa_reserve_vcc 1
		.amdhsa_float_round_mode_32 0
		.amdhsa_float_round_mode_16_64 0
		.amdhsa_float_denorm_mode_32 3
		.amdhsa_float_denorm_mode_16_64 3
		.amdhsa_dx10_clamp 1
		.amdhsa_ieee_mode 1
		.amdhsa_fp16_overflow 0
		.amdhsa_workgroup_processor_mode 1
		.amdhsa_memory_ordered 1
		.amdhsa_forward_progress 0
		.amdhsa_shared_vgpr_count 0
		.amdhsa_exception_fp_ieee_invalid_op 0
		.amdhsa_exception_fp_denorm_src 0
		.amdhsa_exception_fp_ieee_div_zero 0
		.amdhsa_exception_fp_ieee_overflow 0
		.amdhsa_exception_fp_ieee_underflow 0
		.amdhsa_exception_fp_ieee_inexact 0
		.amdhsa_exception_int_div_zero 0
	.end_amdhsa_kernel
	.section	.text._Z21inclusive_scan_kernelILj128ELN6hipcub18BlockScanAlgorithmE1EiEvPT1_,"axG",@progbits,_Z21inclusive_scan_kernelILj128ELN6hipcub18BlockScanAlgorithmE1EiEvPT1_,comdat
.Lfunc_end8:
	.size	_Z21inclusive_scan_kernelILj128ELN6hipcub18BlockScanAlgorithmE1EiEvPT1_, .Lfunc_end8-_Z21inclusive_scan_kernelILj128ELN6hipcub18BlockScanAlgorithmE1EiEvPT1_
                                        ; -- End function
	.section	.AMDGPU.csdata,"",@progbits
; Kernel info:
; codeLenInByte = 452
; NumSgprs: 18
; NumVgprs: 15
; ScratchSize: 0
; MemoryBound: 0
; FloatMode: 240
; IeeeMode: 1
; LDSByteSize: 528 bytes/workgroup (compile time only)
; SGPRBlocks: 2
; VGPRBlocks: 1
; NumSGPRsForWavesPerEU: 18
; NumVGPRsForWavesPerEU: 15
; Occupancy: 16
; WaveLimiterHint : 0
; COMPUTE_PGM_RSRC2:SCRATCH_EN: 0
; COMPUTE_PGM_RSRC2:USER_SGPR: 15
; COMPUTE_PGM_RSRC2:TRAP_HANDLER: 0
; COMPUTE_PGM_RSRC2:TGID_X_EN: 1
; COMPUTE_PGM_RSRC2:TGID_Y_EN: 0
; COMPUTE_PGM_RSRC2:TGID_Z_EN: 0
; COMPUTE_PGM_RSRC2:TIDIG_COMP_CNT: 0
	.section	.text._Z21inclusive_scan_kernelILj64ELN6hipcub18BlockScanAlgorithmE1EiEvPT1_,"axG",@progbits,_Z21inclusive_scan_kernelILj64ELN6hipcub18BlockScanAlgorithmE1EiEvPT1_,comdat
	.protected	_Z21inclusive_scan_kernelILj64ELN6hipcub18BlockScanAlgorithmE1EiEvPT1_ ; -- Begin function _Z21inclusive_scan_kernelILj64ELN6hipcub18BlockScanAlgorithmE1EiEvPT1_
	.globl	_Z21inclusive_scan_kernelILj64ELN6hipcub18BlockScanAlgorithmE1EiEvPT1_
	.p2align	8
	.type	_Z21inclusive_scan_kernelILj64ELN6hipcub18BlockScanAlgorithmE1EiEvPT1_,@function
_Z21inclusive_scan_kernelILj64ELN6hipcub18BlockScanAlgorithmE1EiEvPT1_: ; @_Z21inclusive_scan_kernelILj64ELN6hipcub18BlockScanAlgorithmE1EiEvPT1_
; %bb.0:
	s_load_b64 s[0:1], s[0:1], 0x0
	v_mov_b32_e32 v2, 0
	v_lshl_or_b32 v1, s15, 6, v0
	v_lshrrev_b32_e32 v3, 5, v0
	s_delay_alu instid0(VALU_DEP_2) | instskip(NEXT) | instid1(VALU_DEP_2)
	v_lshlrev_b64 v[1:2], 2, v[1:2]
	v_add_lshl_u32 v3, v3, v0, 2
	s_waitcnt lgkmcnt(0)
	s_delay_alu instid0(VALU_DEP_2) | instskip(NEXT) | instid1(VALU_DEP_3)
	v_add_co_u32 v1, vcc_lo, s0, v1
	v_add_co_ci_u32_e32 v2, vcc_lo, s1, v2, vcc_lo
	s_mov_b32 s0, exec_lo
	global_load_b32 v4, v[1:2], off
	s_waitcnt vmcnt(0)
	ds_store_b32 v3, v4
	s_waitcnt lgkmcnt(0)
	s_barrier
	buffer_gl0_inv
	v_cmpx_gt_u32_e32 32, v0
	s_cbranch_execz .LBB9_2
; %bb.1:
	v_lshrrev_b32_e32 v5, 2, v0
	v_mbcnt_lo_u32_b32 v8, -1, 0
	s_delay_alu instid0(VALU_DEP_2) | instskip(NEXT) | instid1(VALU_DEP_2)
	v_and_b32_e32 v5, 12, v5
	v_add_nc_u32_e32 v12, -1, v8
	s_delay_alu instid0(VALU_DEP_2) | instskip(SKIP_3) | instid1(VALU_DEP_1)
	v_lshl_or_b32 v7, v0, 3, v5
	ds_load_2addr_b32 v[5:6], v7 offset1:1
	s_waitcnt lgkmcnt(0)
	v_add_nc_u32_e32 v9, v6, v5
	v_mov_b32_dpp v11, v9 row_shr:1 row_mask:0xf bank_mask:0xf
	v_and_b32_e32 v10, 15, v8
	s_delay_alu instid0(VALU_DEP_1) | instskip(NEXT) | instid1(VALU_DEP_3)
	v_cmp_ne_u32_e32 vcc_lo, 0, v10
	v_cndmask_b32_e32 v11, 0, v11, vcc_lo
	v_cmp_lt_u32_e32 vcc_lo, 1, v10
	s_delay_alu instid0(VALU_DEP_2) | instskip(NEXT) | instid1(VALU_DEP_1)
	v_add_nc_u32_e32 v9, v11, v9
	v_mov_b32_dpp v11, v9 row_shr:2 row_mask:0xf bank_mask:0xf
	s_delay_alu instid0(VALU_DEP_1) | instskip(SKIP_1) | instid1(VALU_DEP_2)
	v_cndmask_b32_e32 v11, 0, v11, vcc_lo
	v_cmp_lt_u32_e32 vcc_lo, 3, v10
	v_add_nc_u32_e32 v9, v9, v11
	s_delay_alu instid0(VALU_DEP_1) | instskip(NEXT) | instid1(VALU_DEP_1)
	v_mov_b32_dpp v11, v9 row_shr:4 row_mask:0xf bank_mask:0xf
	v_cndmask_b32_e32 v11, 0, v11, vcc_lo
	v_cmp_lt_u32_e32 vcc_lo, 7, v10
	s_delay_alu instid0(VALU_DEP_2) | instskip(NEXT) | instid1(VALU_DEP_1)
	v_add_nc_u32_e32 v9, v9, v11
	v_mov_b32_dpp v11, v9 row_shr:8 row_mask:0xf bank_mask:0xf
	s_delay_alu instid0(VALU_DEP_1) | instskip(SKIP_2) | instid1(VALU_DEP_3)
	v_cndmask_b32_e32 v10, 0, v11, vcc_lo
	v_bfe_i32 v11, v8, 4, 1
	v_cmp_gt_i32_e32 vcc_lo, 0, v12
	v_dual_cndmask_b32 v8, v12, v8 :: v_dual_add_nc_u32 v9, v9, v10
	v_cmp_eq_u32_e32 vcc_lo, 0, v0
	ds_swizzle_b32 v10, v9 offset:swizzle(BROADCAST,32,15)
	v_lshlrev_b32_e32 v8, 2, v8
	s_waitcnt lgkmcnt(0)
	v_and_b32_e32 v10, v11, v10
	s_delay_alu instid0(VALU_DEP_1) | instskip(SKIP_3) | instid1(VALU_DEP_1)
	v_add_nc_u32_e32 v9, v9, v10
	ds_bpermute_b32 v8, v8, v9
	s_waitcnt lgkmcnt(0)
	v_add_nc_u32_e32 v5, v8, v5
	v_cndmask_b32_e32 v0, v5, v4, vcc_lo
	s_delay_alu instid0(VALU_DEP_1)
	v_add_nc_u32_e32 v4, v0, v6
	ds_store_2addr_b32 v7, v0, v4 offset1:1
.LBB9_2:
	s_or_b32 exec_lo, exec_lo, s0
	s_waitcnt lgkmcnt(0)
	s_barrier
	buffer_gl0_inv
	ds_load_b32 v0, v3
	s_waitcnt lgkmcnt(0)
	global_store_b32 v[1:2], v0, off
	s_nop 0
	s_sendmsg sendmsg(MSG_DEALLOC_VGPRS)
	s_endpgm
	.section	.rodata,"a",@progbits
	.p2align	6, 0x0
	.amdhsa_kernel _Z21inclusive_scan_kernelILj64ELN6hipcub18BlockScanAlgorithmE1EiEvPT1_
		.amdhsa_group_segment_fixed_size 264
		.amdhsa_private_segment_fixed_size 0
		.amdhsa_kernarg_size 8
		.amdhsa_user_sgpr_count 15
		.amdhsa_user_sgpr_dispatch_ptr 0
		.amdhsa_user_sgpr_queue_ptr 0
		.amdhsa_user_sgpr_kernarg_segment_ptr 1
		.amdhsa_user_sgpr_dispatch_id 0
		.amdhsa_user_sgpr_private_segment_size 0
		.amdhsa_wavefront_size32 1
		.amdhsa_uses_dynamic_stack 0
		.amdhsa_enable_private_segment 0
		.amdhsa_system_sgpr_workgroup_id_x 1
		.amdhsa_system_sgpr_workgroup_id_y 0
		.amdhsa_system_sgpr_workgroup_id_z 0
		.amdhsa_system_sgpr_workgroup_info 0
		.amdhsa_system_vgpr_workitem_id 0
		.amdhsa_next_free_vgpr 13
		.amdhsa_next_free_sgpr 16
		.amdhsa_reserve_vcc 1
		.amdhsa_float_round_mode_32 0
		.amdhsa_float_round_mode_16_64 0
		.amdhsa_float_denorm_mode_32 3
		.amdhsa_float_denorm_mode_16_64 3
		.amdhsa_dx10_clamp 1
		.amdhsa_ieee_mode 1
		.amdhsa_fp16_overflow 0
		.amdhsa_workgroup_processor_mode 1
		.amdhsa_memory_ordered 1
		.amdhsa_forward_progress 0
		.amdhsa_shared_vgpr_count 0
		.amdhsa_exception_fp_ieee_invalid_op 0
		.amdhsa_exception_fp_denorm_src 0
		.amdhsa_exception_fp_ieee_div_zero 0
		.amdhsa_exception_fp_ieee_overflow 0
		.amdhsa_exception_fp_ieee_underflow 0
		.amdhsa_exception_fp_ieee_inexact 0
		.amdhsa_exception_int_div_zero 0
	.end_amdhsa_kernel
	.section	.text._Z21inclusive_scan_kernelILj64ELN6hipcub18BlockScanAlgorithmE1EiEvPT1_,"axG",@progbits,_Z21inclusive_scan_kernelILj64ELN6hipcub18BlockScanAlgorithmE1EiEvPT1_,comdat
.Lfunc_end9:
	.size	_Z21inclusive_scan_kernelILj64ELN6hipcub18BlockScanAlgorithmE1EiEvPT1_, .Lfunc_end9-_Z21inclusive_scan_kernelILj64ELN6hipcub18BlockScanAlgorithmE1EiEvPT1_
                                        ; -- End function
	.section	.AMDGPU.csdata,"",@progbits
; Kernel info:
; codeLenInByte = 408
; NumSgprs: 18
; NumVgprs: 13
; ScratchSize: 0
; MemoryBound: 0
; FloatMode: 240
; IeeeMode: 1
; LDSByteSize: 264 bytes/workgroup (compile time only)
; SGPRBlocks: 2
; VGPRBlocks: 1
; NumSGPRsForWavesPerEU: 18
; NumVGPRsForWavesPerEU: 13
; Occupancy: 16
; WaveLimiterHint : 0
; COMPUTE_PGM_RSRC2:SCRATCH_EN: 0
; COMPUTE_PGM_RSRC2:USER_SGPR: 15
; COMPUTE_PGM_RSRC2:TRAP_HANDLER: 0
; COMPUTE_PGM_RSRC2:TGID_X_EN: 1
; COMPUTE_PGM_RSRC2:TGID_Y_EN: 0
; COMPUTE_PGM_RSRC2:TGID_Z_EN: 0
; COMPUTE_PGM_RSRC2:TIDIG_COMP_CNT: 0
	.section	.text._Z21inclusive_scan_kernelILj377ELN6hipcub18BlockScanAlgorithmE0ElEvPT1_,"axG",@progbits,_Z21inclusive_scan_kernelILj377ELN6hipcub18BlockScanAlgorithmE0ElEvPT1_,comdat
	.protected	_Z21inclusive_scan_kernelILj377ELN6hipcub18BlockScanAlgorithmE0ElEvPT1_ ; -- Begin function _Z21inclusive_scan_kernelILj377ELN6hipcub18BlockScanAlgorithmE0ElEvPT1_
	.globl	_Z21inclusive_scan_kernelILj377ELN6hipcub18BlockScanAlgorithmE0ElEvPT1_
	.p2align	8
	.type	_Z21inclusive_scan_kernelILj377ELN6hipcub18BlockScanAlgorithmE0ElEvPT1_,@function
_Z21inclusive_scan_kernelILj377ELN6hipcub18BlockScanAlgorithmE0ElEvPT1_: ; @_Z21inclusive_scan_kernelILj377ELN6hipcub18BlockScanAlgorithmE0ElEvPT1_
; %bb.0:
	s_load_b64 s[0:1], s[0:1], 0x0
	v_mad_u64_u32 v[1:2], null, 0x179, s15, v[0:1]
	v_mbcnt_lo_u32_b32 v5, -1, 0
	s_delay_alu instid0(VALU_DEP_1) | instskip(NEXT) | instid1(VALU_DEP_1)
	v_dual_mov_b32 v2, 0 :: v_dual_and_b32 v7, 15, v5
	v_lshlrev_b64 v[1:2], 3, v[1:2]
	s_waitcnt lgkmcnt(0)
	s_delay_alu instid0(VALU_DEP_1) | instskip(NEXT) | instid1(VALU_DEP_2)
	v_add_co_u32 v1, vcc_lo, s0, v1
	v_add_co_ci_u32_e32 v2, vcc_lo, s1, v2, vcc_lo
	v_cmp_ne_u32_e32 vcc_lo, 0, v7
	global_load_b64 v[3:4], v[1:2], off
	s_waitcnt vmcnt(0)
	v_mov_b32_dpp v9, v3 row_shr:1 row_mask:0xf bank_mask:0xf
	v_mov_b32_dpp v8, v4 row_shr:1 row_mask:0xf bank_mask:0xf
	v_mov_b32_e32 v6, v3
	s_and_saveexec_b32 s1, vcc_lo
; %bb.1:
	s_delay_alu instid0(VALU_DEP_3) | instskip(NEXT) | instid1(VALU_DEP_1)
	v_add_co_u32 v6, s0, v3, v9
	v_add_co_ci_u32_e64 v4, s0, 0, v4, s0
	s_delay_alu instid0(VALU_DEP_2) | instskip(NEXT) | instid1(VALU_DEP_1)
	v_add_co_u32 v3, s0, 0, v6
	v_add_co_ci_u32_e64 v4, s0, v8, v4, s0
; %bb.2:
	s_or_b32 exec_lo, exec_lo, s1
	v_mov_b32_dpp v9, v6 row_shr:2 row_mask:0xf bank_mask:0xf
	s_delay_alu instid0(VALU_DEP_2) | instskip(SKIP_1) | instid1(VALU_DEP_1)
	v_mov_b32_dpp v8, v4 row_shr:2 row_mask:0xf bank_mask:0xf
	v_cmp_lt_u32_e64 s0, 1, v7
	s_and_saveexec_b32 s2, s0
; %bb.3:
	s_delay_alu instid0(VALU_DEP_3) | instskip(NEXT) | instid1(VALU_DEP_1)
	v_add_co_u32 v6, s1, v3, v9
	v_add_co_ci_u32_e64 v4, s1, 0, v4, s1
	s_delay_alu instid0(VALU_DEP_2) | instskip(NEXT) | instid1(VALU_DEP_1)
	v_add_co_u32 v3, s1, 0, v6
	v_add_co_ci_u32_e64 v4, s1, v8, v4, s1
; %bb.4:
	s_or_b32 exec_lo, exec_lo, s2
	v_mov_b32_dpp v9, v6 row_shr:4 row_mask:0xf bank_mask:0xf
	s_delay_alu instid0(VALU_DEP_2) | instskip(SKIP_1) | instid1(VALU_DEP_1)
	v_mov_b32_dpp v8, v4 row_shr:4 row_mask:0xf bank_mask:0xf
	v_cmp_lt_u32_e64 s1, 3, v7
	s_and_saveexec_b32 s3, s1
	;; [unrolled: 14-line block ×3, first 2 shown]
; %bb.7:
	s_delay_alu instid0(VALU_DEP_3) | instskip(NEXT) | instid1(VALU_DEP_1)
	v_add_co_u32 v6, s3, v3, v9
	v_add_co_ci_u32_e64 v4, s3, 0, v4, s3
	s_delay_alu instid0(VALU_DEP_2) | instskip(NEXT) | instid1(VALU_DEP_1)
	v_add_co_u32 v3, s3, 0, v6
	v_add_co_ci_u32_e64 v4, s3, v8, v4, s3
; %bb.8:
	s_or_b32 exec_lo, exec_lo, s4
	ds_swizzle_b32 v7, v6 offset:swizzle(BROADCAST,32,15)
	ds_swizzle_b32 v6, v4 offset:swizzle(BROADCAST,32,15)
	v_and_b32_e32 v5, 16, v5
	s_mov_b32 s4, exec_lo
	s_delay_alu instid0(VALU_DEP_1)
	v_cmpx_ne_u32_e32 0, v5
	s_cbranch_execz .LBB10_10
; %bb.9:
	s_waitcnt lgkmcnt(1)
	v_add_co_u32 v3, s3, v3, v7
	s_delay_alu instid0(VALU_DEP_1) | instskip(NEXT) | instid1(VALU_DEP_2)
	v_add_co_ci_u32_e64 v4, s3, 0, v4, s3
	v_add_co_u32 v3, s3, v3, 0
	s_waitcnt lgkmcnt(0)
	s_delay_alu instid0(VALU_DEP_2)
	v_add_co_ci_u32_e64 v4, s3, v4, v6, s3
.LBB10_10:
	s_or_b32 exec_lo, exec_lo, s4
	v_and_b32_e32 v5, 0x1e0, v0
	s_waitcnt lgkmcnt(1)
	v_lshrrev_b32_e32 v7, 5, v0
	s_mov_b32 s4, exec_lo
	s_delay_alu instid0(VALU_DEP_2) | instskip(NEXT) | instid1(VALU_DEP_1)
	v_min_u32_e32 v5, 0x159, v5
	v_add_nc_u32_e32 v5, 31, v5
	s_delay_alu instid0(VALU_DEP_1)
	v_cmpx_eq_u32_e64 v5, v0
	s_cbranch_execz .LBB10_12
; %bb.11:
	v_lshlrev_b32_e32 v5, 3, v7
	ds_store_b64 v5, v[3:4]
.LBB10_12:
	s_or_b32 exec_lo, exec_lo, s4
	s_delay_alu instid0(SALU_CYCLE_1)
	s_mov_b32 s4, exec_lo
	s_waitcnt lgkmcnt(0)
	s_barrier
	buffer_gl0_inv
	v_cmpx_gt_u32_e32 12, v0
	s_cbranch_execz .LBB10_22
; %bb.13:
	v_lshlrev_b32_e32 v8, 3, v0
	ds_load_b64 v[5:6], v8
	s_waitcnt lgkmcnt(0)
	v_mov_b32_e32 v9, v5
	v_mov_b32_dpp v11, v5 row_shr:1 row_mask:0xf bank_mask:0xf
	v_mov_b32_dpp v10, v6 row_shr:1 row_mask:0xf bank_mask:0xf
	s_and_saveexec_b32 s3, vcc_lo
; %bb.14:
	s_delay_alu instid0(VALU_DEP_2) | instskip(SKIP_1) | instid1(VALU_DEP_2)
	v_add_co_u32 v9, vcc_lo, v5, v11
	v_add_co_ci_u32_e32 v6, vcc_lo, 0, v6, vcc_lo
	v_add_co_u32 v5, vcc_lo, 0, v9
	s_delay_alu instid0(VALU_DEP_2)
	v_add_co_ci_u32_e32 v6, vcc_lo, v10, v6, vcc_lo
; %bb.15:
	s_or_b32 exec_lo, exec_lo, s3
	v_mov_b32_dpp v11, v9 row_shr:2 row_mask:0xf bank_mask:0xf
	s_delay_alu instid0(VALU_DEP_2)
	v_mov_b32_dpp v10, v6 row_shr:2 row_mask:0xf bank_mask:0xf
	s_and_saveexec_b32 s3, s0
; %bb.16:
	s_delay_alu instid0(VALU_DEP_2) | instskip(SKIP_1) | instid1(VALU_DEP_2)
	v_add_co_u32 v9, vcc_lo, v5, v11
	v_add_co_ci_u32_e32 v6, vcc_lo, 0, v6, vcc_lo
	v_add_co_u32 v5, vcc_lo, 0, v9
	s_delay_alu instid0(VALU_DEP_2)
	v_add_co_ci_u32_e32 v6, vcc_lo, v10, v6, vcc_lo
; %bb.17:
	s_or_b32 exec_lo, exec_lo, s3
	v_mov_b32_dpp v11, v9 row_shr:4 row_mask:0xf bank_mask:0xf
	s_delay_alu instid0(VALU_DEP_2)
	v_mov_b32_dpp v10, v6 row_shr:4 row_mask:0xf bank_mask:0xf
	s_and_saveexec_b32 s0, s1
	;; [unrolled: 13-line block ×3, first 2 shown]
; %bb.20:
	s_delay_alu instid0(VALU_DEP_2) | instskip(SKIP_1) | instid1(VALU_DEP_2)
	v_add_co_u32 v5, vcc_lo, v5, v10
	v_add_co_ci_u32_e32 v6, vcc_lo, 0, v6, vcc_lo
	v_add_co_u32 v5, vcc_lo, v5, 0
	s_delay_alu instid0(VALU_DEP_2)
	v_add_co_ci_u32_e32 v6, vcc_lo, v6, v9, vcc_lo
; %bb.21:
	s_or_b32 exec_lo, exec_lo, s0
	ds_store_b64 v8, v[5:6]
.LBB10_22:
	s_or_b32 exec_lo, exec_lo, s4
	s_delay_alu instid0(SALU_CYCLE_1)
	s_mov_b32 s0, exec_lo
	s_waitcnt lgkmcnt(0)
	s_barrier
	buffer_gl0_inv
	v_cmpx_lt_u32_e32 31, v0
	s_cbranch_execz .LBB10_24
; %bb.23:
	v_lshl_add_u32 v0, v7, 3, -8
	ds_load_b64 v[5:6], v0
	s_waitcnt lgkmcnt(0)
	v_add_co_u32 v3, vcc_lo, v5, v3
	v_add_co_ci_u32_e32 v4, vcc_lo, v6, v4, vcc_lo
.LBB10_24:
	s_or_b32 exec_lo, exec_lo, s0
	global_store_b64 v[1:2], v[3:4], off
	s_nop 0
	s_sendmsg sendmsg(MSG_DEALLOC_VGPRS)
	s_endpgm
	.section	.rodata,"a",@progbits
	.p2align	6, 0x0
	.amdhsa_kernel _Z21inclusive_scan_kernelILj377ELN6hipcub18BlockScanAlgorithmE0ElEvPT1_
		.amdhsa_group_segment_fixed_size 96
		.amdhsa_private_segment_fixed_size 0
		.amdhsa_kernarg_size 8
		.amdhsa_user_sgpr_count 15
		.amdhsa_user_sgpr_dispatch_ptr 0
		.amdhsa_user_sgpr_queue_ptr 0
		.amdhsa_user_sgpr_kernarg_segment_ptr 1
		.amdhsa_user_sgpr_dispatch_id 0
		.amdhsa_user_sgpr_private_segment_size 0
		.amdhsa_wavefront_size32 1
		.amdhsa_uses_dynamic_stack 0
		.amdhsa_enable_private_segment 0
		.amdhsa_system_sgpr_workgroup_id_x 1
		.amdhsa_system_sgpr_workgroup_id_y 0
		.amdhsa_system_sgpr_workgroup_id_z 0
		.amdhsa_system_sgpr_workgroup_info 0
		.amdhsa_system_vgpr_workitem_id 0
		.amdhsa_next_free_vgpr 12
		.amdhsa_next_free_sgpr 16
		.amdhsa_reserve_vcc 1
		.amdhsa_float_round_mode_32 0
		.amdhsa_float_round_mode_16_64 0
		.amdhsa_float_denorm_mode_32 3
		.amdhsa_float_denorm_mode_16_64 3
		.amdhsa_dx10_clamp 1
		.amdhsa_ieee_mode 1
		.amdhsa_fp16_overflow 0
		.amdhsa_workgroup_processor_mode 1
		.amdhsa_memory_ordered 1
		.amdhsa_forward_progress 0
		.amdhsa_shared_vgpr_count 0
		.amdhsa_exception_fp_ieee_invalid_op 0
		.amdhsa_exception_fp_denorm_src 0
		.amdhsa_exception_fp_ieee_div_zero 0
		.amdhsa_exception_fp_ieee_overflow 0
		.amdhsa_exception_fp_ieee_underflow 0
		.amdhsa_exception_fp_ieee_inexact 0
		.amdhsa_exception_int_div_zero 0
	.end_amdhsa_kernel
	.section	.text._Z21inclusive_scan_kernelILj377ELN6hipcub18BlockScanAlgorithmE0ElEvPT1_,"axG",@progbits,_Z21inclusive_scan_kernelILj377ELN6hipcub18BlockScanAlgorithmE0ElEvPT1_,comdat
.Lfunc_end10:
	.size	_Z21inclusive_scan_kernelILj377ELN6hipcub18BlockScanAlgorithmE0ElEvPT1_, .Lfunc_end10-_Z21inclusive_scan_kernelILj377ELN6hipcub18BlockScanAlgorithmE0ElEvPT1_
                                        ; -- End function
	.section	.AMDGPU.csdata,"",@progbits
; Kernel info:
; codeLenInByte = 924
; NumSgprs: 18
; NumVgprs: 12
; ScratchSize: 0
; MemoryBound: 0
; FloatMode: 240
; IeeeMode: 1
; LDSByteSize: 96 bytes/workgroup (compile time only)
; SGPRBlocks: 2
; VGPRBlocks: 1
; NumSGPRsForWavesPerEU: 18
; NumVGPRsForWavesPerEU: 12
; Occupancy: 15
; WaveLimiterHint : 0
; COMPUTE_PGM_RSRC2:SCRATCH_EN: 0
; COMPUTE_PGM_RSRC2:USER_SGPR: 15
; COMPUTE_PGM_RSRC2:TRAP_HANDLER: 0
; COMPUTE_PGM_RSRC2:TGID_X_EN: 1
; COMPUTE_PGM_RSRC2:TGID_Y_EN: 0
; COMPUTE_PGM_RSRC2:TGID_Z_EN: 0
; COMPUTE_PGM_RSRC2:TIDIG_COMP_CNT: 0
	.section	.text._Z21inclusive_scan_kernelILj256ELN6hipcub18BlockScanAlgorithmE0ElEvPT1_,"axG",@progbits,_Z21inclusive_scan_kernelILj256ELN6hipcub18BlockScanAlgorithmE0ElEvPT1_,comdat
	.protected	_Z21inclusive_scan_kernelILj256ELN6hipcub18BlockScanAlgorithmE0ElEvPT1_ ; -- Begin function _Z21inclusive_scan_kernelILj256ELN6hipcub18BlockScanAlgorithmE0ElEvPT1_
	.globl	_Z21inclusive_scan_kernelILj256ELN6hipcub18BlockScanAlgorithmE0ElEvPT1_
	.p2align	8
	.type	_Z21inclusive_scan_kernelILj256ELN6hipcub18BlockScanAlgorithmE0ElEvPT1_,@function
_Z21inclusive_scan_kernelILj256ELN6hipcub18BlockScanAlgorithmE0ElEvPT1_: ; @_Z21inclusive_scan_kernelILj256ELN6hipcub18BlockScanAlgorithmE0ElEvPT1_
; %bb.0:
	s_load_b64 s[0:1], s[0:1], 0x0
	v_mov_b32_e32 v2, 0
	v_lshl_or_b32 v1, s15, 8, v0
	v_mbcnt_lo_u32_b32 v7, -1, 0
	s_delay_alu instid0(VALU_DEP_2) | instskip(NEXT) | instid1(VALU_DEP_2)
	v_lshlrev_b64 v[1:2], 3, v[1:2]
	v_and_b32_e32 v6, 15, v7
	s_waitcnt lgkmcnt(0)
	s_delay_alu instid0(VALU_DEP_2) | instskip(NEXT) | instid1(VALU_DEP_3)
	v_add_co_u32 v1, vcc_lo, s0, v1
	v_add_co_ci_u32_e32 v2, vcc_lo, s1, v2, vcc_lo
	s_mov_b32 s0, exec_lo
	global_load_b64 v[3:4], v[1:2], off
	s_waitcnt vmcnt(0)
	v_mov_b32_e32 v5, v3
	v_mov_b32_dpp v9, v3 row_shr:1 row_mask:0xf bank_mask:0xf
	v_mov_b32_dpp v8, v4 row_shr:1 row_mask:0xf bank_mask:0xf
	v_cmpx_ne_u32_e32 0, v6
; %bb.1:
	s_delay_alu instid0(VALU_DEP_3) | instskip(SKIP_1) | instid1(VALU_DEP_2)
	v_add_co_u32 v5, vcc_lo, v3, v9
	v_add_co_ci_u32_e32 v4, vcc_lo, 0, v4, vcc_lo
	v_add_co_u32 v3, vcc_lo, 0, v5
	s_delay_alu instid0(VALU_DEP_2)
	v_add_co_ci_u32_e32 v4, vcc_lo, v8, v4, vcc_lo
; %bb.2:
	s_or_b32 exec_lo, exec_lo, s0
	v_mov_b32_dpp v9, v5 row_shr:2 row_mask:0xf bank_mask:0xf
	s_delay_alu instid0(VALU_DEP_2)
	v_mov_b32_dpp v8, v4 row_shr:2 row_mask:0xf bank_mask:0xf
	s_mov_b32 s0, exec_lo
	v_cmpx_lt_u32_e32 1, v6
; %bb.3:
	s_delay_alu instid0(VALU_DEP_3) | instskip(SKIP_1) | instid1(VALU_DEP_2)
	v_add_co_u32 v5, vcc_lo, v3, v9
	v_add_co_ci_u32_e32 v4, vcc_lo, 0, v4, vcc_lo
	v_add_co_u32 v3, vcc_lo, 0, v5
	s_delay_alu instid0(VALU_DEP_2)
	v_add_co_ci_u32_e32 v4, vcc_lo, v8, v4, vcc_lo
; %bb.4:
	s_or_b32 exec_lo, exec_lo, s0
	v_mov_b32_dpp v9, v5 row_shr:4 row_mask:0xf bank_mask:0xf
	s_delay_alu instid0(VALU_DEP_2)
	v_mov_b32_dpp v8, v4 row_shr:4 row_mask:0xf bank_mask:0xf
	s_mov_b32 s0, exec_lo
	v_cmpx_lt_u32_e32 3, v6
	;; [unrolled: 14-line block ×3, first 2 shown]
; %bb.7:
	s_delay_alu instid0(VALU_DEP_3) | instskip(SKIP_1) | instid1(VALU_DEP_2)
	v_add_co_u32 v5, vcc_lo, v3, v9
	v_add_co_ci_u32_e32 v4, vcc_lo, 0, v4, vcc_lo
	v_add_co_u32 v3, vcc_lo, 0, v5
	s_delay_alu instid0(VALU_DEP_2)
	v_add_co_ci_u32_e32 v4, vcc_lo, v8, v4, vcc_lo
; %bb.8:
	s_or_b32 exec_lo, exec_lo, s0
	ds_swizzle_b32 v6, v5 offset:swizzle(BROADCAST,32,15)
	ds_swizzle_b32 v5, v4 offset:swizzle(BROADCAST,32,15)
	v_and_b32_e32 v8, 16, v7
	s_mov_b32 s0, exec_lo
	s_delay_alu instid0(VALU_DEP_1)
	v_cmpx_ne_u32_e32 0, v8
	s_cbranch_execz .LBB11_10
; %bb.9:
	s_waitcnt lgkmcnt(1)
	v_add_co_u32 v3, vcc_lo, v3, v6
	v_add_co_ci_u32_e32 v4, vcc_lo, 0, v4, vcc_lo
	s_delay_alu instid0(VALU_DEP_2) | instskip(SKIP_1) | instid1(VALU_DEP_2)
	v_add_co_u32 v3, vcc_lo, v3, 0
	s_waitcnt lgkmcnt(0)
	v_add_co_ci_u32_e32 v4, vcc_lo, v4, v5, vcc_lo
.LBB11_10:
	s_or_b32 exec_lo, exec_lo, s0
	s_waitcnt lgkmcnt(0)
	v_or_b32_e32 v5, 31, v0
	v_lshrrev_b32_e32 v8, 5, v0
	s_mov_b32 s0, exec_lo
	s_delay_alu instid0(VALU_DEP_2)
	v_cmpx_eq_u32_e64 v5, v0
	s_cbranch_execz .LBB11_12
; %bb.11:
	s_delay_alu instid0(VALU_DEP_2)
	v_lshlrev_b32_e32 v5, 3, v8
	ds_store_b64 v5, v[3:4]
.LBB11_12:
	s_or_b32 exec_lo, exec_lo, s0
	s_delay_alu instid0(SALU_CYCLE_1)
	s_mov_b32 s0, exec_lo
	s_waitcnt lgkmcnt(0)
	s_barrier
	buffer_gl0_inv
	v_cmpx_gt_u32_e32 8, v0
	s_cbranch_execz .LBB11_20
; %bb.13:
	v_lshlrev_b32_e32 v9, 3, v0
	v_and_b32_e32 v7, 7, v7
	s_mov_b32 s1, exec_lo
	ds_load_b64 v[5:6], v9
	s_waitcnt lgkmcnt(0)
	v_mov_b32_e32 v10, v5
	v_mov_b32_dpp v12, v5 row_shr:1 row_mask:0xf bank_mask:0xf
	v_mov_b32_dpp v11, v6 row_shr:1 row_mask:0xf bank_mask:0xf
	v_cmpx_ne_u32_e32 0, v7
; %bb.14:
	s_delay_alu instid0(VALU_DEP_3) | instskip(SKIP_1) | instid1(VALU_DEP_2)
	v_add_co_u32 v10, vcc_lo, v5, v12
	v_add_co_ci_u32_e32 v6, vcc_lo, 0, v6, vcc_lo
	v_add_co_u32 v5, vcc_lo, 0, v10
	s_delay_alu instid0(VALU_DEP_2)
	v_add_co_ci_u32_e32 v6, vcc_lo, v11, v6, vcc_lo
; %bb.15:
	s_or_b32 exec_lo, exec_lo, s1
	v_mov_b32_dpp v12, v10 row_shr:2 row_mask:0xf bank_mask:0xf
	s_delay_alu instid0(VALU_DEP_2)
	v_mov_b32_dpp v11, v6 row_shr:2 row_mask:0xf bank_mask:0xf
	s_mov_b32 s1, exec_lo
	v_cmpx_lt_u32_e32 1, v7
; %bb.16:
	s_delay_alu instid0(VALU_DEP_3) | instskip(SKIP_1) | instid1(VALU_DEP_2)
	v_add_co_u32 v10, vcc_lo, v5, v12
	v_add_co_ci_u32_e32 v6, vcc_lo, 0, v6, vcc_lo
	v_add_co_u32 v5, vcc_lo, 0, v10
	s_delay_alu instid0(VALU_DEP_2)
	v_add_co_ci_u32_e32 v6, vcc_lo, v11, v6, vcc_lo
; %bb.17:
	s_or_b32 exec_lo, exec_lo, s1
	v_mov_b32_dpp v11, v10 row_shr:4 row_mask:0xf bank_mask:0xf
	s_delay_alu instid0(VALU_DEP_2)
	v_mov_b32_dpp v10, v6 row_shr:4 row_mask:0xf bank_mask:0xf
	s_mov_b32 s1, exec_lo
	v_cmpx_lt_u32_e32 3, v7
; %bb.18:
	s_delay_alu instid0(VALU_DEP_3) | instskip(SKIP_1) | instid1(VALU_DEP_2)
	v_add_co_u32 v5, vcc_lo, v5, v11
	v_add_co_ci_u32_e32 v6, vcc_lo, 0, v6, vcc_lo
	v_add_co_u32 v5, vcc_lo, v5, 0
	s_delay_alu instid0(VALU_DEP_2)
	v_add_co_ci_u32_e32 v6, vcc_lo, v6, v10, vcc_lo
; %bb.19:
	s_or_b32 exec_lo, exec_lo, s1
	ds_store_b64 v9, v[5:6]
.LBB11_20:
	s_or_b32 exec_lo, exec_lo, s0
	s_delay_alu instid0(SALU_CYCLE_1)
	s_mov_b32 s0, exec_lo
	s_waitcnt lgkmcnt(0)
	s_barrier
	buffer_gl0_inv
	v_cmpx_lt_u32_e32 31, v0
	s_cbranch_execz .LBB11_22
; %bb.21:
	v_lshl_add_u32 v0, v8, 3, -8
	ds_load_b64 v[5:6], v0
	s_waitcnt lgkmcnt(0)
	v_add_co_u32 v3, vcc_lo, v5, v3
	v_add_co_ci_u32_e32 v4, vcc_lo, v6, v4, vcc_lo
.LBB11_22:
	s_or_b32 exec_lo, exec_lo, s0
	global_store_b64 v[1:2], v[3:4], off
	s_nop 0
	s_sendmsg sendmsg(MSG_DEALLOC_VGPRS)
	s_endpgm
	.section	.rodata,"a",@progbits
	.p2align	6, 0x0
	.amdhsa_kernel _Z21inclusive_scan_kernelILj256ELN6hipcub18BlockScanAlgorithmE0ElEvPT1_
		.amdhsa_group_segment_fixed_size 64
		.amdhsa_private_segment_fixed_size 0
		.amdhsa_kernarg_size 8
		.amdhsa_user_sgpr_count 15
		.amdhsa_user_sgpr_dispatch_ptr 0
		.amdhsa_user_sgpr_queue_ptr 0
		.amdhsa_user_sgpr_kernarg_segment_ptr 1
		.amdhsa_user_sgpr_dispatch_id 0
		.amdhsa_user_sgpr_private_segment_size 0
		.amdhsa_wavefront_size32 1
		.amdhsa_uses_dynamic_stack 0
		.amdhsa_enable_private_segment 0
		.amdhsa_system_sgpr_workgroup_id_x 1
		.amdhsa_system_sgpr_workgroup_id_y 0
		.amdhsa_system_sgpr_workgroup_id_z 0
		.amdhsa_system_sgpr_workgroup_info 0
		.amdhsa_system_vgpr_workitem_id 0
		.amdhsa_next_free_vgpr 13
		.amdhsa_next_free_sgpr 16
		.amdhsa_reserve_vcc 1
		.amdhsa_float_round_mode_32 0
		.amdhsa_float_round_mode_16_64 0
		.amdhsa_float_denorm_mode_32 3
		.amdhsa_float_denorm_mode_16_64 3
		.amdhsa_dx10_clamp 1
		.amdhsa_ieee_mode 1
		.amdhsa_fp16_overflow 0
		.amdhsa_workgroup_processor_mode 1
		.amdhsa_memory_ordered 1
		.amdhsa_forward_progress 0
		.amdhsa_shared_vgpr_count 0
		.amdhsa_exception_fp_ieee_invalid_op 0
		.amdhsa_exception_fp_denorm_src 0
		.amdhsa_exception_fp_ieee_div_zero 0
		.amdhsa_exception_fp_ieee_overflow 0
		.amdhsa_exception_fp_ieee_underflow 0
		.amdhsa_exception_fp_ieee_inexact 0
		.amdhsa_exception_int_div_zero 0
	.end_amdhsa_kernel
	.section	.text._Z21inclusive_scan_kernelILj256ELN6hipcub18BlockScanAlgorithmE0ElEvPT1_,"axG",@progbits,_Z21inclusive_scan_kernelILj256ELN6hipcub18BlockScanAlgorithmE0ElEvPT1_,comdat
.Lfunc_end11:
	.size	_Z21inclusive_scan_kernelILj256ELN6hipcub18BlockScanAlgorithmE0ElEvPT1_, .Lfunc_end11-_Z21inclusive_scan_kernelILj256ELN6hipcub18BlockScanAlgorithmE0ElEvPT1_
                                        ; -- End function
	.section	.AMDGPU.csdata,"",@progbits
; Kernel info:
; codeLenInByte = 804
; NumSgprs: 18
; NumVgprs: 13
; ScratchSize: 0
; MemoryBound: 0
; FloatMode: 240
; IeeeMode: 1
; LDSByteSize: 64 bytes/workgroup (compile time only)
; SGPRBlocks: 2
; VGPRBlocks: 1
; NumSGPRsForWavesPerEU: 18
; NumVGPRsForWavesPerEU: 13
; Occupancy: 16
; WaveLimiterHint : 0
; COMPUTE_PGM_RSRC2:SCRATCH_EN: 0
; COMPUTE_PGM_RSRC2:USER_SGPR: 15
; COMPUTE_PGM_RSRC2:TRAP_HANDLER: 0
; COMPUTE_PGM_RSRC2:TGID_X_EN: 1
; COMPUTE_PGM_RSRC2:TGID_Y_EN: 0
; COMPUTE_PGM_RSRC2:TGID_Z_EN: 0
; COMPUTE_PGM_RSRC2:TIDIG_COMP_CNT: 0
	.section	.text._Z21inclusive_scan_kernelILj64ELN6hipcub18BlockScanAlgorithmE0ElEvPT1_,"axG",@progbits,_Z21inclusive_scan_kernelILj64ELN6hipcub18BlockScanAlgorithmE0ElEvPT1_,comdat
	.protected	_Z21inclusive_scan_kernelILj64ELN6hipcub18BlockScanAlgorithmE0ElEvPT1_ ; -- Begin function _Z21inclusive_scan_kernelILj64ELN6hipcub18BlockScanAlgorithmE0ElEvPT1_
	.globl	_Z21inclusive_scan_kernelILj64ELN6hipcub18BlockScanAlgorithmE0ElEvPT1_
	.p2align	8
	.type	_Z21inclusive_scan_kernelILj64ELN6hipcub18BlockScanAlgorithmE0ElEvPT1_,@function
_Z21inclusive_scan_kernelILj64ELN6hipcub18BlockScanAlgorithmE0ElEvPT1_: ; @_Z21inclusive_scan_kernelILj64ELN6hipcub18BlockScanAlgorithmE0ElEvPT1_
; %bb.0:
	s_load_b64 s[0:1], s[0:1], 0x0
	v_mov_b32_e32 v2, 0
	v_lshl_or_b32 v1, s15, 6, v0
	v_mbcnt_lo_u32_b32 v7, -1, 0
	s_delay_alu instid0(VALU_DEP_2) | instskip(NEXT) | instid1(VALU_DEP_2)
	v_lshlrev_b64 v[1:2], 3, v[1:2]
	v_and_b32_e32 v6, 15, v7
	s_waitcnt lgkmcnt(0)
	s_delay_alu instid0(VALU_DEP_2) | instskip(NEXT) | instid1(VALU_DEP_3)
	v_add_co_u32 v1, vcc_lo, s0, v1
	v_add_co_ci_u32_e32 v2, vcc_lo, s1, v2, vcc_lo
	s_mov_b32 s0, exec_lo
	global_load_b64 v[3:4], v[1:2], off
	s_waitcnt vmcnt(0)
	v_mov_b32_e32 v5, v3
	v_mov_b32_dpp v9, v3 row_shr:1 row_mask:0xf bank_mask:0xf
	v_mov_b32_dpp v8, v4 row_shr:1 row_mask:0xf bank_mask:0xf
	v_cmpx_ne_u32_e32 0, v6
; %bb.1:
	s_delay_alu instid0(VALU_DEP_3) | instskip(SKIP_1) | instid1(VALU_DEP_2)
	v_add_co_u32 v5, vcc_lo, v3, v9
	v_add_co_ci_u32_e32 v4, vcc_lo, 0, v4, vcc_lo
	v_add_co_u32 v3, vcc_lo, 0, v5
	s_delay_alu instid0(VALU_DEP_2)
	v_add_co_ci_u32_e32 v4, vcc_lo, v8, v4, vcc_lo
; %bb.2:
	s_or_b32 exec_lo, exec_lo, s0
	v_mov_b32_dpp v9, v5 row_shr:2 row_mask:0xf bank_mask:0xf
	s_delay_alu instid0(VALU_DEP_2)
	v_mov_b32_dpp v8, v4 row_shr:2 row_mask:0xf bank_mask:0xf
	s_mov_b32 s0, exec_lo
	v_cmpx_lt_u32_e32 1, v6
; %bb.3:
	s_delay_alu instid0(VALU_DEP_3) | instskip(SKIP_1) | instid1(VALU_DEP_2)
	v_add_co_u32 v5, vcc_lo, v3, v9
	v_add_co_ci_u32_e32 v4, vcc_lo, 0, v4, vcc_lo
	v_add_co_u32 v3, vcc_lo, 0, v5
	s_delay_alu instid0(VALU_DEP_2)
	v_add_co_ci_u32_e32 v4, vcc_lo, v8, v4, vcc_lo
; %bb.4:
	s_or_b32 exec_lo, exec_lo, s0
	v_mov_b32_dpp v9, v5 row_shr:4 row_mask:0xf bank_mask:0xf
	s_delay_alu instid0(VALU_DEP_2)
	v_mov_b32_dpp v8, v4 row_shr:4 row_mask:0xf bank_mask:0xf
	s_mov_b32 s0, exec_lo
	v_cmpx_lt_u32_e32 3, v6
	;; [unrolled: 14-line block ×3, first 2 shown]
; %bb.7:
	s_delay_alu instid0(VALU_DEP_3) | instskip(SKIP_1) | instid1(VALU_DEP_2)
	v_add_co_u32 v5, vcc_lo, v3, v9
	v_add_co_ci_u32_e32 v4, vcc_lo, 0, v4, vcc_lo
	v_add_co_u32 v3, vcc_lo, 0, v5
	s_delay_alu instid0(VALU_DEP_2)
	v_add_co_ci_u32_e32 v4, vcc_lo, v8, v4, vcc_lo
; %bb.8:
	s_or_b32 exec_lo, exec_lo, s0
	ds_swizzle_b32 v6, v5 offset:swizzle(BROADCAST,32,15)
	ds_swizzle_b32 v5, v4 offset:swizzle(BROADCAST,32,15)
	v_and_b32_e32 v8, 16, v7
	s_mov_b32 s0, exec_lo
	s_delay_alu instid0(VALU_DEP_1)
	v_cmpx_ne_u32_e32 0, v8
	s_cbranch_execz .LBB12_10
; %bb.9:
	s_waitcnt lgkmcnt(1)
	v_add_co_u32 v3, vcc_lo, v3, v6
	v_add_co_ci_u32_e32 v4, vcc_lo, 0, v4, vcc_lo
	s_delay_alu instid0(VALU_DEP_2) | instskip(SKIP_1) | instid1(VALU_DEP_2)
	v_add_co_u32 v3, vcc_lo, v3, 0
	s_waitcnt lgkmcnt(0)
	v_add_co_ci_u32_e32 v4, vcc_lo, v4, v5, vcc_lo
.LBB12_10:
	s_or_b32 exec_lo, exec_lo, s0
	s_waitcnt lgkmcnt(0)
	v_or_b32_e32 v5, 31, v0
	v_lshrrev_b32_e32 v8, 5, v0
	s_mov_b32 s0, exec_lo
	s_delay_alu instid0(VALU_DEP_2)
	v_cmpx_eq_u32_e64 v5, v0
	s_cbranch_execz .LBB12_12
; %bb.11:
	s_delay_alu instid0(VALU_DEP_2)
	v_lshlrev_b32_e32 v5, 3, v8
	ds_store_b64 v5, v[3:4]
.LBB12_12:
	s_or_b32 exec_lo, exec_lo, s0
	s_delay_alu instid0(SALU_CYCLE_1)
	s_mov_b32 s0, exec_lo
	s_waitcnt lgkmcnt(0)
	s_barrier
	buffer_gl0_inv
	v_cmpx_gt_u32_e32 2, v0
	s_cbranch_execz .LBB12_16
; %bb.13:
	v_lshlrev_b32_e32 v9, 3, v0
	v_and_b32_e32 v11, 1, v7
	s_mov_b32 s1, exec_lo
	ds_load_b64 v[5:6], v9
	s_waitcnt lgkmcnt(0)
	v_mov_b32_dpp v10, v5 row_shr:1 row_mask:0xf bank_mask:0xf
	v_mov_b32_dpp v7, v6 row_shr:1 row_mask:0xf bank_mask:0xf
	v_cmpx_eq_u32_e32 1, v11
; %bb.14:
	s_delay_alu instid0(VALU_DEP_3) | instskip(SKIP_1) | instid1(VALU_DEP_2)
	v_add_co_u32 v5, vcc_lo, v5, v10
	v_add_co_ci_u32_e32 v6, vcc_lo, 0, v6, vcc_lo
	v_add_co_u32 v5, vcc_lo, v5, 0
	s_delay_alu instid0(VALU_DEP_2)
	v_add_co_ci_u32_e32 v6, vcc_lo, v6, v7, vcc_lo
; %bb.15:
	s_or_b32 exec_lo, exec_lo, s1
	ds_store_b64 v9, v[5:6]
.LBB12_16:
	s_or_b32 exec_lo, exec_lo, s0
	s_delay_alu instid0(SALU_CYCLE_1)
	s_mov_b32 s0, exec_lo
	s_waitcnt lgkmcnt(0)
	s_barrier
	buffer_gl0_inv
	v_cmpx_lt_u32_e32 31, v0
	s_cbranch_execz .LBB12_18
; %bb.17:
	v_lshl_add_u32 v0, v8, 3, -8
	ds_load_b64 v[5:6], v0
	s_waitcnt lgkmcnt(0)
	v_add_co_u32 v3, vcc_lo, v5, v3
	v_add_co_ci_u32_e32 v4, vcc_lo, v6, v4, vcc_lo
.LBB12_18:
	s_or_b32 exec_lo, exec_lo, s0
	global_store_b64 v[1:2], v[3:4], off
	s_nop 0
	s_sendmsg sendmsg(MSG_DEALLOC_VGPRS)
	s_endpgm
	.section	.rodata,"a",@progbits
	.p2align	6, 0x0
	.amdhsa_kernel _Z21inclusive_scan_kernelILj64ELN6hipcub18BlockScanAlgorithmE0ElEvPT1_
		.amdhsa_group_segment_fixed_size 16
		.amdhsa_private_segment_fixed_size 0
		.amdhsa_kernarg_size 8
		.amdhsa_user_sgpr_count 15
		.amdhsa_user_sgpr_dispatch_ptr 0
		.amdhsa_user_sgpr_queue_ptr 0
		.amdhsa_user_sgpr_kernarg_segment_ptr 1
		.amdhsa_user_sgpr_dispatch_id 0
		.amdhsa_user_sgpr_private_segment_size 0
		.amdhsa_wavefront_size32 1
		.amdhsa_uses_dynamic_stack 0
		.amdhsa_enable_private_segment 0
		.amdhsa_system_sgpr_workgroup_id_x 1
		.amdhsa_system_sgpr_workgroup_id_y 0
		.amdhsa_system_sgpr_workgroup_id_z 0
		.amdhsa_system_sgpr_workgroup_info 0
		.amdhsa_system_vgpr_workitem_id 0
		.amdhsa_next_free_vgpr 12
		.amdhsa_next_free_sgpr 16
		.amdhsa_reserve_vcc 1
		.amdhsa_float_round_mode_32 0
		.amdhsa_float_round_mode_16_64 0
		.amdhsa_float_denorm_mode_32 3
		.amdhsa_float_denorm_mode_16_64 3
		.amdhsa_dx10_clamp 1
		.amdhsa_ieee_mode 1
		.amdhsa_fp16_overflow 0
		.amdhsa_workgroup_processor_mode 1
		.amdhsa_memory_ordered 1
		.amdhsa_forward_progress 0
		.amdhsa_shared_vgpr_count 0
		.amdhsa_exception_fp_ieee_invalid_op 0
		.amdhsa_exception_fp_denorm_src 0
		.amdhsa_exception_fp_ieee_div_zero 0
		.amdhsa_exception_fp_ieee_overflow 0
		.amdhsa_exception_fp_ieee_underflow 0
		.amdhsa_exception_fp_ieee_inexact 0
		.amdhsa_exception_int_div_zero 0
	.end_amdhsa_kernel
	.section	.text._Z21inclusive_scan_kernelILj64ELN6hipcub18BlockScanAlgorithmE0ElEvPT1_,"axG",@progbits,_Z21inclusive_scan_kernelILj64ELN6hipcub18BlockScanAlgorithmE0ElEvPT1_,comdat
.Lfunc_end12:
	.size	_Z21inclusive_scan_kernelILj64ELN6hipcub18BlockScanAlgorithmE0ElEvPT1_, .Lfunc_end12-_Z21inclusive_scan_kernelILj64ELN6hipcub18BlockScanAlgorithmE0ElEvPT1_
                                        ; -- End function
	.section	.AMDGPU.csdata,"",@progbits
; Kernel info:
; codeLenInByte = 672
; NumSgprs: 18
; NumVgprs: 12
; ScratchSize: 0
; MemoryBound: 0
; FloatMode: 240
; IeeeMode: 1
; LDSByteSize: 16 bytes/workgroup (compile time only)
; SGPRBlocks: 2
; VGPRBlocks: 1
; NumSGPRsForWavesPerEU: 18
; NumVGPRsForWavesPerEU: 12
; Occupancy: 16
; WaveLimiterHint : 0
; COMPUTE_PGM_RSRC2:SCRATCH_EN: 0
; COMPUTE_PGM_RSRC2:USER_SGPR: 15
; COMPUTE_PGM_RSRC2:TRAP_HANDLER: 0
; COMPUTE_PGM_RSRC2:TGID_X_EN: 1
; COMPUTE_PGM_RSRC2:TGID_Y_EN: 0
; COMPUTE_PGM_RSRC2:TGID_Z_EN: 0
; COMPUTE_PGM_RSRC2:TIDIG_COMP_CNT: 0
	.section	.text._Z21inclusive_scan_kernelILj377ELN6hipcub18BlockScanAlgorithmE0EjEvPT1_,"axG",@progbits,_Z21inclusive_scan_kernelILj377ELN6hipcub18BlockScanAlgorithmE0EjEvPT1_,comdat
	.protected	_Z21inclusive_scan_kernelILj377ELN6hipcub18BlockScanAlgorithmE0EjEvPT1_ ; -- Begin function _Z21inclusive_scan_kernelILj377ELN6hipcub18BlockScanAlgorithmE0EjEvPT1_
	.globl	_Z21inclusive_scan_kernelILj377ELN6hipcub18BlockScanAlgorithmE0EjEvPT1_
	.p2align	8
	.type	_Z21inclusive_scan_kernelILj377ELN6hipcub18BlockScanAlgorithmE0EjEvPT1_,@function
_Z21inclusive_scan_kernelILj377ELN6hipcub18BlockScanAlgorithmE0EjEvPT1_: ; @_Z21inclusive_scan_kernelILj377ELN6hipcub18BlockScanAlgorithmE0EjEvPT1_
; %bb.0:
	s_load_b64 s[0:1], s[0:1], 0x0
	v_mad_u64_u32 v[1:2], null, 0x179, s15, v[0:1]
	v_mbcnt_lo_u32_b32 v4, -1, 0
	v_mov_b32_e32 v2, 0
	s_mov_b32 s4, exec_lo
	s_delay_alu instid0(VALU_DEP_2) | instskip(NEXT) | instid1(VALU_DEP_2)
	v_and_b32_e32 v5, 15, v4
	v_lshlrev_b64 v[1:2], 2, v[1:2]
	v_bfe_i32 v4, v4, 4, 1
	s_delay_alu instid0(VALU_DEP_3) | instskip(SKIP_1) | instid1(VALU_DEP_3)
	v_cmp_lt_u32_e64 s2, 7, v5
	s_waitcnt lgkmcnt(0)
	v_add_co_u32 v1, vcc_lo, s0, v1
	s_delay_alu instid0(VALU_DEP_4)
	v_add_co_ci_u32_e32 v2, vcc_lo, s1, v2, vcc_lo
	v_cmp_eq_u32_e32 vcc_lo, 0, v5
	v_cmp_lt_u32_e64 s0, 1, v5
	v_cmp_lt_u32_e64 s1, 3, v5
	global_load_b32 v3, v[1:2], off
	s_waitcnt vmcnt(0)
	v_mov_b32_dpp v6, v3 row_shr:1 row_mask:0xf bank_mask:0xf
	s_delay_alu instid0(VALU_DEP_1) | instskip(NEXT) | instid1(VALU_DEP_1)
	v_cndmask_b32_e64 v6, v6, 0, vcc_lo
	v_add_nc_u32_e32 v3, v6, v3
	s_delay_alu instid0(VALU_DEP_1) | instskip(NEXT) | instid1(VALU_DEP_1)
	v_mov_b32_dpp v6, v3 row_shr:2 row_mask:0xf bank_mask:0xf
	v_cndmask_b32_e64 v6, 0, v6, s0
	s_delay_alu instid0(VALU_DEP_1) | instskip(NEXT) | instid1(VALU_DEP_1)
	v_add_nc_u32_e32 v3, v3, v6
	v_mov_b32_dpp v6, v3 row_shr:4 row_mask:0xf bank_mask:0xf
	s_delay_alu instid0(VALU_DEP_1) | instskip(NEXT) | instid1(VALU_DEP_1)
	v_cndmask_b32_e64 v6, 0, v6, s1
	v_add_nc_u32_e32 v3, v3, v6
	s_delay_alu instid0(VALU_DEP_1) | instskip(NEXT) | instid1(VALU_DEP_1)
	v_mov_b32_dpp v6, v3 row_shr:8 row_mask:0xf bank_mask:0xf
	v_cndmask_b32_e64 v5, 0, v6, s2
	v_and_b32_e32 v6, 0x1e0, v0
	s_delay_alu instid0(VALU_DEP_2) | instskip(NEXT) | instid1(VALU_DEP_2)
	v_add_nc_u32_e32 v3, v3, v5
	v_min_u32_e32 v6, 0x159, v6
	ds_swizzle_b32 v5, v3 offset:swizzle(BROADCAST,32,15)
	v_add_nc_u32_e32 v6, 31, v6
	s_waitcnt lgkmcnt(0)
	v_and_b32_e32 v5, v4, v5
	v_lshrrev_b32_e32 v4, 5, v0
	s_delay_alu instid0(VALU_DEP_2)
	v_add_nc_u32_e32 v3, v3, v5
	v_cmpx_eq_u32_e64 v6, v0
	s_cbranch_execz .LBB13_2
; %bb.1:
	s_delay_alu instid0(VALU_DEP_3)
	v_lshlrev_b32_e32 v5, 2, v4
	ds_store_b32 v5, v3
.LBB13_2:
	s_or_b32 exec_lo, exec_lo, s4
	s_delay_alu instid0(SALU_CYCLE_1)
	s_mov_b32 s4, exec_lo
	s_waitcnt lgkmcnt(0)
	s_barrier
	buffer_gl0_inv
	v_cmpx_gt_u32_e32 12, v0
	s_cbranch_execz .LBB13_4
; %bb.3:
	v_lshlrev_b32_e32 v5, 2, v0
	ds_load_b32 v6, v5
	s_waitcnt lgkmcnt(0)
	v_mov_b32_dpp v7, v6 row_shr:1 row_mask:0xf bank_mask:0xf
	s_delay_alu instid0(VALU_DEP_1) | instskip(NEXT) | instid1(VALU_DEP_1)
	v_cndmask_b32_e64 v7, v7, 0, vcc_lo
	v_add_nc_u32_e32 v6, v7, v6
	s_delay_alu instid0(VALU_DEP_1) | instskip(NEXT) | instid1(VALU_DEP_1)
	v_mov_b32_dpp v7, v6 row_shr:2 row_mask:0xf bank_mask:0xf
	v_cndmask_b32_e64 v7, 0, v7, s0
	s_delay_alu instid0(VALU_DEP_1) | instskip(NEXT) | instid1(VALU_DEP_1)
	v_add_nc_u32_e32 v6, v6, v7
	v_mov_b32_dpp v7, v6 row_shr:4 row_mask:0xf bank_mask:0xf
	s_delay_alu instid0(VALU_DEP_1) | instskip(NEXT) | instid1(VALU_DEP_1)
	v_cndmask_b32_e64 v7, 0, v7, s1
	v_add_nc_u32_e32 v6, v6, v7
	s_delay_alu instid0(VALU_DEP_1) | instskip(NEXT) | instid1(VALU_DEP_1)
	v_mov_b32_dpp v7, v6 row_shr:8 row_mask:0xf bank_mask:0xf
	v_cndmask_b32_e64 v7, 0, v7, s2
	s_delay_alu instid0(VALU_DEP_1)
	v_add_nc_u32_e32 v6, v6, v7
	ds_store_b32 v5, v6
.LBB13_4:
	s_or_b32 exec_lo, exec_lo, s4
	s_delay_alu instid0(SALU_CYCLE_1)
	s_mov_b32 s0, exec_lo
	s_waitcnt lgkmcnt(0)
	s_barrier
	buffer_gl0_inv
	v_cmpx_lt_u32_e32 31, v0
	s_cbranch_execz .LBB13_6
; %bb.5:
	v_lshl_add_u32 v0, v4, 2, -4
	ds_load_b32 v0, v0
	s_waitcnt lgkmcnt(0)
	v_add_nc_u32_e32 v3, v0, v3
.LBB13_6:
	s_or_b32 exec_lo, exec_lo, s0
	global_store_b32 v[1:2], v3, off
	s_nop 0
	s_sendmsg sendmsg(MSG_DEALLOC_VGPRS)
	s_endpgm
	.section	.rodata,"a",@progbits
	.p2align	6, 0x0
	.amdhsa_kernel _Z21inclusive_scan_kernelILj377ELN6hipcub18BlockScanAlgorithmE0EjEvPT1_
		.amdhsa_group_segment_fixed_size 48
		.amdhsa_private_segment_fixed_size 0
		.amdhsa_kernarg_size 8
		.amdhsa_user_sgpr_count 15
		.amdhsa_user_sgpr_dispatch_ptr 0
		.amdhsa_user_sgpr_queue_ptr 0
		.amdhsa_user_sgpr_kernarg_segment_ptr 1
		.amdhsa_user_sgpr_dispatch_id 0
		.amdhsa_user_sgpr_private_segment_size 0
		.amdhsa_wavefront_size32 1
		.amdhsa_uses_dynamic_stack 0
		.amdhsa_enable_private_segment 0
		.amdhsa_system_sgpr_workgroup_id_x 1
		.amdhsa_system_sgpr_workgroup_id_y 0
		.amdhsa_system_sgpr_workgroup_id_z 0
		.amdhsa_system_sgpr_workgroup_info 0
		.amdhsa_system_vgpr_workitem_id 0
		.amdhsa_next_free_vgpr 8
		.amdhsa_next_free_sgpr 16
		.amdhsa_reserve_vcc 1
		.amdhsa_float_round_mode_32 0
		.amdhsa_float_round_mode_16_64 0
		.amdhsa_float_denorm_mode_32 3
		.amdhsa_float_denorm_mode_16_64 3
		.amdhsa_dx10_clamp 1
		.amdhsa_ieee_mode 1
		.amdhsa_fp16_overflow 0
		.amdhsa_workgroup_processor_mode 1
		.amdhsa_memory_ordered 1
		.amdhsa_forward_progress 0
		.amdhsa_shared_vgpr_count 0
		.amdhsa_exception_fp_ieee_invalid_op 0
		.amdhsa_exception_fp_denorm_src 0
		.amdhsa_exception_fp_ieee_div_zero 0
		.amdhsa_exception_fp_ieee_overflow 0
		.amdhsa_exception_fp_ieee_underflow 0
		.amdhsa_exception_fp_ieee_inexact 0
		.amdhsa_exception_int_div_zero 0
	.end_amdhsa_kernel
	.section	.text._Z21inclusive_scan_kernelILj377ELN6hipcub18BlockScanAlgorithmE0EjEvPT1_,"axG",@progbits,_Z21inclusive_scan_kernelILj377ELN6hipcub18BlockScanAlgorithmE0EjEvPT1_,comdat
.Lfunc_end13:
	.size	_Z21inclusive_scan_kernelILj377ELN6hipcub18BlockScanAlgorithmE0EjEvPT1_, .Lfunc_end13-_Z21inclusive_scan_kernelILj377ELN6hipcub18BlockScanAlgorithmE0EjEvPT1_
                                        ; -- End function
	.section	.AMDGPU.csdata,"",@progbits
; Kernel info:
; codeLenInByte = 552
; NumSgprs: 18
; NumVgprs: 8
; ScratchSize: 0
; MemoryBound: 0
; FloatMode: 240
; IeeeMode: 1
; LDSByteSize: 48 bytes/workgroup (compile time only)
; SGPRBlocks: 2
; VGPRBlocks: 0
; NumSGPRsForWavesPerEU: 18
; NumVGPRsForWavesPerEU: 8
; Occupancy: 15
; WaveLimiterHint : 0
; COMPUTE_PGM_RSRC2:SCRATCH_EN: 0
; COMPUTE_PGM_RSRC2:USER_SGPR: 15
; COMPUTE_PGM_RSRC2:TRAP_HANDLER: 0
; COMPUTE_PGM_RSRC2:TGID_X_EN: 1
; COMPUTE_PGM_RSRC2:TGID_Y_EN: 0
; COMPUTE_PGM_RSRC2:TGID_Z_EN: 0
; COMPUTE_PGM_RSRC2:TIDIG_COMP_CNT: 0
	.section	.text._Z21inclusive_scan_kernelILj256ELN6hipcub18BlockScanAlgorithmE0EjEvPT1_,"axG",@progbits,_Z21inclusive_scan_kernelILj256ELN6hipcub18BlockScanAlgorithmE0EjEvPT1_,comdat
	.protected	_Z21inclusive_scan_kernelILj256ELN6hipcub18BlockScanAlgorithmE0EjEvPT1_ ; -- Begin function _Z21inclusive_scan_kernelILj256ELN6hipcub18BlockScanAlgorithmE0EjEvPT1_
	.globl	_Z21inclusive_scan_kernelILj256ELN6hipcub18BlockScanAlgorithmE0EjEvPT1_
	.p2align	8
	.type	_Z21inclusive_scan_kernelILj256ELN6hipcub18BlockScanAlgorithmE0EjEvPT1_,@function
_Z21inclusive_scan_kernelILj256ELN6hipcub18BlockScanAlgorithmE0EjEvPT1_: ; @_Z21inclusive_scan_kernelILj256ELN6hipcub18BlockScanAlgorithmE0EjEvPT1_
; %bb.0:
	s_load_b64 s[0:1], s[0:1], 0x0
	v_mov_b32_e32 v2, 0
	v_lshl_or_b32 v1, s15, 8, v0
	v_mbcnt_lo_u32_b32 v5, -1, 0
	v_or_b32_e32 v7, 31, v0
	s_delay_alu instid0(VALU_DEP_3) | instskip(NEXT) | instid1(VALU_DEP_3)
	v_lshlrev_b64 v[1:2], 2, v[1:2]
	v_and_b32_e32 v4, 15, v5
	s_waitcnt lgkmcnt(0)
	s_delay_alu instid0(VALU_DEP_2) | instskip(NEXT) | instid1(VALU_DEP_3)
	v_add_co_u32 v1, vcc_lo, s0, v1
	v_add_co_ci_u32_e32 v2, vcc_lo, s1, v2, vcc_lo
	s_delay_alu instid0(VALU_DEP_3) | instskip(SKIP_4) | instid1(VALU_DEP_1)
	v_cmp_ne_u32_e32 vcc_lo, 0, v4
	s_mov_b32 s0, exec_lo
	global_load_b32 v3, v[1:2], off
	s_waitcnt vmcnt(0)
	v_mov_b32_dpp v6, v3 row_shr:1 row_mask:0xf bank_mask:0xf
	v_cndmask_b32_e32 v6, 0, v6, vcc_lo
	v_cmp_lt_u32_e32 vcc_lo, 1, v4
	s_delay_alu instid0(VALU_DEP_2) | instskip(NEXT) | instid1(VALU_DEP_1)
	v_add_nc_u32_e32 v3, v6, v3
	v_mov_b32_dpp v6, v3 row_shr:2 row_mask:0xf bank_mask:0xf
	s_delay_alu instid0(VALU_DEP_1) | instskip(SKIP_1) | instid1(VALU_DEP_2)
	v_cndmask_b32_e32 v6, 0, v6, vcc_lo
	v_cmp_lt_u32_e32 vcc_lo, 3, v4
	v_add_nc_u32_e32 v3, v3, v6
	s_delay_alu instid0(VALU_DEP_1) | instskip(NEXT) | instid1(VALU_DEP_1)
	v_mov_b32_dpp v6, v3 row_shr:4 row_mask:0xf bank_mask:0xf
	v_cndmask_b32_e32 v6, 0, v6, vcc_lo
	v_cmp_lt_u32_e32 vcc_lo, 7, v4
	s_delay_alu instid0(VALU_DEP_2) | instskip(NEXT) | instid1(VALU_DEP_1)
	v_add_nc_u32_e32 v3, v3, v6
	v_mov_b32_dpp v6, v3 row_shr:8 row_mask:0xf bank_mask:0xf
	s_delay_alu instid0(VALU_DEP_1) | instskip(SKIP_1) | instid1(VALU_DEP_2)
	v_cndmask_b32_e32 v4, 0, v6, vcc_lo
	v_bfe_i32 v6, v5, 4, 1
	v_add_nc_u32_e32 v3, v3, v4
	ds_swizzle_b32 v4, v3 offset:swizzle(BROADCAST,32,15)
	s_waitcnt lgkmcnt(0)
	v_and_b32_e32 v6, v6, v4
	v_lshrrev_b32_e32 v4, 5, v0
	s_delay_alu instid0(VALU_DEP_2)
	v_add_nc_u32_e32 v3, v3, v6
	v_cmpx_eq_u32_e64 v7, v0
	s_cbranch_execz .LBB14_2
; %bb.1:
	s_delay_alu instid0(VALU_DEP_3)
	v_lshlrev_b32_e32 v6, 2, v4
	ds_store_b32 v6, v3
.LBB14_2:
	s_or_b32 exec_lo, exec_lo, s0
	s_delay_alu instid0(SALU_CYCLE_1)
	s_mov_b32 s0, exec_lo
	s_waitcnt lgkmcnt(0)
	s_barrier
	buffer_gl0_inv
	v_cmpx_gt_u32_e32 8, v0
	s_cbranch_execz .LBB14_4
; %bb.3:
	v_lshlrev_b32_e32 v6, 2, v0
	ds_load_b32 v7, v6
	s_waitcnt lgkmcnt(0)
	v_mov_b32_dpp v8, v7 row_shr:1 row_mask:0xf bank_mask:0xf
	v_and_b32_e32 v5, 7, v5
	s_delay_alu instid0(VALU_DEP_1) | instskip(NEXT) | instid1(VALU_DEP_3)
	v_cmp_ne_u32_e32 vcc_lo, 0, v5
	v_cndmask_b32_e32 v8, 0, v8, vcc_lo
	v_cmp_lt_u32_e32 vcc_lo, 1, v5
	s_delay_alu instid0(VALU_DEP_2) | instskip(NEXT) | instid1(VALU_DEP_1)
	v_add_nc_u32_e32 v7, v8, v7
	v_mov_b32_dpp v8, v7 row_shr:2 row_mask:0xf bank_mask:0xf
	s_delay_alu instid0(VALU_DEP_1) | instskip(SKIP_1) | instid1(VALU_DEP_2)
	v_cndmask_b32_e32 v8, 0, v8, vcc_lo
	v_cmp_lt_u32_e32 vcc_lo, 3, v5
	v_add_nc_u32_e32 v7, v7, v8
	s_delay_alu instid0(VALU_DEP_1) | instskip(NEXT) | instid1(VALU_DEP_1)
	v_mov_b32_dpp v8, v7 row_shr:4 row_mask:0xf bank_mask:0xf
	v_cndmask_b32_e32 v5, 0, v8, vcc_lo
	s_delay_alu instid0(VALU_DEP_1)
	v_add_nc_u32_e32 v5, v7, v5
	ds_store_b32 v6, v5
.LBB14_4:
	s_or_b32 exec_lo, exec_lo, s0
	s_delay_alu instid0(SALU_CYCLE_1)
	s_mov_b32 s0, exec_lo
	s_waitcnt lgkmcnt(0)
	s_barrier
	buffer_gl0_inv
	v_cmpx_lt_u32_e32 31, v0
	s_cbranch_execz .LBB14_6
; %bb.5:
	v_lshl_add_u32 v0, v4, 2, -4
	ds_load_b32 v0, v0
	s_waitcnt lgkmcnt(0)
	v_add_nc_u32_e32 v3, v0, v3
.LBB14_6:
	s_or_b32 exec_lo, exec_lo, s0
	global_store_b32 v[1:2], v3, off
	s_nop 0
	s_sendmsg sendmsg(MSG_DEALLOC_VGPRS)
	s_endpgm
	.section	.rodata,"a",@progbits
	.p2align	6, 0x0
	.amdhsa_kernel _Z21inclusive_scan_kernelILj256ELN6hipcub18BlockScanAlgorithmE0EjEvPT1_
		.amdhsa_group_segment_fixed_size 32
		.amdhsa_private_segment_fixed_size 0
		.amdhsa_kernarg_size 8
		.amdhsa_user_sgpr_count 15
		.amdhsa_user_sgpr_dispatch_ptr 0
		.amdhsa_user_sgpr_queue_ptr 0
		.amdhsa_user_sgpr_kernarg_segment_ptr 1
		.amdhsa_user_sgpr_dispatch_id 0
		.amdhsa_user_sgpr_private_segment_size 0
		.amdhsa_wavefront_size32 1
		.amdhsa_uses_dynamic_stack 0
		.amdhsa_enable_private_segment 0
		.amdhsa_system_sgpr_workgroup_id_x 1
		.amdhsa_system_sgpr_workgroup_id_y 0
		.amdhsa_system_sgpr_workgroup_id_z 0
		.amdhsa_system_sgpr_workgroup_info 0
		.amdhsa_system_vgpr_workitem_id 0
		.amdhsa_next_free_vgpr 9
		.amdhsa_next_free_sgpr 16
		.amdhsa_reserve_vcc 1
		.amdhsa_float_round_mode_32 0
		.amdhsa_float_round_mode_16_64 0
		.amdhsa_float_denorm_mode_32 3
		.amdhsa_float_denorm_mode_16_64 3
		.amdhsa_dx10_clamp 1
		.amdhsa_ieee_mode 1
		.amdhsa_fp16_overflow 0
		.amdhsa_workgroup_processor_mode 1
		.amdhsa_memory_ordered 1
		.amdhsa_forward_progress 0
		.amdhsa_shared_vgpr_count 0
		.amdhsa_exception_fp_ieee_invalid_op 0
		.amdhsa_exception_fp_denorm_src 0
		.amdhsa_exception_fp_ieee_div_zero 0
		.amdhsa_exception_fp_ieee_overflow 0
		.amdhsa_exception_fp_ieee_underflow 0
		.amdhsa_exception_fp_ieee_inexact 0
		.amdhsa_exception_int_div_zero 0
	.end_amdhsa_kernel
	.section	.text._Z21inclusive_scan_kernelILj256ELN6hipcub18BlockScanAlgorithmE0EjEvPT1_,"axG",@progbits,_Z21inclusive_scan_kernelILj256ELN6hipcub18BlockScanAlgorithmE0EjEvPT1_,comdat
.Lfunc_end14:
	.size	_Z21inclusive_scan_kernelILj256ELN6hipcub18BlockScanAlgorithmE0EjEvPT1_, .Lfunc_end14-_Z21inclusive_scan_kernelILj256ELN6hipcub18BlockScanAlgorithmE0EjEvPT1_
                                        ; -- End function
	.section	.AMDGPU.csdata,"",@progbits
; Kernel info:
; codeLenInByte = 480
; NumSgprs: 18
; NumVgprs: 9
; ScratchSize: 0
; MemoryBound: 0
; FloatMode: 240
; IeeeMode: 1
; LDSByteSize: 32 bytes/workgroup (compile time only)
; SGPRBlocks: 2
; VGPRBlocks: 1
; NumSGPRsForWavesPerEU: 18
; NumVGPRsForWavesPerEU: 9
; Occupancy: 16
; WaveLimiterHint : 0
; COMPUTE_PGM_RSRC2:SCRATCH_EN: 0
; COMPUTE_PGM_RSRC2:USER_SGPR: 15
; COMPUTE_PGM_RSRC2:TRAP_HANDLER: 0
; COMPUTE_PGM_RSRC2:TGID_X_EN: 1
; COMPUTE_PGM_RSRC2:TGID_Y_EN: 0
; COMPUTE_PGM_RSRC2:TGID_Z_EN: 0
; COMPUTE_PGM_RSRC2:TIDIG_COMP_CNT: 0
	.section	.text._Z21inclusive_scan_kernelILj64ELN6hipcub18BlockScanAlgorithmE0EjEvPT1_,"axG",@progbits,_Z21inclusive_scan_kernelILj64ELN6hipcub18BlockScanAlgorithmE0EjEvPT1_,comdat
	.protected	_Z21inclusive_scan_kernelILj64ELN6hipcub18BlockScanAlgorithmE0EjEvPT1_ ; -- Begin function _Z21inclusive_scan_kernelILj64ELN6hipcub18BlockScanAlgorithmE0EjEvPT1_
	.globl	_Z21inclusive_scan_kernelILj64ELN6hipcub18BlockScanAlgorithmE0EjEvPT1_
	.p2align	8
	.type	_Z21inclusive_scan_kernelILj64ELN6hipcub18BlockScanAlgorithmE0EjEvPT1_,@function
_Z21inclusive_scan_kernelILj64ELN6hipcub18BlockScanAlgorithmE0EjEvPT1_: ; @_Z21inclusive_scan_kernelILj64ELN6hipcub18BlockScanAlgorithmE0EjEvPT1_
; %bb.0:
	s_load_b64 s[0:1], s[0:1], 0x0
	v_lshl_or_b32 v1, s15, 6, v0
	v_mbcnt_lo_u32_b32 v4, -1, 0
	v_mov_b32_e32 v2, 0
	v_or_b32_e32 v7, 31, v0
	s_delay_alu instid0(VALU_DEP_3) | instskip(NEXT) | instid1(VALU_DEP_3)
	v_and_b32_e32 v5, 15, v4
	v_lshlrev_b64 v[1:2], 2, v[1:2]
	s_waitcnt lgkmcnt(0)
	s_delay_alu instid0(VALU_DEP_1) | instskip(NEXT) | instid1(VALU_DEP_2)
	v_add_co_u32 v1, vcc_lo, s0, v1
	v_add_co_ci_u32_e32 v2, vcc_lo, s1, v2, vcc_lo
	v_cmp_ne_u32_e32 vcc_lo, 0, v5
	s_mov_b32 s0, exec_lo
	global_load_b32 v3, v[1:2], off
	s_waitcnt vmcnt(0)
	v_mov_b32_dpp v6, v3 row_shr:1 row_mask:0xf bank_mask:0xf
	s_delay_alu instid0(VALU_DEP_1) | instskip(SKIP_1) | instid1(VALU_DEP_2)
	v_cndmask_b32_e32 v6, 0, v6, vcc_lo
	v_cmp_lt_u32_e32 vcc_lo, 1, v5
	v_add_nc_u32_e32 v3, v6, v3
	s_delay_alu instid0(VALU_DEP_1) | instskip(NEXT) | instid1(VALU_DEP_1)
	v_mov_b32_dpp v6, v3 row_shr:2 row_mask:0xf bank_mask:0xf
	v_cndmask_b32_e32 v6, 0, v6, vcc_lo
	v_cmp_lt_u32_e32 vcc_lo, 3, v5
	s_delay_alu instid0(VALU_DEP_2) | instskip(NEXT) | instid1(VALU_DEP_1)
	v_add_nc_u32_e32 v3, v3, v6
	v_mov_b32_dpp v6, v3 row_shr:4 row_mask:0xf bank_mask:0xf
	s_delay_alu instid0(VALU_DEP_1) | instskip(SKIP_1) | instid1(VALU_DEP_2)
	v_cndmask_b32_e32 v6, 0, v6, vcc_lo
	v_cmp_lt_u32_e32 vcc_lo, 7, v5
	v_add_nc_u32_e32 v3, v3, v6
	s_delay_alu instid0(VALU_DEP_1) | instskip(NEXT) | instid1(VALU_DEP_1)
	v_mov_b32_dpp v6, v3 row_shr:8 row_mask:0xf bank_mask:0xf
	v_cndmask_b32_e32 v5, 0, v6, vcc_lo
	v_bfe_i32 v6, v4, 4, 1
	s_delay_alu instid0(VALU_DEP_2) | instskip(SKIP_4) | instid1(VALU_DEP_2)
	v_add_nc_u32_e32 v3, v3, v5
	ds_swizzle_b32 v5, v3 offset:swizzle(BROADCAST,32,15)
	s_waitcnt lgkmcnt(0)
	v_and_b32_e32 v6, v6, v5
	v_lshrrev_b32_e32 v5, 5, v0
	v_add_nc_u32_e32 v3, v3, v6
	v_cmpx_eq_u32_e64 v7, v0
	s_cbranch_execz .LBB15_2
; %bb.1:
	s_delay_alu instid0(VALU_DEP_3)
	v_lshlrev_b32_e32 v6, 2, v5
	ds_store_b32 v6, v3
.LBB15_2:
	s_or_b32 exec_lo, exec_lo, s0
	s_delay_alu instid0(SALU_CYCLE_1)
	s_mov_b32 s0, exec_lo
	s_waitcnt lgkmcnt(0)
	s_barrier
	buffer_gl0_inv
	v_cmpx_gt_u32_e32 2, v0
	s_cbranch_execz .LBB15_4
; %bb.3:
	v_lshlrev_b32_e32 v6, 2, v0
	v_bfe_i32 v4, v4, 0, 1
	ds_load_b32 v7, v6
	s_waitcnt lgkmcnt(0)
	v_mov_b32_dpp v8, v7 row_shr:1 row_mask:0xf bank_mask:0xf
	s_delay_alu instid0(VALU_DEP_1) | instskip(NEXT) | instid1(VALU_DEP_1)
	v_and_b32_e32 v4, v4, v8
	v_add_nc_u32_e32 v4, v4, v7
	ds_store_b32 v6, v4
.LBB15_4:
	s_or_b32 exec_lo, exec_lo, s0
	s_delay_alu instid0(SALU_CYCLE_1)
	s_mov_b32 s0, exec_lo
	s_waitcnt lgkmcnt(0)
	s_barrier
	buffer_gl0_inv
	v_cmpx_lt_u32_e32 31, v0
	s_cbranch_execz .LBB15_6
; %bb.5:
	v_lshl_add_u32 v0, v5, 2, -4
	ds_load_b32 v0, v0
	s_waitcnt lgkmcnt(0)
	v_add_nc_u32_e32 v3, v0, v3
.LBB15_6:
	s_or_b32 exec_lo, exec_lo, s0
	global_store_b32 v[1:2], v3, off
	s_nop 0
	s_sendmsg sendmsg(MSG_DEALLOC_VGPRS)
	s_endpgm
	.section	.rodata,"a",@progbits
	.p2align	6, 0x0
	.amdhsa_kernel _Z21inclusive_scan_kernelILj64ELN6hipcub18BlockScanAlgorithmE0EjEvPT1_
		.amdhsa_group_segment_fixed_size 8
		.amdhsa_private_segment_fixed_size 0
		.amdhsa_kernarg_size 8
		.amdhsa_user_sgpr_count 15
		.amdhsa_user_sgpr_dispatch_ptr 0
		.amdhsa_user_sgpr_queue_ptr 0
		.amdhsa_user_sgpr_kernarg_segment_ptr 1
		.amdhsa_user_sgpr_dispatch_id 0
		.amdhsa_user_sgpr_private_segment_size 0
		.amdhsa_wavefront_size32 1
		.amdhsa_uses_dynamic_stack 0
		.amdhsa_enable_private_segment 0
		.amdhsa_system_sgpr_workgroup_id_x 1
		.amdhsa_system_sgpr_workgroup_id_y 0
		.amdhsa_system_sgpr_workgroup_id_z 0
		.amdhsa_system_sgpr_workgroup_info 0
		.amdhsa_system_vgpr_workitem_id 0
		.amdhsa_next_free_vgpr 9
		.amdhsa_next_free_sgpr 16
		.amdhsa_reserve_vcc 1
		.amdhsa_float_round_mode_32 0
		.amdhsa_float_round_mode_16_64 0
		.amdhsa_float_denorm_mode_32 3
		.amdhsa_float_denorm_mode_16_64 3
		.amdhsa_dx10_clamp 1
		.amdhsa_ieee_mode 1
		.amdhsa_fp16_overflow 0
		.amdhsa_workgroup_processor_mode 1
		.amdhsa_memory_ordered 1
		.amdhsa_forward_progress 0
		.amdhsa_shared_vgpr_count 0
		.amdhsa_exception_fp_ieee_invalid_op 0
		.amdhsa_exception_fp_denorm_src 0
		.amdhsa_exception_fp_ieee_div_zero 0
		.amdhsa_exception_fp_ieee_overflow 0
		.amdhsa_exception_fp_ieee_underflow 0
		.amdhsa_exception_fp_ieee_inexact 0
		.amdhsa_exception_int_div_zero 0
	.end_amdhsa_kernel
	.section	.text._Z21inclusive_scan_kernelILj64ELN6hipcub18BlockScanAlgorithmE0EjEvPT1_,"axG",@progbits,_Z21inclusive_scan_kernelILj64ELN6hipcub18BlockScanAlgorithmE0EjEvPT1_,comdat
.Lfunc_end15:
	.size	_Z21inclusive_scan_kernelILj64ELN6hipcub18BlockScanAlgorithmE0EjEvPT1_, .Lfunc_end15-_Z21inclusive_scan_kernelILj64ELN6hipcub18BlockScanAlgorithmE0EjEvPT1_
                                        ; -- End function
	.section	.AMDGPU.csdata,"",@progbits
; Kernel info:
; codeLenInByte = 420
; NumSgprs: 18
; NumVgprs: 9
; ScratchSize: 0
; MemoryBound: 0
; FloatMode: 240
; IeeeMode: 1
; LDSByteSize: 8 bytes/workgroup (compile time only)
; SGPRBlocks: 2
; VGPRBlocks: 1
; NumSGPRsForWavesPerEU: 18
; NumVGPRsForWavesPerEU: 9
; Occupancy: 16
; WaveLimiterHint : 0
; COMPUTE_PGM_RSRC2:SCRATCH_EN: 0
; COMPUTE_PGM_RSRC2:USER_SGPR: 15
; COMPUTE_PGM_RSRC2:TRAP_HANDLER: 0
; COMPUTE_PGM_RSRC2:TGID_X_EN: 1
; COMPUTE_PGM_RSRC2:TGID_Y_EN: 0
; COMPUTE_PGM_RSRC2:TGID_Z_EN: 0
; COMPUTE_PGM_RSRC2:TIDIG_COMP_CNT: 0
	.section	.text._Z21inclusive_scan_kernelILj255ELN6hipcub18BlockScanAlgorithmE0EiEvPT1_,"axG",@progbits,_Z21inclusive_scan_kernelILj255ELN6hipcub18BlockScanAlgorithmE0EiEvPT1_,comdat
	.protected	_Z21inclusive_scan_kernelILj255ELN6hipcub18BlockScanAlgorithmE0EiEvPT1_ ; -- Begin function _Z21inclusive_scan_kernelILj255ELN6hipcub18BlockScanAlgorithmE0EiEvPT1_
	.globl	_Z21inclusive_scan_kernelILj255ELN6hipcub18BlockScanAlgorithmE0EiEvPT1_
	.p2align	8
	.type	_Z21inclusive_scan_kernelILj255ELN6hipcub18BlockScanAlgorithmE0EiEvPT1_,@function
_Z21inclusive_scan_kernelILj255ELN6hipcub18BlockScanAlgorithmE0EiEvPT1_: ; @_Z21inclusive_scan_kernelILj255ELN6hipcub18BlockScanAlgorithmE0EiEvPT1_
; %bb.0:
	s_load_b64 s[0:1], s[0:1], 0x0
	v_mad_u64_u32 v[1:2], null, 0xff, s15, v[0:1]
	v_mov_b32_e32 v2, 0
	v_mbcnt_lo_u32_b32 v5, -1, 0
	s_delay_alu instid0(VALU_DEP_1) | instskip(NEXT) | instid1(VALU_DEP_3)
	v_and_b32_e32 v4, 15, v5
	v_lshlrev_b64 v[1:2], 2, v[1:2]
	v_bfe_i32 v7, v5, 4, 1
	s_waitcnt lgkmcnt(0)
	s_delay_alu instid0(VALU_DEP_2) | instskip(NEXT) | instid1(VALU_DEP_3)
	v_add_co_u32 v1, vcc_lo, s0, v1
	v_add_co_ci_u32_e32 v2, vcc_lo, s1, v2, vcc_lo
	v_cmp_ne_u32_e32 vcc_lo, 0, v4
	s_mov_b32 s0, exec_lo
	global_load_b32 v3, v[1:2], off
	s_waitcnt vmcnt(0)
	v_mov_b32_dpp v6, v3 row_shr:1 row_mask:0xf bank_mask:0xf
	s_delay_alu instid0(VALU_DEP_1) | instskip(SKIP_1) | instid1(VALU_DEP_2)
	v_cndmask_b32_e32 v6, 0, v6, vcc_lo
	v_cmp_lt_u32_e32 vcc_lo, 1, v4
	v_add_nc_u32_e32 v3, v6, v3
	s_delay_alu instid0(VALU_DEP_1) | instskip(NEXT) | instid1(VALU_DEP_1)
	v_mov_b32_dpp v6, v3 row_shr:2 row_mask:0xf bank_mask:0xf
	v_cndmask_b32_e32 v6, 0, v6, vcc_lo
	v_cmp_lt_u32_e32 vcc_lo, 3, v4
	s_delay_alu instid0(VALU_DEP_2) | instskip(NEXT) | instid1(VALU_DEP_1)
	v_add_nc_u32_e32 v3, v3, v6
	v_mov_b32_dpp v6, v3 row_shr:4 row_mask:0xf bank_mask:0xf
	s_delay_alu instid0(VALU_DEP_1) | instskip(SKIP_1) | instid1(VALU_DEP_2)
	v_cndmask_b32_e32 v6, 0, v6, vcc_lo
	v_cmp_lt_u32_e32 vcc_lo, 7, v4
	v_add_nc_u32_e32 v3, v3, v6
	s_delay_alu instid0(VALU_DEP_1) | instskip(NEXT) | instid1(VALU_DEP_1)
	v_mov_b32_dpp v6, v3 row_shr:8 row_mask:0xf bank_mask:0xf
	v_cndmask_b32_e32 v4, 0, v6, vcc_lo
	v_and_b32_e32 v6, 0xe0, v0
	s_delay_alu instid0(VALU_DEP_2) | instskip(NEXT) | instid1(VALU_DEP_2)
	v_add_nc_u32_e32 v3, v3, v4
	v_min_u32_e32 v6, 0xdf, v6
	ds_swizzle_b32 v4, v3 offset:swizzle(BROADCAST,32,15)
	v_add_nc_u32_e32 v6, 31, v6
	s_waitcnt lgkmcnt(0)
	v_and_b32_e32 v7, v7, v4
	v_lshrrev_b32_e32 v4, 5, v0
	s_delay_alu instid0(VALU_DEP_2)
	v_add_nc_u32_e32 v3, v3, v7
	v_cmpx_eq_u32_e64 v6, v0
	s_cbranch_execz .LBB16_2
; %bb.1:
	s_delay_alu instid0(VALU_DEP_3)
	v_lshlrev_b32_e32 v6, 2, v4
	ds_store_b32 v6, v3
.LBB16_2:
	s_or_b32 exec_lo, exec_lo, s0
	s_delay_alu instid0(SALU_CYCLE_1)
	s_mov_b32 s0, exec_lo
	s_waitcnt lgkmcnt(0)
	s_barrier
	buffer_gl0_inv
	v_cmpx_gt_u32_e32 8, v0
	s_cbranch_execz .LBB16_4
; %bb.3:
	v_lshlrev_b32_e32 v6, 2, v0
	ds_load_b32 v7, v6
	s_waitcnt lgkmcnt(0)
	v_mov_b32_dpp v8, v7 row_shr:1 row_mask:0xf bank_mask:0xf
	v_and_b32_e32 v5, 7, v5
	s_delay_alu instid0(VALU_DEP_1) | instskip(NEXT) | instid1(VALU_DEP_3)
	v_cmp_ne_u32_e32 vcc_lo, 0, v5
	v_cndmask_b32_e32 v8, 0, v8, vcc_lo
	v_cmp_lt_u32_e32 vcc_lo, 1, v5
	s_delay_alu instid0(VALU_DEP_2) | instskip(NEXT) | instid1(VALU_DEP_1)
	v_add_nc_u32_e32 v7, v8, v7
	v_mov_b32_dpp v8, v7 row_shr:2 row_mask:0xf bank_mask:0xf
	s_delay_alu instid0(VALU_DEP_1) | instskip(SKIP_1) | instid1(VALU_DEP_2)
	v_cndmask_b32_e32 v8, 0, v8, vcc_lo
	v_cmp_lt_u32_e32 vcc_lo, 3, v5
	v_add_nc_u32_e32 v7, v7, v8
	s_delay_alu instid0(VALU_DEP_1) | instskip(NEXT) | instid1(VALU_DEP_1)
	v_mov_b32_dpp v8, v7 row_shr:4 row_mask:0xf bank_mask:0xf
	v_cndmask_b32_e32 v5, 0, v8, vcc_lo
	s_delay_alu instid0(VALU_DEP_1)
	v_add_nc_u32_e32 v5, v7, v5
	ds_store_b32 v6, v5
.LBB16_4:
	s_or_b32 exec_lo, exec_lo, s0
	s_delay_alu instid0(SALU_CYCLE_1)
	s_mov_b32 s0, exec_lo
	s_waitcnt lgkmcnt(0)
	s_barrier
	buffer_gl0_inv
	v_cmpx_lt_u32_e32 31, v0
	s_cbranch_execz .LBB16_6
; %bb.5:
	v_lshl_add_u32 v0, v4, 2, -4
	ds_load_b32 v0, v0
	s_waitcnt lgkmcnt(0)
	v_add_nc_u32_e32 v3, v0, v3
.LBB16_6:
	s_or_b32 exec_lo, exec_lo, s0
	global_store_b32 v[1:2], v3, off
	s_nop 0
	s_sendmsg sendmsg(MSG_DEALLOC_VGPRS)
	s_endpgm
	.section	.rodata,"a",@progbits
	.p2align	6, 0x0
	.amdhsa_kernel _Z21inclusive_scan_kernelILj255ELN6hipcub18BlockScanAlgorithmE0EiEvPT1_
		.amdhsa_group_segment_fixed_size 32
		.amdhsa_private_segment_fixed_size 0
		.amdhsa_kernarg_size 8
		.amdhsa_user_sgpr_count 15
		.amdhsa_user_sgpr_dispatch_ptr 0
		.amdhsa_user_sgpr_queue_ptr 0
		.amdhsa_user_sgpr_kernarg_segment_ptr 1
		.amdhsa_user_sgpr_dispatch_id 0
		.amdhsa_user_sgpr_private_segment_size 0
		.amdhsa_wavefront_size32 1
		.amdhsa_uses_dynamic_stack 0
		.amdhsa_enable_private_segment 0
		.amdhsa_system_sgpr_workgroup_id_x 1
		.amdhsa_system_sgpr_workgroup_id_y 0
		.amdhsa_system_sgpr_workgroup_id_z 0
		.amdhsa_system_sgpr_workgroup_info 0
		.amdhsa_system_vgpr_workitem_id 0
		.amdhsa_next_free_vgpr 9
		.amdhsa_next_free_sgpr 16
		.amdhsa_reserve_vcc 1
		.amdhsa_float_round_mode_32 0
		.amdhsa_float_round_mode_16_64 0
		.amdhsa_float_denorm_mode_32 3
		.amdhsa_float_denorm_mode_16_64 3
		.amdhsa_dx10_clamp 1
		.amdhsa_ieee_mode 1
		.amdhsa_fp16_overflow 0
		.amdhsa_workgroup_processor_mode 1
		.amdhsa_memory_ordered 1
		.amdhsa_forward_progress 0
		.amdhsa_shared_vgpr_count 0
		.amdhsa_exception_fp_ieee_invalid_op 0
		.amdhsa_exception_fp_denorm_src 0
		.amdhsa_exception_fp_ieee_div_zero 0
		.amdhsa_exception_fp_ieee_overflow 0
		.amdhsa_exception_fp_ieee_underflow 0
		.amdhsa_exception_fp_ieee_inexact 0
		.amdhsa_exception_int_div_zero 0
	.end_amdhsa_kernel
	.section	.text._Z21inclusive_scan_kernelILj255ELN6hipcub18BlockScanAlgorithmE0EiEvPT1_,"axG",@progbits,_Z21inclusive_scan_kernelILj255ELN6hipcub18BlockScanAlgorithmE0EiEvPT1_,comdat
.Lfunc_end16:
	.size	_Z21inclusive_scan_kernelILj255ELN6hipcub18BlockScanAlgorithmE0EiEvPT1_, .Lfunc_end16-_Z21inclusive_scan_kernelILj255ELN6hipcub18BlockScanAlgorithmE0EiEvPT1_
                                        ; -- End function
	.section	.AMDGPU.csdata,"",@progbits
; Kernel info:
; codeLenInByte = 500
; NumSgprs: 18
; NumVgprs: 9
; ScratchSize: 0
; MemoryBound: 0
; FloatMode: 240
; IeeeMode: 1
; LDSByteSize: 32 bytes/workgroup (compile time only)
; SGPRBlocks: 2
; VGPRBlocks: 1
; NumSGPRsForWavesPerEU: 18
; NumVGPRsForWavesPerEU: 9
; Occupancy: 16
; WaveLimiterHint : 0
; COMPUTE_PGM_RSRC2:SCRATCH_EN: 0
; COMPUTE_PGM_RSRC2:USER_SGPR: 15
; COMPUTE_PGM_RSRC2:TRAP_HANDLER: 0
; COMPUTE_PGM_RSRC2:TGID_X_EN: 1
; COMPUTE_PGM_RSRC2:TGID_Y_EN: 0
; COMPUTE_PGM_RSRC2:TGID_Z_EN: 0
; COMPUTE_PGM_RSRC2:TIDIG_COMP_CNT: 0
	.section	.text._Z21inclusive_scan_kernelILj162ELN6hipcub18BlockScanAlgorithmE0EiEvPT1_,"axG",@progbits,_Z21inclusive_scan_kernelILj162ELN6hipcub18BlockScanAlgorithmE0EiEvPT1_,comdat
	.protected	_Z21inclusive_scan_kernelILj162ELN6hipcub18BlockScanAlgorithmE0EiEvPT1_ ; -- Begin function _Z21inclusive_scan_kernelILj162ELN6hipcub18BlockScanAlgorithmE0EiEvPT1_
	.globl	_Z21inclusive_scan_kernelILj162ELN6hipcub18BlockScanAlgorithmE0EiEvPT1_
	.p2align	8
	.type	_Z21inclusive_scan_kernelILj162ELN6hipcub18BlockScanAlgorithmE0EiEvPT1_,@function
_Z21inclusive_scan_kernelILj162ELN6hipcub18BlockScanAlgorithmE0EiEvPT1_: ; @_Z21inclusive_scan_kernelILj162ELN6hipcub18BlockScanAlgorithmE0EiEvPT1_
; %bb.0:
	s_load_b64 s[0:1], s[0:1], 0x0
	v_mad_u64_u32 v[1:2], null, 0xa2, s15, v[0:1]
	v_mov_b32_e32 v2, 0
	v_mbcnt_lo_u32_b32 v5, -1, 0
	s_delay_alu instid0(VALU_DEP_1) | instskip(NEXT) | instid1(VALU_DEP_3)
	v_and_b32_e32 v4, 15, v5
	v_lshlrev_b64 v[1:2], 2, v[1:2]
	v_bfe_i32 v7, v5, 4, 1
	s_waitcnt lgkmcnt(0)
	s_delay_alu instid0(VALU_DEP_2) | instskip(NEXT) | instid1(VALU_DEP_3)
	v_add_co_u32 v1, vcc_lo, s0, v1
	v_add_co_ci_u32_e32 v2, vcc_lo, s1, v2, vcc_lo
	v_cmp_ne_u32_e32 vcc_lo, 0, v4
	s_mov_b32 s0, exec_lo
	global_load_b32 v3, v[1:2], off
	s_waitcnt vmcnt(0)
	v_mov_b32_dpp v6, v3 row_shr:1 row_mask:0xf bank_mask:0xf
	s_delay_alu instid0(VALU_DEP_1) | instskip(SKIP_1) | instid1(VALU_DEP_2)
	v_cndmask_b32_e32 v6, 0, v6, vcc_lo
	v_cmp_lt_u32_e32 vcc_lo, 1, v4
	v_add_nc_u32_e32 v3, v6, v3
	s_delay_alu instid0(VALU_DEP_1) | instskip(NEXT) | instid1(VALU_DEP_1)
	v_mov_b32_dpp v6, v3 row_shr:2 row_mask:0xf bank_mask:0xf
	v_cndmask_b32_e32 v6, 0, v6, vcc_lo
	v_cmp_lt_u32_e32 vcc_lo, 3, v4
	s_delay_alu instid0(VALU_DEP_2) | instskip(NEXT) | instid1(VALU_DEP_1)
	v_add_nc_u32_e32 v3, v3, v6
	v_mov_b32_dpp v6, v3 row_shr:4 row_mask:0xf bank_mask:0xf
	s_delay_alu instid0(VALU_DEP_1) | instskip(SKIP_1) | instid1(VALU_DEP_2)
	v_cndmask_b32_e32 v6, 0, v6, vcc_lo
	v_cmp_lt_u32_e32 vcc_lo, 7, v4
	v_add_nc_u32_e32 v3, v3, v6
	s_delay_alu instid0(VALU_DEP_1) | instskip(NEXT) | instid1(VALU_DEP_1)
	v_mov_b32_dpp v6, v3 row_shr:8 row_mask:0xf bank_mask:0xf
	v_cndmask_b32_e32 v4, 0, v6, vcc_lo
	v_and_b32_e32 v6, 0xe0, v0
	s_delay_alu instid0(VALU_DEP_2) | instskip(NEXT) | instid1(VALU_DEP_2)
	v_add_nc_u32_e32 v3, v3, v4
	v_min_u32_e32 v6, 0x82, v6
	ds_swizzle_b32 v4, v3 offset:swizzle(BROADCAST,32,15)
	v_add_nc_u32_e32 v6, 31, v6
	s_waitcnt lgkmcnt(0)
	v_and_b32_e32 v7, v7, v4
	v_lshrrev_b32_e32 v4, 5, v0
	s_delay_alu instid0(VALU_DEP_2)
	v_add_nc_u32_e32 v3, v3, v7
	v_cmpx_eq_u32_e64 v6, v0
	s_cbranch_execz .LBB17_2
; %bb.1:
	s_delay_alu instid0(VALU_DEP_3)
	v_lshlrev_b32_e32 v6, 2, v4
	ds_store_b32 v6, v3
.LBB17_2:
	s_or_b32 exec_lo, exec_lo, s0
	s_delay_alu instid0(SALU_CYCLE_1)
	s_mov_b32 s0, exec_lo
	s_waitcnt lgkmcnt(0)
	s_barrier
	buffer_gl0_inv
	v_cmpx_gt_u32_e32 6, v0
	s_cbranch_execz .LBB17_4
; %bb.3:
	v_lshlrev_b32_e32 v6, 2, v0
	ds_load_b32 v7, v6
	s_waitcnt lgkmcnt(0)
	v_mov_b32_dpp v8, v7 row_shr:1 row_mask:0xf bank_mask:0xf
	v_and_b32_e32 v5, 7, v5
	s_delay_alu instid0(VALU_DEP_1) | instskip(NEXT) | instid1(VALU_DEP_3)
	v_cmp_ne_u32_e32 vcc_lo, 0, v5
	v_cndmask_b32_e32 v8, 0, v8, vcc_lo
	v_cmp_lt_u32_e32 vcc_lo, 1, v5
	s_delay_alu instid0(VALU_DEP_2) | instskip(NEXT) | instid1(VALU_DEP_1)
	v_add_nc_u32_e32 v7, v8, v7
	v_mov_b32_dpp v8, v7 row_shr:2 row_mask:0xf bank_mask:0xf
	s_delay_alu instid0(VALU_DEP_1) | instskip(SKIP_1) | instid1(VALU_DEP_2)
	v_cndmask_b32_e32 v8, 0, v8, vcc_lo
	v_cmp_lt_u32_e32 vcc_lo, 3, v5
	v_add_nc_u32_e32 v7, v7, v8
	s_delay_alu instid0(VALU_DEP_1) | instskip(NEXT) | instid1(VALU_DEP_1)
	v_mov_b32_dpp v8, v7 row_shr:4 row_mask:0xf bank_mask:0xf
	v_cndmask_b32_e32 v5, 0, v8, vcc_lo
	s_delay_alu instid0(VALU_DEP_1)
	v_add_nc_u32_e32 v5, v7, v5
	ds_store_b32 v6, v5
.LBB17_4:
	s_or_b32 exec_lo, exec_lo, s0
	s_delay_alu instid0(SALU_CYCLE_1)
	s_mov_b32 s0, exec_lo
	s_waitcnt lgkmcnt(0)
	s_barrier
	buffer_gl0_inv
	v_cmpx_lt_u32_e32 31, v0
	s_cbranch_execz .LBB17_6
; %bb.5:
	v_lshl_add_u32 v0, v4, 2, -4
	ds_load_b32 v0, v0
	s_waitcnt lgkmcnt(0)
	v_add_nc_u32_e32 v3, v0, v3
.LBB17_6:
	s_or_b32 exec_lo, exec_lo, s0
	global_store_b32 v[1:2], v3, off
	s_nop 0
	s_sendmsg sendmsg(MSG_DEALLOC_VGPRS)
	s_endpgm
	.section	.rodata,"a",@progbits
	.p2align	6, 0x0
	.amdhsa_kernel _Z21inclusive_scan_kernelILj162ELN6hipcub18BlockScanAlgorithmE0EiEvPT1_
		.amdhsa_group_segment_fixed_size 24
		.amdhsa_private_segment_fixed_size 0
		.amdhsa_kernarg_size 8
		.amdhsa_user_sgpr_count 15
		.amdhsa_user_sgpr_dispatch_ptr 0
		.amdhsa_user_sgpr_queue_ptr 0
		.amdhsa_user_sgpr_kernarg_segment_ptr 1
		.amdhsa_user_sgpr_dispatch_id 0
		.amdhsa_user_sgpr_private_segment_size 0
		.amdhsa_wavefront_size32 1
		.amdhsa_uses_dynamic_stack 0
		.amdhsa_enable_private_segment 0
		.amdhsa_system_sgpr_workgroup_id_x 1
		.amdhsa_system_sgpr_workgroup_id_y 0
		.amdhsa_system_sgpr_workgroup_id_z 0
		.amdhsa_system_sgpr_workgroup_info 0
		.amdhsa_system_vgpr_workitem_id 0
		.amdhsa_next_free_vgpr 9
		.amdhsa_next_free_sgpr 16
		.amdhsa_reserve_vcc 1
		.amdhsa_float_round_mode_32 0
		.amdhsa_float_round_mode_16_64 0
		.amdhsa_float_denorm_mode_32 3
		.amdhsa_float_denorm_mode_16_64 3
		.amdhsa_dx10_clamp 1
		.amdhsa_ieee_mode 1
		.amdhsa_fp16_overflow 0
		.amdhsa_workgroup_processor_mode 1
		.amdhsa_memory_ordered 1
		.amdhsa_forward_progress 0
		.amdhsa_shared_vgpr_count 0
		.amdhsa_exception_fp_ieee_invalid_op 0
		.amdhsa_exception_fp_denorm_src 0
		.amdhsa_exception_fp_ieee_div_zero 0
		.amdhsa_exception_fp_ieee_overflow 0
		.amdhsa_exception_fp_ieee_underflow 0
		.amdhsa_exception_fp_ieee_inexact 0
		.amdhsa_exception_int_div_zero 0
	.end_amdhsa_kernel
	.section	.text._Z21inclusive_scan_kernelILj162ELN6hipcub18BlockScanAlgorithmE0EiEvPT1_,"axG",@progbits,_Z21inclusive_scan_kernelILj162ELN6hipcub18BlockScanAlgorithmE0EiEvPT1_,comdat
.Lfunc_end17:
	.size	_Z21inclusive_scan_kernelILj162ELN6hipcub18BlockScanAlgorithmE0EiEvPT1_, .Lfunc_end17-_Z21inclusive_scan_kernelILj162ELN6hipcub18BlockScanAlgorithmE0EiEvPT1_
                                        ; -- End function
	.section	.AMDGPU.csdata,"",@progbits
; Kernel info:
; codeLenInByte = 500
; NumSgprs: 18
; NumVgprs: 9
; ScratchSize: 0
; MemoryBound: 0
; FloatMode: 240
; IeeeMode: 1
; LDSByteSize: 24 bytes/workgroup (compile time only)
; SGPRBlocks: 2
; VGPRBlocks: 1
; NumSGPRsForWavesPerEU: 18
; NumVGPRsForWavesPerEU: 9
; Occupancy: 15
; WaveLimiterHint : 0
; COMPUTE_PGM_RSRC2:SCRATCH_EN: 0
; COMPUTE_PGM_RSRC2:USER_SGPR: 15
; COMPUTE_PGM_RSRC2:TRAP_HANDLER: 0
; COMPUTE_PGM_RSRC2:TGID_X_EN: 1
; COMPUTE_PGM_RSRC2:TGID_Y_EN: 0
; COMPUTE_PGM_RSRC2:TGID_Z_EN: 0
; COMPUTE_PGM_RSRC2:TIDIG_COMP_CNT: 0
	.section	.text._Z21inclusive_scan_kernelILj37ELN6hipcub18BlockScanAlgorithmE0EiEvPT1_,"axG",@progbits,_Z21inclusive_scan_kernelILj37ELN6hipcub18BlockScanAlgorithmE0EiEvPT1_,comdat
	.protected	_Z21inclusive_scan_kernelILj37ELN6hipcub18BlockScanAlgorithmE0EiEvPT1_ ; -- Begin function _Z21inclusive_scan_kernelILj37ELN6hipcub18BlockScanAlgorithmE0EiEvPT1_
	.globl	_Z21inclusive_scan_kernelILj37ELN6hipcub18BlockScanAlgorithmE0EiEvPT1_
	.p2align	8
	.type	_Z21inclusive_scan_kernelILj37ELN6hipcub18BlockScanAlgorithmE0EiEvPT1_,@function
_Z21inclusive_scan_kernelILj37ELN6hipcub18BlockScanAlgorithmE0EiEvPT1_: ; @_Z21inclusive_scan_kernelILj37ELN6hipcub18BlockScanAlgorithmE0EiEvPT1_
; %bb.0:
	s_load_b64 s[0:1], s[0:1], 0x0
	v_mad_u64_u32 v[1:2], null, s15, 37, v[0:1]
	v_mbcnt_lo_u32_b32 v3, -1, 0
	s_delay_alu instid0(VALU_DEP_1) | instskip(NEXT) | instid1(VALU_DEP_1)
	v_dual_mov_b32 v2, 0 :: v_dual_and_b32 v5, 15, v3
	v_lshlrev_b64 v[1:2], 2, v[1:2]
	v_bfe_i32 v7, v3, 4, 1
	s_waitcnt lgkmcnt(0)
	s_delay_alu instid0(VALU_DEP_2) | instskip(NEXT) | instid1(VALU_DEP_3)
	v_add_co_u32 v1, vcc_lo, s0, v1
	v_add_co_ci_u32_e32 v2, vcc_lo, s1, v2, vcc_lo
	v_cmp_ne_u32_e32 vcc_lo, 0, v5
	s_mov_b32 s0, exec_lo
	global_load_b32 v4, v[1:2], off
	s_waitcnt vmcnt(0)
	v_mov_b32_dpp v6, v4 row_shr:1 row_mask:0xf bank_mask:0xf
	s_delay_alu instid0(VALU_DEP_1) | instskip(SKIP_1) | instid1(VALU_DEP_2)
	v_cndmask_b32_e32 v6, 0, v6, vcc_lo
	v_cmp_lt_u32_e32 vcc_lo, 1, v5
	v_add_nc_u32_e32 v4, v6, v4
	s_delay_alu instid0(VALU_DEP_1) | instskip(NEXT) | instid1(VALU_DEP_1)
	v_mov_b32_dpp v6, v4 row_shr:2 row_mask:0xf bank_mask:0xf
	v_cndmask_b32_e32 v6, 0, v6, vcc_lo
	v_cmp_lt_u32_e32 vcc_lo, 3, v5
	s_delay_alu instid0(VALU_DEP_2) | instskip(NEXT) | instid1(VALU_DEP_1)
	v_add_nc_u32_e32 v4, v4, v6
	v_mov_b32_dpp v6, v4 row_shr:4 row_mask:0xf bank_mask:0xf
	s_delay_alu instid0(VALU_DEP_1) | instskip(SKIP_1) | instid1(VALU_DEP_2)
	v_cndmask_b32_e32 v6, 0, v6, vcc_lo
	v_cmp_lt_u32_e32 vcc_lo, 7, v5
	v_add_nc_u32_e32 v4, v4, v6
	s_delay_alu instid0(VALU_DEP_1) | instskip(NEXT) | instid1(VALU_DEP_1)
	v_mov_b32_dpp v6, v4 row_shr:8 row_mask:0xf bank_mask:0xf
	v_dual_cndmask_b32 v5, 0, v6 :: v_dual_and_b32 v6, 32, v0
	s_delay_alu instid0(VALU_DEP_1) | instskip(NEXT) | instid1(VALU_DEP_2)
	v_add_nc_u32_e32 v4, v4, v5
	v_min_u32_e32 v6, 5, v6
	ds_swizzle_b32 v5, v4 offset:swizzle(BROADCAST,32,15)
	v_add_nc_u32_e32 v6, 31, v6
	s_waitcnt lgkmcnt(0)
	v_and_b32_e32 v7, v7, v5
	v_lshrrev_b32_e32 v5, 5, v0
	s_delay_alu instid0(VALU_DEP_2)
	v_add_nc_u32_e32 v4, v4, v7
	v_cmpx_eq_u32_e64 v6, v0
	s_cbranch_execz .LBB18_2
; %bb.1:
	s_delay_alu instid0(VALU_DEP_3)
	v_lshlrev_b32_e32 v6, 2, v5
	ds_store_b32 v6, v4
.LBB18_2:
	s_or_b32 exec_lo, exec_lo, s0
	s_delay_alu instid0(SALU_CYCLE_1)
	s_mov_b32 s0, exec_lo
	s_waitcnt lgkmcnt(0)
	s_barrier
	buffer_gl0_inv
	v_cmpx_gt_u32_e32 2, v0
	s_cbranch_execz .LBB18_4
; %bb.3:
	v_lshlrev_b32_e32 v6, 2, v0
	v_bfe_i32 v3, v3, 0, 1
	ds_load_b32 v7, v6
	s_waitcnt lgkmcnt(0)
	v_mov_b32_dpp v8, v7 row_shr:1 row_mask:0xf bank_mask:0xf
	s_delay_alu instid0(VALU_DEP_1) | instskip(NEXT) | instid1(VALU_DEP_1)
	v_and_b32_e32 v3, v3, v8
	v_add_nc_u32_e32 v3, v3, v7
	ds_store_b32 v6, v3
.LBB18_4:
	s_or_b32 exec_lo, exec_lo, s0
	s_delay_alu instid0(SALU_CYCLE_1)
	s_mov_b32 s0, exec_lo
	s_waitcnt lgkmcnt(0)
	s_barrier
	buffer_gl0_inv
	v_cmpx_lt_u32_e32 31, v0
	s_cbranch_execz .LBB18_6
; %bb.5:
	v_lshl_add_u32 v0, v5, 2, -4
	ds_load_b32 v0, v0
	s_waitcnt lgkmcnt(0)
	v_add_nc_u32_e32 v4, v0, v4
.LBB18_6:
	s_or_b32 exec_lo, exec_lo, s0
	global_store_b32 v[1:2], v4, off
	s_nop 0
	s_sendmsg sendmsg(MSG_DEALLOC_VGPRS)
	s_endpgm
	.section	.rodata,"a",@progbits
	.p2align	6, 0x0
	.amdhsa_kernel _Z21inclusive_scan_kernelILj37ELN6hipcub18BlockScanAlgorithmE0EiEvPT1_
		.amdhsa_group_segment_fixed_size 8
		.amdhsa_private_segment_fixed_size 0
		.amdhsa_kernarg_size 8
		.amdhsa_user_sgpr_count 15
		.amdhsa_user_sgpr_dispatch_ptr 0
		.amdhsa_user_sgpr_queue_ptr 0
		.amdhsa_user_sgpr_kernarg_segment_ptr 1
		.amdhsa_user_sgpr_dispatch_id 0
		.amdhsa_user_sgpr_private_segment_size 0
		.amdhsa_wavefront_size32 1
		.amdhsa_uses_dynamic_stack 0
		.amdhsa_enable_private_segment 0
		.amdhsa_system_sgpr_workgroup_id_x 1
		.amdhsa_system_sgpr_workgroup_id_y 0
		.amdhsa_system_sgpr_workgroup_id_z 0
		.amdhsa_system_sgpr_workgroup_info 0
		.amdhsa_system_vgpr_workitem_id 0
		.amdhsa_next_free_vgpr 9
		.amdhsa_next_free_sgpr 16
		.amdhsa_reserve_vcc 1
		.amdhsa_float_round_mode_32 0
		.amdhsa_float_round_mode_16_64 0
		.amdhsa_float_denorm_mode_32 3
		.amdhsa_float_denorm_mode_16_64 3
		.amdhsa_dx10_clamp 1
		.amdhsa_ieee_mode 1
		.amdhsa_fp16_overflow 0
		.amdhsa_workgroup_processor_mode 1
		.amdhsa_memory_ordered 1
		.amdhsa_forward_progress 0
		.amdhsa_shared_vgpr_count 0
		.amdhsa_exception_fp_ieee_invalid_op 0
		.amdhsa_exception_fp_denorm_src 0
		.amdhsa_exception_fp_ieee_div_zero 0
		.amdhsa_exception_fp_ieee_overflow 0
		.amdhsa_exception_fp_ieee_underflow 0
		.amdhsa_exception_fp_ieee_inexact 0
		.amdhsa_exception_int_div_zero 0
	.end_amdhsa_kernel
	.section	.text._Z21inclusive_scan_kernelILj37ELN6hipcub18BlockScanAlgorithmE0EiEvPT1_,"axG",@progbits,_Z21inclusive_scan_kernelILj37ELN6hipcub18BlockScanAlgorithmE0EiEvPT1_,comdat
.Lfunc_end18:
	.size	_Z21inclusive_scan_kernelILj37ELN6hipcub18BlockScanAlgorithmE0EiEvPT1_, .Lfunc_end18-_Z21inclusive_scan_kernelILj37ELN6hipcub18BlockScanAlgorithmE0EiEvPT1_
                                        ; -- End function
	.section	.AMDGPU.csdata,"",@progbits
; Kernel info:
; codeLenInByte = 432
; NumSgprs: 18
; NumVgprs: 9
; ScratchSize: 0
; MemoryBound: 0
; FloatMode: 240
; IeeeMode: 1
; LDSByteSize: 8 bytes/workgroup (compile time only)
; SGPRBlocks: 2
; VGPRBlocks: 1
; NumSGPRsForWavesPerEU: 18
; NumVGPRsForWavesPerEU: 9
; Occupancy: 16
; WaveLimiterHint : 0
; COMPUTE_PGM_RSRC2:SCRATCH_EN: 0
; COMPUTE_PGM_RSRC2:USER_SGPR: 15
; COMPUTE_PGM_RSRC2:TRAP_HANDLER: 0
; COMPUTE_PGM_RSRC2:TGID_X_EN: 1
; COMPUTE_PGM_RSRC2:TGID_Y_EN: 0
; COMPUTE_PGM_RSRC2:TGID_Z_EN: 0
; COMPUTE_PGM_RSRC2:TIDIG_COMP_CNT: 0
	.section	.text._Z21inclusive_scan_kernelILj65ELN6hipcub18BlockScanAlgorithmE0EiEvPT1_,"axG",@progbits,_Z21inclusive_scan_kernelILj65ELN6hipcub18BlockScanAlgorithmE0EiEvPT1_,comdat
	.protected	_Z21inclusive_scan_kernelILj65ELN6hipcub18BlockScanAlgorithmE0EiEvPT1_ ; -- Begin function _Z21inclusive_scan_kernelILj65ELN6hipcub18BlockScanAlgorithmE0EiEvPT1_
	.globl	_Z21inclusive_scan_kernelILj65ELN6hipcub18BlockScanAlgorithmE0EiEvPT1_
	.p2align	8
	.type	_Z21inclusive_scan_kernelILj65ELN6hipcub18BlockScanAlgorithmE0EiEvPT1_,@function
_Z21inclusive_scan_kernelILj65ELN6hipcub18BlockScanAlgorithmE0EiEvPT1_: ; @_Z21inclusive_scan_kernelILj65ELN6hipcub18BlockScanAlgorithmE0EiEvPT1_
; %bb.0:
	s_load_b64 s[0:1], s[0:1], 0x0
	v_mad_u64_u32 v[1:2], null, 0x41, s15, v[0:1]
	v_mbcnt_lo_u32_b32 v4, -1, 0
	s_delay_alu instid0(VALU_DEP_1) | instskip(NEXT) | instid1(VALU_DEP_1)
	v_dual_mov_b32 v2, 0 :: v_dual_and_b32 v5, 15, v4
	v_lshlrev_b64 v[1:2], 2, v[1:2]
	v_bfe_i32 v7, v4, 4, 1
	s_waitcnt lgkmcnt(0)
	s_delay_alu instid0(VALU_DEP_2) | instskip(NEXT) | instid1(VALU_DEP_3)
	v_add_co_u32 v1, vcc_lo, s0, v1
	v_add_co_ci_u32_e32 v2, vcc_lo, s1, v2, vcc_lo
	v_cmp_ne_u32_e32 vcc_lo, 0, v5
	s_mov_b32 s0, exec_lo
	global_load_b32 v3, v[1:2], off
	s_waitcnt vmcnt(0)
	v_mov_b32_dpp v6, v3 row_shr:1 row_mask:0xf bank_mask:0xf
	s_delay_alu instid0(VALU_DEP_1) | instskip(SKIP_1) | instid1(VALU_DEP_2)
	v_cndmask_b32_e32 v6, 0, v6, vcc_lo
	v_cmp_lt_u32_e32 vcc_lo, 1, v5
	v_add_nc_u32_e32 v3, v6, v3
	s_delay_alu instid0(VALU_DEP_1) | instskip(NEXT) | instid1(VALU_DEP_1)
	v_mov_b32_dpp v6, v3 row_shr:2 row_mask:0xf bank_mask:0xf
	v_cndmask_b32_e32 v6, 0, v6, vcc_lo
	v_cmp_lt_u32_e32 vcc_lo, 3, v5
	s_delay_alu instid0(VALU_DEP_2) | instskip(NEXT) | instid1(VALU_DEP_1)
	v_add_nc_u32_e32 v3, v3, v6
	v_mov_b32_dpp v6, v3 row_shr:4 row_mask:0xf bank_mask:0xf
	s_delay_alu instid0(VALU_DEP_1) | instskip(SKIP_1) | instid1(VALU_DEP_2)
	v_cndmask_b32_e32 v6, 0, v6, vcc_lo
	v_cmp_lt_u32_e32 vcc_lo, 7, v5
	v_add_nc_u32_e32 v3, v3, v6
	s_delay_alu instid0(VALU_DEP_1) | instskip(NEXT) | instid1(VALU_DEP_1)
	v_mov_b32_dpp v6, v3 row_shr:8 row_mask:0xf bank_mask:0xf
	v_dual_cndmask_b32 v5, 0, v6 :: v_dual_and_b32 v6, 0x60, v0
	s_delay_alu instid0(VALU_DEP_1) | instskip(NEXT) | instid1(VALU_DEP_2)
	v_add_nc_u32_e32 v3, v3, v5
	v_min_u32_e32 v6, 33, v6
	ds_swizzle_b32 v5, v3 offset:swizzle(BROADCAST,32,15)
	v_add_nc_u32_e32 v6, 31, v6
	s_waitcnt lgkmcnt(0)
	v_and_b32_e32 v7, v7, v5
	v_lshrrev_b32_e32 v5, 5, v0
	s_delay_alu instid0(VALU_DEP_2)
	v_add_nc_u32_e32 v3, v3, v7
	v_cmpx_eq_u32_e64 v6, v0
	s_cbranch_execz .LBB19_2
; %bb.1:
	s_delay_alu instid0(VALU_DEP_3)
	v_lshlrev_b32_e32 v6, 2, v5
	ds_store_b32 v6, v3
.LBB19_2:
	s_or_b32 exec_lo, exec_lo, s0
	s_delay_alu instid0(SALU_CYCLE_1)
	s_mov_b32 s0, exec_lo
	s_waitcnt lgkmcnt(0)
	s_barrier
	buffer_gl0_inv
	v_cmpx_gt_u32_e32 3, v0
	s_cbranch_execz .LBB19_4
; %bb.3:
	v_lshlrev_b32_e32 v6, 2, v0
	v_and_b32_e32 v4, 3, v4
	ds_load_b32 v7, v6
	v_cmp_ne_u32_e32 vcc_lo, 0, v4
	s_waitcnt lgkmcnt(0)
	v_mov_b32_dpp v8, v7 row_shr:1 row_mask:0xf bank_mask:0xf
	s_delay_alu instid0(VALU_DEP_1) | instskip(SKIP_1) | instid1(VALU_DEP_2)
	v_cndmask_b32_e32 v8, 0, v8, vcc_lo
	v_cmp_lt_u32_e32 vcc_lo, 1, v4
	v_add_nc_u32_e32 v7, v8, v7
	s_delay_alu instid0(VALU_DEP_1) | instskip(NEXT) | instid1(VALU_DEP_1)
	v_mov_b32_dpp v8, v7 row_shr:2 row_mask:0xf bank_mask:0xf
	v_cndmask_b32_e32 v4, 0, v8, vcc_lo
	s_delay_alu instid0(VALU_DEP_1)
	v_add_nc_u32_e32 v4, v7, v4
	ds_store_b32 v6, v4
.LBB19_4:
	s_or_b32 exec_lo, exec_lo, s0
	s_delay_alu instid0(SALU_CYCLE_1)
	s_mov_b32 s0, exec_lo
	s_waitcnt lgkmcnt(0)
	s_barrier
	buffer_gl0_inv
	v_cmpx_lt_u32_e32 31, v0
	s_cbranch_execz .LBB19_6
; %bb.5:
	v_lshl_add_u32 v0, v5, 2, -4
	ds_load_b32 v0, v0
	s_waitcnt lgkmcnt(0)
	v_add_nc_u32_e32 v3, v0, v3
.LBB19_6:
	s_or_b32 exec_lo, exec_lo, s0
	global_store_b32 v[1:2], v3, off
	s_nop 0
	s_sendmsg sendmsg(MSG_DEALLOC_VGPRS)
	s_endpgm
	.section	.rodata,"a",@progbits
	.p2align	6, 0x0
	.amdhsa_kernel _Z21inclusive_scan_kernelILj65ELN6hipcub18BlockScanAlgorithmE0EiEvPT1_
		.amdhsa_group_segment_fixed_size 12
		.amdhsa_private_segment_fixed_size 0
		.amdhsa_kernarg_size 8
		.amdhsa_user_sgpr_count 15
		.amdhsa_user_sgpr_dispatch_ptr 0
		.amdhsa_user_sgpr_queue_ptr 0
		.amdhsa_user_sgpr_kernarg_segment_ptr 1
		.amdhsa_user_sgpr_dispatch_id 0
		.amdhsa_user_sgpr_private_segment_size 0
		.amdhsa_wavefront_size32 1
		.amdhsa_uses_dynamic_stack 0
		.amdhsa_enable_private_segment 0
		.amdhsa_system_sgpr_workgroup_id_x 1
		.amdhsa_system_sgpr_workgroup_id_y 0
		.amdhsa_system_sgpr_workgroup_id_z 0
		.amdhsa_system_sgpr_workgroup_info 0
		.amdhsa_system_vgpr_workitem_id 0
		.amdhsa_next_free_vgpr 9
		.amdhsa_next_free_sgpr 16
		.amdhsa_reserve_vcc 1
		.amdhsa_float_round_mode_32 0
		.amdhsa_float_round_mode_16_64 0
		.amdhsa_float_denorm_mode_32 3
		.amdhsa_float_denorm_mode_16_64 3
		.amdhsa_dx10_clamp 1
		.amdhsa_ieee_mode 1
		.amdhsa_fp16_overflow 0
		.amdhsa_workgroup_processor_mode 1
		.amdhsa_memory_ordered 1
		.amdhsa_forward_progress 0
		.amdhsa_shared_vgpr_count 0
		.amdhsa_exception_fp_ieee_invalid_op 0
		.amdhsa_exception_fp_denorm_src 0
		.amdhsa_exception_fp_ieee_div_zero 0
		.amdhsa_exception_fp_ieee_overflow 0
		.amdhsa_exception_fp_ieee_underflow 0
		.amdhsa_exception_fp_ieee_inexact 0
		.amdhsa_exception_int_div_zero 0
	.end_amdhsa_kernel
	.section	.text._Z21inclusive_scan_kernelILj65ELN6hipcub18BlockScanAlgorithmE0EiEvPT1_,"axG",@progbits,_Z21inclusive_scan_kernelILj65ELN6hipcub18BlockScanAlgorithmE0EiEvPT1_,comdat
.Lfunc_end19:
	.size	_Z21inclusive_scan_kernelILj65ELN6hipcub18BlockScanAlgorithmE0EiEvPT1_, .Lfunc_end19-_Z21inclusive_scan_kernelILj65ELN6hipcub18BlockScanAlgorithmE0EiEvPT1_
                                        ; -- End function
	.section	.AMDGPU.csdata,"",@progbits
; Kernel info:
; codeLenInByte = 468
; NumSgprs: 18
; NumVgprs: 9
; ScratchSize: 0
; MemoryBound: 0
; FloatMode: 240
; IeeeMode: 1
; LDSByteSize: 12 bytes/workgroup (compile time only)
; SGPRBlocks: 2
; VGPRBlocks: 1
; NumSGPRsForWavesPerEU: 18
; NumVGPRsForWavesPerEU: 9
; Occupancy: 16
; WaveLimiterHint : 0
; COMPUTE_PGM_RSRC2:SCRATCH_EN: 0
; COMPUTE_PGM_RSRC2:USER_SGPR: 15
; COMPUTE_PGM_RSRC2:TRAP_HANDLER: 0
; COMPUTE_PGM_RSRC2:TGID_X_EN: 1
; COMPUTE_PGM_RSRC2:TGID_Y_EN: 0
; COMPUTE_PGM_RSRC2:TGID_Z_EN: 0
; COMPUTE_PGM_RSRC2:TIDIG_COMP_CNT: 0
	.section	.text._Z21inclusive_scan_kernelILj512ELN6hipcub18BlockScanAlgorithmE0EiEvPT1_,"axG",@progbits,_Z21inclusive_scan_kernelILj512ELN6hipcub18BlockScanAlgorithmE0EiEvPT1_,comdat
	.protected	_Z21inclusive_scan_kernelILj512ELN6hipcub18BlockScanAlgorithmE0EiEvPT1_ ; -- Begin function _Z21inclusive_scan_kernelILj512ELN6hipcub18BlockScanAlgorithmE0EiEvPT1_
	.globl	_Z21inclusive_scan_kernelILj512ELN6hipcub18BlockScanAlgorithmE0EiEvPT1_
	.p2align	8
	.type	_Z21inclusive_scan_kernelILj512ELN6hipcub18BlockScanAlgorithmE0EiEvPT1_,@function
_Z21inclusive_scan_kernelILj512ELN6hipcub18BlockScanAlgorithmE0EiEvPT1_: ; @_Z21inclusive_scan_kernelILj512ELN6hipcub18BlockScanAlgorithmE0EiEvPT1_
; %bb.0:
	s_load_b64 s[0:1], s[0:1], 0x0
	v_lshl_or_b32 v1, s15, 9, v0
	v_mbcnt_lo_u32_b32 v4, -1, 0
	v_mov_b32_e32 v2, 0
	s_mov_b32 s4, exec_lo
	s_delay_alu instid0(VALU_DEP_2) | instskip(NEXT) | instid1(VALU_DEP_2)
	v_and_b32_e32 v5, 15, v4
	v_lshlrev_b64 v[1:2], 2, v[1:2]
	v_bfe_i32 v4, v4, 4, 1
	s_delay_alu instid0(VALU_DEP_3) | instskip(SKIP_1) | instid1(VALU_DEP_3)
	v_cmp_lt_u32_e64 s2, 7, v5
	s_waitcnt lgkmcnt(0)
	v_add_co_u32 v1, vcc_lo, s0, v1
	s_delay_alu instid0(VALU_DEP_4)
	v_add_co_ci_u32_e32 v2, vcc_lo, s1, v2, vcc_lo
	v_cmp_eq_u32_e32 vcc_lo, 0, v5
	v_cmp_lt_u32_e64 s0, 1, v5
	v_cmp_lt_u32_e64 s1, 3, v5
	global_load_b32 v3, v[1:2], off
	s_waitcnt vmcnt(0)
	v_mov_b32_dpp v6, v3 row_shr:1 row_mask:0xf bank_mask:0xf
	s_delay_alu instid0(VALU_DEP_1) | instskip(NEXT) | instid1(VALU_DEP_1)
	v_cndmask_b32_e64 v6, v6, 0, vcc_lo
	v_add_nc_u32_e32 v3, v6, v3
	s_delay_alu instid0(VALU_DEP_1) | instskip(NEXT) | instid1(VALU_DEP_1)
	v_mov_b32_dpp v6, v3 row_shr:2 row_mask:0xf bank_mask:0xf
	v_cndmask_b32_e64 v6, 0, v6, s0
	s_delay_alu instid0(VALU_DEP_1) | instskip(NEXT) | instid1(VALU_DEP_1)
	v_add_nc_u32_e32 v3, v3, v6
	v_mov_b32_dpp v6, v3 row_shr:4 row_mask:0xf bank_mask:0xf
	s_delay_alu instid0(VALU_DEP_1) | instskip(NEXT) | instid1(VALU_DEP_1)
	v_cndmask_b32_e64 v6, 0, v6, s1
	v_add_nc_u32_e32 v3, v3, v6
	s_delay_alu instid0(VALU_DEP_1) | instskip(NEXT) | instid1(VALU_DEP_1)
	v_mov_b32_dpp v6, v3 row_shr:8 row_mask:0xf bank_mask:0xf
	v_cndmask_b32_e64 v5, 0, v6, s2
	v_or_b32_e32 v6, 31, v0
	s_delay_alu instid0(VALU_DEP_2) | instskip(SKIP_4) | instid1(VALU_DEP_2)
	v_add_nc_u32_e32 v3, v3, v5
	ds_swizzle_b32 v5, v3 offset:swizzle(BROADCAST,32,15)
	s_waitcnt lgkmcnt(0)
	v_and_b32_e32 v5, v4, v5
	v_lshrrev_b32_e32 v4, 5, v0
	v_add_nc_u32_e32 v3, v3, v5
	v_cmpx_eq_u32_e64 v6, v0
	s_cbranch_execz .LBB20_2
; %bb.1:
	s_delay_alu instid0(VALU_DEP_3)
	v_lshlrev_b32_e32 v5, 2, v4
	ds_store_b32 v5, v3
.LBB20_2:
	s_or_b32 exec_lo, exec_lo, s4
	s_delay_alu instid0(SALU_CYCLE_1)
	s_mov_b32 s4, exec_lo
	s_waitcnt lgkmcnt(0)
	s_barrier
	buffer_gl0_inv
	v_cmpx_gt_u32_e32 16, v0
	s_cbranch_execz .LBB20_4
; %bb.3:
	v_lshlrev_b32_e32 v5, 2, v0
	ds_load_b32 v6, v5
	s_waitcnt lgkmcnt(0)
	v_mov_b32_dpp v7, v6 row_shr:1 row_mask:0xf bank_mask:0xf
	s_delay_alu instid0(VALU_DEP_1) | instskip(NEXT) | instid1(VALU_DEP_1)
	v_cndmask_b32_e64 v7, v7, 0, vcc_lo
	v_add_nc_u32_e32 v6, v7, v6
	s_delay_alu instid0(VALU_DEP_1) | instskip(NEXT) | instid1(VALU_DEP_1)
	v_mov_b32_dpp v7, v6 row_shr:2 row_mask:0xf bank_mask:0xf
	v_cndmask_b32_e64 v7, 0, v7, s0
	s_delay_alu instid0(VALU_DEP_1) | instskip(NEXT) | instid1(VALU_DEP_1)
	v_add_nc_u32_e32 v6, v6, v7
	v_mov_b32_dpp v7, v6 row_shr:4 row_mask:0xf bank_mask:0xf
	s_delay_alu instid0(VALU_DEP_1) | instskip(NEXT) | instid1(VALU_DEP_1)
	v_cndmask_b32_e64 v7, 0, v7, s1
	v_add_nc_u32_e32 v6, v6, v7
	s_delay_alu instid0(VALU_DEP_1) | instskip(NEXT) | instid1(VALU_DEP_1)
	v_mov_b32_dpp v7, v6 row_shr:8 row_mask:0xf bank_mask:0xf
	v_cndmask_b32_e64 v7, 0, v7, s2
	s_delay_alu instid0(VALU_DEP_1)
	v_add_nc_u32_e32 v6, v6, v7
	ds_store_b32 v5, v6
.LBB20_4:
	s_or_b32 exec_lo, exec_lo, s4
	s_delay_alu instid0(SALU_CYCLE_1)
	s_mov_b32 s0, exec_lo
	s_waitcnt lgkmcnt(0)
	s_barrier
	buffer_gl0_inv
	v_cmpx_lt_u32_e32 31, v0
	s_cbranch_execz .LBB20_6
; %bb.5:
	v_lshl_add_u32 v0, v4, 2, -4
	ds_load_b32 v0, v0
	s_waitcnt lgkmcnt(0)
	v_add_nc_u32_e32 v3, v0, v3
.LBB20_6:
	s_or_b32 exec_lo, exec_lo, s0
	global_store_b32 v[1:2], v3, off
	s_nop 0
	s_sendmsg sendmsg(MSG_DEALLOC_VGPRS)
	s_endpgm
	.section	.rodata,"a",@progbits
	.p2align	6, 0x0
	.amdhsa_kernel _Z21inclusive_scan_kernelILj512ELN6hipcub18BlockScanAlgorithmE0EiEvPT1_
		.amdhsa_group_segment_fixed_size 64
		.amdhsa_private_segment_fixed_size 0
		.amdhsa_kernarg_size 8
		.amdhsa_user_sgpr_count 15
		.amdhsa_user_sgpr_dispatch_ptr 0
		.amdhsa_user_sgpr_queue_ptr 0
		.amdhsa_user_sgpr_kernarg_segment_ptr 1
		.amdhsa_user_sgpr_dispatch_id 0
		.amdhsa_user_sgpr_private_segment_size 0
		.amdhsa_wavefront_size32 1
		.amdhsa_uses_dynamic_stack 0
		.amdhsa_enable_private_segment 0
		.amdhsa_system_sgpr_workgroup_id_x 1
		.amdhsa_system_sgpr_workgroup_id_y 0
		.amdhsa_system_sgpr_workgroup_id_z 0
		.amdhsa_system_sgpr_workgroup_info 0
		.amdhsa_system_vgpr_workitem_id 0
		.amdhsa_next_free_vgpr 8
		.amdhsa_next_free_sgpr 16
		.amdhsa_reserve_vcc 1
		.amdhsa_float_round_mode_32 0
		.amdhsa_float_round_mode_16_64 0
		.amdhsa_float_denorm_mode_32 3
		.amdhsa_float_denorm_mode_16_64 3
		.amdhsa_dx10_clamp 1
		.amdhsa_ieee_mode 1
		.amdhsa_fp16_overflow 0
		.amdhsa_workgroup_processor_mode 1
		.amdhsa_memory_ordered 1
		.amdhsa_forward_progress 0
		.amdhsa_shared_vgpr_count 0
		.amdhsa_exception_fp_ieee_invalid_op 0
		.amdhsa_exception_fp_denorm_src 0
		.amdhsa_exception_fp_ieee_div_zero 0
		.amdhsa_exception_fp_ieee_overflow 0
		.amdhsa_exception_fp_ieee_underflow 0
		.amdhsa_exception_fp_ieee_inexact 0
		.amdhsa_exception_int_div_zero 0
	.end_amdhsa_kernel
	.section	.text._Z21inclusive_scan_kernelILj512ELN6hipcub18BlockScanAlgorithmE0EiEvPT1_,"axG",@progbits,_Z21inclusive_scan_kernelILj512ELN6hipcub18BlockScanAlgorithmE0EiEvPT1_,comdat
.Lfunc_end20:
	.size	_Z21inclusive_scan_kernelILj512ELN6hipcub18BlockScanAlgorithmE0EiEvPT1_, .Lfunc_end20-_Z21inclusive_scan_kernelILj512ELN6hipcub18BlockScanAlgorithmE0EiEvPT1_
                                        ; -- End function
	.section	.AMDGPU.csdata,"",@progbits
; Kernel info:
; codeLenInByte = 528
; NumSgprs: 18
; NumVgprs: 8
; ScratchSize: 0
; MemoryBound: 0
; FloatMode: 240
; IeeeMode: 1
; LDSByteSize: 64 bytes/workgroup (compile time only)
; SGPRBlocks: 2
; VGPRBlocks: 0
; NumSGPRsForWavesPerEU: 18
; NumVGPRsForWavesPerEU: 8
; Occupancy: 16
; WaveLimiterHint : 0
; COMPUTE_PGM_RSRC2:SCRATCH_EN: 0
; COMPUTE_PGM_RSRC2:USER_SGPR: 15
; COMPUTE_PGM_RSRC2:TRAP_HANDLER: 0
; COMPUTE_PGM_RSRC2:TGID_X_EN: 1
; COMPUTE_PGM_RSRC2:TGID_Y_EN: 0
; COMPUTE_PGM_RSRC2:TGID_Z_EN: 0
; COMPUTE_PGM_RSRC2:TIDIG_COMP_CNT: 0
	.section	.text._Z21inclusive_scan_kernelILj256ELN6hipcub18BlockScanAlgorithmE0EiEvPT1_,"axG",@progbits,_Z21inclusive_scan_kernelILj256ELN6hipcub18BlockScanAlgorithmE0EiEvPT1_,comdat
	.protected	_Z21inclusive_scan_kernelILj256ELN6hipcub18BlockScanAlgorithmE0EiEvPT1_ ; -- Begin function _Z21inclusive_scan_kernelILj256ELN6hipcub18BlockScanAlgorithmE0EiEvPT1_
	.globl	_Z21inclusive_scan_kernelILj256ELN6hipcub18BlockScanAlgorithmE0EiEvPT1_
	.p2align	8
	.type	_Z21inclusive_scan_kernelILj256ELN6hipcub18BlockScanAlgorithmE0EiEvPT1_,@function
_Z21inclusive_scan_kernelILj256ELN6hipcub18BlockScanAlgorithmE0EiEvPT1_: ; @_Z21inclusive_scan_kernelILj256ELN6hipcub18BlockScanAlgorithmE0EiEvPT1_
; %bb.0:
	s_load_b64 s[0:1], s[0:1], 0x0
	v_mov_b32_e32 v2, 0
	v_lshl_or_b32 v1, s15, 8, v0
	v_mbcnt_lo_u32_b32 v5, -1, 0
	v_or_b32_e32 v7, 31, v0
	s_delay_alu instid0(VALU_DEP_3) | instskip(NEXT) | instid1(VALU_DEP_3)
	v_lshlrev_b64 v[1:2], 2, v[1:2]
	v_and_b32_e32 v4, 15, v5
	s_waitcnt lgkmcnt(0)
	s_delay_alu instid0(VALU_DEP_2) | instskip(NEXT) | instid1(VALU_DEP_3)
	v_add_co_u32 v1, vcc_lo, s0, v1
	v_add_co_ci_u32_e32 v2, vcc_lo, s1, v2, vcc_lo
	s_delay_alu instid0(VALU_DEP_3) | instskip(SKIP_4) | instid1(VALU_DEP_1)
	v_cmp_ne_u32_e32 vcc_lo, 0, v4
	s_mov_b32 s0, exec_lo
	global_load_b32 v3, v[1:2], off
	s_waitcnt vmcnt(0)
	v_mov_b32_dpp v6, v3 row_shr:1 row_mask:0xf bank_mask:0xf
	v_cndmask_b32_e32 v6, 0, v6, vcc_lo
	v_cmp_lt_u32_e32 vcc_lo, 1, v4
	s_delay_alu instid0(VALU_DEP_2) | instskip(NEXT) | instid1(VALU_DEP_1)
	v_add_nc_u32_e32 v3, v6, v3
	v_mov_b32_dpp v6, v3 row_shr:2 row_mask:0xf bank_mask:0xf
	s_delay_alu instid0(VALU_DEP_1) | instskip(SKIP_1) | instid1(VALU_DEP_2)
	v_cndmask_b32_e32 v6, 0, v6, vcc_lo
	v_cmp_lt_u32_e32 vcc_lo, 3, v4
	v_add_nc_u32_e32 v3, v3, v6
	s_delay_alu instid0(VALU_DEP_1) | instskip(NEXT) | instid1(VALU_DEP_1)
	v_mov_b32_dpp v6, v3 row_shr:4 row_mask:0xf bank_mask:0xf
	v_cndmask_b32_e32 v6, 0, v6, vcc_lo
	v_cmp_lt_u32_e32 vcc_lo, 7, v4
	s_delay_alu instid0(VALU_DEP_2) | instskip(NEXT) | instid1(VALU_DEP_1)
	v_add_nc_u32_e32 v3, v3, v6
	v_mov_b32_dpp v6, v3 row_shr:8 row_mask:0xf bank_mask:0xf
	s_delay_alu instid0(VALU_DEP_1) | instskip(SKIP_1) | instid1(VALU_DEP_2)
	v_cndmask_b32_e32 v4, 0, v6, vcc_lo
	v_bfe_i32 v6, v5, 4, 1
	v_add_nc_u32_e32 v3, v3, v4
	ds_swizzle_b32 v4, v3 offset:swizzle(BROADCAST,32,15)
	s_waitcnt lgkmcnt(0)
	v_and_b32_e32 v6, v6, v4
	v_lshrrev_b32_e32 v4, 5, v0
	s_delay_alu instid0(VALU_DEP_2)
	v_add_nc_u32_e32 v3, v3, v6
	v_cmpx_eq_u32_e64 v7, v0
	s_cbranch_execz .LBB21_2
; %bb.1:
	s_delay_alu instid0(VALU_DEP_3)
	v_lshlrev_b32_e32 v6, 2, v4
	ds_store_b32 v6, v3
.LBB21_2:
	s_or_b32 exec_lo, exec_lo, s0
	s_delay_alu instid0(SALU_CYCLE_1)
	s_mov_b32 s0, exec_lo
	s_waitcnt lgkmcnt(0)
	s_barrier
	buffer_gl0_inv
	v_cmpx_gt_u32_e32 8, v0
	s_cbranch_execz .LBB21_4
; %bb.3:
	v_lshlrev_b32_e32 v6, 2, v0
	ds_load_b32 v7, v6
	s_waitcnt lgkmcnt(0)
	v_mov_b32_dpp v8, v7 row_shr:1 row_mask:0xf bank_mask:0xf
	v_and_b32_e32 v5, 7, v5
	s_delay_alu instid0(VALU_DEP_1) | instskip(NEXT) | instid1(VALU_DEP_3)
	v_cmp_ne_u32_e32 vcc_lo, 0, v5
	v_cndmask_b32_e32 v8, 0, v8, vcc_lo
	v_cmp_lt_u32_e32 vcc_lo, 1, v5
	s_delay_alu instid0(VALU_DEP_2) | instskip(NEXT) | instid1(VALU_DEP_1)
	v_add_nc_u32_e32 v7, v8, v7
	v_mov_b32_dpp v8, v7 row_shr:2 row_mask:0xf bank_mask:0xf
	s_delay_alu instid0(VALU_DEP_1) | instskip(SKIP_1) | instid1(VALU_DEP_2)
	v_cndmask_b32_e32 v8, 0, v8, vcc_lo
	v_cmp_lt_u32_e32 vcc_lo, 3, v5
	v_add_nc_u32_e32 v7, v7, v8
	s_delay_alu instid0(VALU_DEP_1) | instskip(NEXT) | instid1(VALU_DEP_1)
	v_mov_b32_dpp v8, v7 row_shr:4 row_mask:0xf bank_mask:0xf
	v_cndmask_b32_e32 v5, 0, v8, vcc_lo
	s_delay_alu instid0(VALU_DEP_1)
	v_add_nc_u32_e32 v5, v7, v5
	ds_store_b32 v6, v5
.LBB21_4:
	s_or_b32 exec_lo, exec_lo, s0
	s_delay_alu instid0(SALU_CYCLE_1)
	s_mov_b32 s0, exec_lo
	s_waitcnt lgkmcnt(0)
	s_barrier
	buffer_gl0_inv
	v_cmpx_lt_u32_e32 31, v0
	s_cbranch_execz .LBB21_6
; %bb.5:
	v_lshl_add_u32 v0, v4, 2, -4
	ds_load_b32 v0, v0
	s_waitcnt lgkmcnt(0)
	v_add_nc_u32_e32 v3, v0, v3
.LBB21_6:
	s_or_b32 exec_lo, exec_lo, s0
	global_store_b32 v[1:2], v3, off
	s_nop 0
	s_sendmsg sendmsg(MSG_DEALLOC_VGPRS)
	s_endpgm
	.section	.rodata,"a",@progbits
	.p2align	6, 0x0
	.amdhsa_kernel _Z21inclusive_scan_kernelILj256ELN6hipcub18BlockScanAlgorithmE0EiEvPT1_
		.amdhsa_group_segment_fixed_size 32
		.amdhsa_private_segment_fixed_size 0
		.amdhsa_kernarg_size 8
		.amdhsa_user_sgpr_count 15
		.amdhsa_user_sgpr_dispatch_ptr 0
		.amdhsa_user_sgpr_queue_ptr 0
		.amdhsa_user_sgpr_kernarg_segment_ptr 1
		.amdhsa_user_sgpr_dispatch_id 0
		.amdhsa_user_sgpr_private_segment_size 0
		.amdhsa_wavefront_size32 1
		.amdhsa_uses_dynamic_stack 0
		.amdhsa_enable_private_segment 0
		.amdhsa_system_sgpr_workgroup_id_x 1
		.amdhsa_system_sgpr_workgroup_id_y 0
		.amdhsa_system_sgpr_workgroup_id_z 0
		.amdhsa_system_sgpr_workgroup_info 0
		.amdhsa_system_vgpr_workitem_id 0
		.amdhsa_next_free_vgpr 9
		.amdhsa_next_free_sgpr 16
		.amdhsa_reserve_vcc 1
		.amdhsa_float_round_mode_32 0
		.amdhsa_float_round_mode_16_64 0
		.amdhsa_float_denorm_mode_32 3
		.amdhsa_float_denorm_mode_16_64 3
		.amdhsa_dx10_clamp 1
		.amdhsa_ieee_mode 1
		.amdhsa_fp16_overflow 0
		.amdhsa_workgroup_processor_mode 1
		.amdhsa_memory_ordered 1
		.amdhsa_forward_progress 0
		.amdhsa_shared_vgpr_count 0
		.amdhsa_exception_fp_ieee_invalid_op 0
		.amdhsa_exception_fp_denorm_src 0
		.amdhsa_exception_fp_ieee_div_zero 0
		.amdhsa_exception_fp_ieee_overflow 0
		.amdhsa_exception_fp_ieee_underflow 0
		.amdhsa_exception_fp_ieee_inexact 0
		.amdhsa_exception_int_div_zero 0
	.end_amdhsa_kernel
	.section	.text._Z21inclusive_scan_kernelILj256ELN6hipcub18BlockScanAlgorithmE0EiEvPT1_,"axG",@progbits,_Z21inclusive_scan_kernelILj256ELN6hipcub18BlockScanAlgorithmE0EiEvPT1_,comdat
.Lfunc_end21:
	.size	_Z21inclusive_scan_kernelILj256ELN6hipcub18BlockScanAlgorithmE0EiEvPT1_, .Lfunc_end21-_Z21inclusive_scan_kernelILj256ELN6hipcub18BlockScanAlgorithmE0EiEvPT1_
                                        ; -- End function
	.section	.AMDGPU.csdata,"",@progbits
; Kernel info:
; codeLenInByte = 480
; NumSgprs: 18
; NumVgprs: 9
; ScratchSize: 0
; MemoryBound: 0
; FloatMode: 240
; IeeeMode: 1
; LDSByteSize: 32 bytes/workgroup (compile time only)
; SGPRBlocks: 2
; VGPRBlocks: 1
; NumSGPRsForWavesPerEU: 18
; NumVGPRsForWavesPerEU: 9
; Occupancy: 16
; WaveLimiterHint : 0
; COMPUTE_PGM_RSRC2:SCRATCH_EN: 0
; COMPUTE_PGM_RSRC2:USER_SGPR: 15
; COMPUTE_PGM_RSRC2:TRAP_HANDLER: 0
; COMPUTE_PGM_RSRC2:TGID_X_EN: 1
; COMPUTE_PGM_RSRC2:TGID_Y_EN: 0
; COMPUTE_PGM_RSRC2:TGID_Z_EN: 0
; COMPUTE_PGM_RSRC2:TIDIG_COMP_CNT: 0
	.section	.text._Z21inclusive_scan_kernelILj128ELN6hipcub18BlockScanAlgorithmE0EiEvPT1_,"axG",@progbits,_Z21inclusive_scan_kernelILj128ELN6hipcub18BlockScanAlgorithmE0EiEvPT1_,comdat
	.protected	_Z21inclusive_scan_kernelILj128ELN6hipcub18BlockScanAlgorithmE0EiEvPT1_ ; -- Begin function _Z21inclusive_scan_kernelILj128ELN6hipcub18BlockScanAlgorithmE0EiEvPT1_
	.globl	_Z21inclusive_scan_kernelILj128ELN6hipcub18BlockScanAlgorithmE0EiEvPT1_
	.p2align	8
	.type	_Z21inclusive_scan_kernelILj128ELN6hipcub18BlockScanAlgorithmE0EiEvPT1_,@function
_Z21inclusive_scan_kernelILj128ELN6hipcub18BlockScanAlgorithmE0EiEvPT1_: ; @_Z21inclusive_scan_kernelILj128ELN6hipcub18BlockScanAlgorithmE0EiEvPT1_
; %bb.0:
	s_load_b64 s[0:1], s[0:1], 0x0
	v_mov_b32_e32 v2, 0
	v_lshl_or_b32 v1, s15, 7, v0
	v_mbcnt_lo_u32_b32 v5, -1, 0
	v_or_b32_e32 v7, 31, v0
	s_delay_alu instid0(VALU_DEP_3) | instskip(NEXT) | instid1(VALU_DEP_3)
	v_lshlrev_b64 v[1:2], 2, v[1:2]
	v_and_b32_e32 v4, 15, v5
	s_waitcnt lgkmcnt(0)
	s_delay_alu instid0(VALU_DEP_2) | instskip(NEXT) | instid1(VALU_DEP_3)
	v_add_co_u32 v1, vcc_lo, s0, v1
	v_add_co_ci_u32_e32 v2, vcc_lo, s1, v2, vcc_lo
	s_delay_alu instid0(VALU_DEP_3) | instskip(SKIP_4) | instid1(VALU_DEP_1)
	v_cmp_ne_u32_e32 vcc_lo, 0, v4
	s_mov_b32 s0, exec_lo
	global_load_b32 v3, v[1:2], off
	s_waitcnt vmcnt(0)
	v_mov_b32_dpp v6, v3 row_shr:1 row_mask:0xf bank_mask:0xf
	v_cndmask_b32_e32 v6, 0, v6, vcc_lo
	v_cmp_lt_u32_e32 vcc_lo, 1, v4
	s_delay_alu instid0(VALU_DEP_2) | instskip(NEXT) | instid1(VALU_DEP_1)
	v_add_nc_u32_e32 v3, v6, v3
	v_mov_b32_dpp v6, v3 row_shr:2 row_mask:0xf bank_mask:0xf
	s_delay_alu instid0(VALU_DEP_1) | instskip(SKIP_1) | instid1(VALU_DEP_2)
	v_cndmask_b32_e32 v6, 0, v6, vcc_lo
	v_cmp_lt_u32_e32 vcc_lo, 3, v4
	v_add_nc_u32_e32 v3, v3, v6
	s_delay_alu instid0(VALU_DEP_1) | instskip(NEXT) | instid1(VALU_DEP_1)
	v_mov_b32_dpp v6, v3 row_shr:4 row_mask:0xf bank_mask:0xf
	v_cndmask_b32_e32 v6, 0, v6, vcc_lo
	v_cmp_lt_u32_e32 vcc_lo, 7, v4
	s_delay_alu instid0(VALU_DEP_2) | instskip(NEXT) | instid1(VALU_DEP_1)
	v_add_nc_u32_e32 v3, v3, v6
	v_mov_b32_dpp v6, v3 row_shr:8 row_mask:0xf bank_mask:0xf
	s_delay_alu instid0(VALU_DEP_1) | instskip(SKIP_1) | instid1(VALU_DEP_2)
	v_cndmask_b32_e32 v4, 0, v6, vcc_lo
	v_bfe_i32 v6, v5, 4, 1
	v_add_nc_u32_e32 v3, v3, v4
	ds_swizzle_b32 v4, v3 offset:swizzle(BROADCAST,32,15)
	s_waitcnt lgkmcnt(0)
	v_and_b32_e32 v6, v6, v4
	v_lshrrev_b32_e32 v4, 5, v0
	s_delay_alu instid0(VALU_DEP_2)
	v_add_nc_u32_e32 v3, v3, v6
	v_cmpx_eq_u32_e64 v7, v0
	s_cbranch_execz .LBB22_2
; %bb.1:
	s_delay_alu instid0(VALU_DEP_3)
	v_lshlrev_b32_e32 v6, 2, v4
	ds_store_b32 v6, v3
.LBB22_2:
	s_or_b32 exec_lo, exec_lo, s0
	s_delay_alu instid0(SALU_CYCLE_1)
	s_mov_b32 s0, exec_lo
	s_waitcnt lgkmcnt(0)
	s_barrier
	buffer_gl0_inv
	v_cmpx_gt_u32_e32 4, v0
	s_cbranch_execz .LBB22_4
; %bb.3:
	v_lshlrev_b32_e32 v6, 2, v0
	ds_load_b32 v7, v6
	s_waitcnt lgkmcnt(0)
	v_mov_b32_dpp v8, v7 row_shr:1 row_mask:0xf bank_mask:0xf
	v_and_b32_e32 v5, 3, v5
	s_delay_alu instid0(VALU_DEP_1) | instskip(NEXT) | instid1(VALU_DEP_3)
	v_cmp_ne_u32_e32 vcc_lo, 0, v5
	v_cndmask_b32_e32 v8, 0, v8, vcc_lo
	v_cmp_lt_u32_e32 vcc_lo, 1, v5
	s_delay_alu instid0(VALU_DEP_2) | instskip(NEXT) | instid1(VALU_DEP_1)
	v_add_nc_u32_e32 v7, v8, v7
	v_mov_b32_dpp v8, v7 row_shr:2 row_mask:0xf bank_mask:0xf
	s_delay_alu instid0(VALU_DEP_1) | instskip(NEXT) | instid1(VALU_DEP_1)
	v_cndmask_b32_e32 v5, 0, v8, vcc_lo
	v_add_nc_u32_e32 v5, v7, v5
	ds_store_b32 v6, v5
.LBB22_4:
	s_or_b32 exec_lo, exec_lo, s0
	s_delay_alu instid0(SALU_CYCLE_1)
	s_mov_b32 s0, exec_lo
	s_waitcnt lgkmcnt(0)
	s_barrier
	buffer_gl0_inv
	v_cmpx_lt_u32_e32 31, v0
	s_cbranch_execz .LBB22_6
; %bb.5:
	v_lshl_add_u32 v0, v4, 2, -4
	ds_load_b32 v0, v0
	s_waitcnt lgkmcnt(0)
	v_add_nc_u32_e32 v3, v0, v3
.LBB22_6:
	s_or_b32 exec_lo, exec_lo, s0
	global_store_b32 v[1:2], v3, off
	s_nop 0
	s_sendmsg sendmsg(MSG_DEALLOC_VGPRS)
	s_endpgm
	.section	.rodata,"a",@progbits
	.p2align	6, 0x0
	.amdhsa_kernel _Z21inclusive_scan_kernelILj128ELN6hipcub18BlockScanAlgorithmE0EiEvPT1_
		.amdhsa_group_segment_fixed_size 16
		.amdhsa_private_segment_fixed_size 0
		.amdhsa_kernarg_size 8
		.amdhsa_user_sgpr_count 15
		.amdhsa_user_sgpr_dispatch_ptr 0
		.amdhsa_user_sgpr_queue_ptr 0
		.amdhsa_user_sgpr_kernarg_segment_ptr 1
		.amdhsa_user_sgpr_dispatch_id 0
		.amdhsa_user_sgpr_private_segment_size 0
		.amdhsa_wavefront_size32 1
		.amdhsa_uses_dynamic_stack 0
		.amdhsa_enable_private_segment 0
		.amdhsa_system_sgpr_workgroup_id_x 1
		.amdhsa_system_sgpr_workgroup_id_y 0
		.amdhsa_system_sgpr_workgroup_id_z 0
		.amdhsa_system_sgpr_workgroup_info 0
		.amdhsa_system_vgpr_workitem_id 0
		.amdhsa_next_free_vgpr 9
		.amdhsa_next_free_sgpr 16
		.amdhsa_reserve_vcc 1
		.amdhsa_float_round_mode_32 0
		.amdhsa_float_round_mode_16_64 0
		.amdhsa_float_denorm_mode_32 3
		.amdhsa_float_denorm_mode_16_64 3
		.amdhsa_dx10_clamp 1
		.amdhsa_ieee_mode 1
		.amdhsa_fp16_overflow 0
		.amdhsa_workgroup_processor_mode 1
		.amdhsa_memory_ordered 1
		.amdhsa_forward_progress 0
		.amdhsa_shared_vgpr_count 0
		.amdhsa_exception_fp_ieee_invalid_op 0
		.amdhsa_exception_fp_denorm_src 0
		.amdhsa_exception_fp_ieee_div_zero 0
		.amdhsa_exception_fp_ieee_overflow 0
		.amdhsa_exception_fp_ieee_underflow 0
		.amdhsa_exception_fp_ieee_inexact 0
		.amdhsa_exception_int_div_zero 0
	.end_amdhsa_kernel
	.section	.text._Z21inclusive_scan_kernelILj128ELN6hipcub18BlockScanAlgorithmE0EiEvPT1_,"axG",@progbits,_Z21inclusive_scan_kernelILj128ELN6hipcub18BlockScanAlgorithmE0EiEvPT1_,comdat
.Lfunc_end22:
	.size	_Z21inclusive_scan_kernelILj128ELN6hipcub18BlockScanAlgorithmE0EiEvPT1_, .Lfunc_end22-_Z21inclusive_scan_kernelILj128ELN6hipcub18BlockScanAlgorithmE0EiEvPT1_
                                        ; -- End function
	.section	.AMDGPU.csdata,"",@progbits
; Kernel info:
; codeLenInByte = 452
; NumSgprs: 18
; NumVgprs: 9
; ScratchSize: 0
; MemoryBound: 0
; FloatMode: 240
; IeeeMode: 1
; LDSByteSize: 16 bytes/workgroup (compile time only)
; SGPRBlocks: 2
; VGPRBlocks: 1
; NumSGPRsForWavesPerEU: 18
; NumVGPRsForWavesPerEU: 9
; Occupancy: 16
; WaveLimiterHint : 0
; COMPUTE_PGM_RSRC2:SCRATCH_EN: 0
; COMPUTE_PGM_RSRC2:USER_SGPR: 15
; COMPUTE_PGM_RSRC2:TRAP_HANDLER: 0
; COMPUTE_PGM_RSRC2:TGID_X_EN: 1
; COMPUTE_PGM_RSRC2:TGID_Y_EN: 0
; COMPUTE_PGM_RSRC2:TGID_Z_EN: 0
; COMPUTE_PGM_RSRC2:TIDIG_COMP_CNT: 0
	.section	.text._Z21inclusive_scan_kernelILj64ELN6hipcub18BlockScanAlgorithmE0EiEvPT1_,"axG",@progbits,_Z21inclusive_scan_kernelILj64ELN6hipcub18BlockScanAlgorithmE0EiEvPT1_,comdat
	.protected	_Z21inclusive_scan_kernelILj64ELN6hipcub18BlockScanAlgorithmE0EiEvPT1_ ; -- Begin function _Z21inclusive_scan_kernelILj64ELN6hipcub18BlockScanAlgorithmE0EiEvPT1_
	.globl	_Z21inclusive_scan_kernelILj64ELN6hipcub18BlockScanAlgorithmE0EiEvPT1_
	.p2align	8
	.type	_Z21inclusive_scan_kernelILj64ELN6hipcub18BlockScanAlgorithmE0EiEvPT1_,@function
_Z21inclusive_scan_kernelILj64ELN6hipcub18BlockScanAlgorithmE0EiEvPT1_: ; @_Z21inclusive_scan_kernelILj64ELN6hipcub18BlockScanAlgorithmE0EiEvPT1_
; %bb.0:
	s_load_b64 s[0:1], s[0:1], 0x0
	v_lshl_or_b32 v1, s15, 6, v0
	v_mbcnt_lo_u32_b32 v4, -1, 0
	v_mov_b32_e32 v2, 0
	v_or_b32_e32 v7, 31, v0
	s_delay_alu instid0(VALU_DEP_3) | instskip(NEXT) | instid1(VALU_DEP_3)
	v_and_b32_e32 v5, 15, v4
	v_lshlrev_b64 v[1:2], 2, v[1:2]
	s_waitcnt lgkmcnt(0)
	s_delay_alu instid0(VALU_DEP_1) | instskip(NEXT) | instid1(VALU_DEP_2)
	v_add_co_u32 v1, vcc_lo, s0, v1
	v_add_co_ci_u32_e32 v2, vcc_lo, s1, v2, vcc_lo
	v_cmp_ne_u32_e32 vcc_lo, 0, v5
	s_mov_b32 s0, exec_lo
	global_load_b32 v3, v[1:2], off
	s_waitcnt vmcnt(0)
	v_mov_b32_dpp v6, v3 row_shr:1 row_mask:0xf bank_mask:0xf
	s_delay_alu instid0(VALU_DEP_1) | instskip(SKIP_1) | instid1(VALU_DEP_2)
	v_cndmask_b32_e32 v6, 0, v6, vcc_lo
	v_cmp_lt_u32_e32 vcc_lo, 1, v5
	v_add_nc_u32_e32 v3, v6, v3
	s_delay_alu instid0(VALU_DEP_1) | instskip(NEXT) | instid1(VALU_DEP_1)
	v_mov_b32_dpp v6, v3 row_shr:2 row_mask:0xf bank_mask:0xf
	v_cndmask_b32_e32 v6, 0, v6, vcc_lo
	v_cmp_lt_u32_e32 vcc_lo, 3, v5
	s_delay_alu instid0(VALU_DEP_2) | instskip(NEXT) | instid1(VALU_DEP_1)
	v_add_nc_u32_e32 v3, v3, v6
	v_mov_b32_dpp v6, v3 row_shr:4 row_mask:0xf bank_mask:0xf
	s_delay_alu instid0(VALU_DEP_1) | instskip(SKIP_1) | instid1(VALU_DEP_2)
	v_cndmask_b32_e32 v6, 0, v6, vcc_lo
	v_cmp_lt_u32_e32 vcc_lo, 7, v5
	v_add_nc_u32_e32 v3, v3, v6
	s_delay_alu instid0(VALU_DEP_1) | instskip(NEXT) | instid1(VALU_DEP_1)
	v_mov_b32_dpp v6, v3 row_shr:8 row_mask:0xf bank_mask:0xf
	v_cndmask_b32_e32 v5, 0, v6, vcc_lo
	v_bfe_i32 v6, v4, 4, 1
	s_delay_alu instid0(VALU_DEP_2) | instskip(SKIP_4) | instid1(VALU_DEP_2)
	v_add_nc_u32_e32 v3, v3, v5
	ds_swizzle_b32 v5, v3 offset:swizzle(BROADCAST,32,15)
	s_waitcnt lgkmcnt(0)
	v_and_b32_e32 v6, v6, v5
	v_lshrrev_b32_e32 v5, 5, v0
	v_add_nc_u32_e32 v3, v3, v6
	v_cmpx_eq_u32_e64 v7, v0
	s_cbranch_execz .LBB23_2
; %bb.1:
	s_delay_alu instid0(VALU_DEP_3)
	v_lshlrev_b32_e32 v6, 2, v5
	ds_store_b32 v6, v3
.LBB23_2:
	s_or_b32 exec_lo, exec_lo, s0
	s_delay_alu instid0(SALU_CYCLE_1)
	s_mov_b32 s0, exec_lo
	s_waitcnt lgkmcnt(0)
	s_barrier
	buffer_gl0_inv
	v_cmpx_gt_u32_e32 2, v0
	s_cbranch_execz .LBB23_4
; %bb.3:
	v_lshlrev_b32_e32 v6, 2, v0
	v_bfe_i32 v4, v4, 0, 1
	ds_load_b32 v7, v6
	s_waitcnt lgkmcnt(0)
	v_mov_b32_dpp v8, v7 row_shr:1 row_mask:0xf bank_mask:0xf
	s_delay_alu instid0(VALU_DEP_1) | instskip(NEXT) | instid1(VALU_DEP_1)
	v_and_b32_e32 v4, v4, v8
	v_add_nc_u32_e32 v4, v4, v7
	ds_store_b32 v6, v4
.LBB23_4:
	s_or_b32 exec_lo, exec_lo, s0
	s_delay_alu instid0(SALU_CYCLE_1)
	s_mov_b32 s0, exec_lo
	s_waitcnt lgkmcnt(0)
	s_barrier
	buffer_gl0_inv
	v_cmpx_lt_u32_e32 31, v0
	s_cbranch_execz .LBB23_6
; %bb.5:
	v_lshl_add_u32 v0, v5, 2, -4
	ds_load_b32 v0, v0
	s_waitcnt lgkmcnt(0)
	v_add_nc_u32_e32 v3, v0, v3
.LBB23_6:
	s_or_b32 exec_lo, exec_lo, s0
	global_store_b32 v[1:2], v3, off
	s_nop 0
	s_sendmsg sendmsg(MSG_DEALLOC_VGPRS)
	s_endpgm
	.section	.rodata,"a",@progbits
	.p2align	6, 0x0
	.amdhsa_kernel _Z21inclusive_scan_kernelILj64ELN6hipcub18BlockScanAlgorithmE0EiEvPT1_
		.amdhsa_group_segment_fixed_size 8
		.amdhsa_private_segment_fixed_size 0
		.amdhsa_kernarg_size 8
		.amdhsa_user_sgpr_count 15
		.amdhsa_user_sgpr_dispatch_ptr 0
		.amdhsa_user_sgpr_queue_ptr 0
		.amdhsa_user_sgpr_kernarg_segment_ptr 1
		.amdhsa_user_sgpr_dispatch_id 0
		.amdhsa_user_sgpr_private_segment_size 0
		.amdhsa_wavefront_size32 1
		.amdhsa_uses_dynamic_stack 0
		.amdhsa_enable_private_segment 0
		.amdhsa_system_sgpr_workgroup_id_x 1
		.amdhsa_system_sgpr_workgroup_id_y 0
		.amdhsa_system_sgpr_workgroup_id_z 0
		.amdhsa_system_sgpr_workgroup_info 0
		.amdhsa_system_vgpr_workitem_id 0
		.amdhsa_next_free_vgpr 9
		.amdhsa_next_free_sgpr 16
		.amdhsa_reserve_vcc 1
		.amdhsa_float_round_mode_32 0
		.amdhsa_float_round_mode_16_64 0
		.amdhsa_float_denorm_mode_32 3
		.amdhsa_float_denorm_mode_16_64 3
		.amdhsa_dx10_clamp 1
		.amdhsa_ieee_mode 1
		.amdhsa_fp16_overflow 0
		.amdhsa_workgroup_processor_mode 1
		.amdhsa_memory_ordered 1
		.amdhsa_forward_progress 0
		.amdhsa_shared_vgpr_count 0
		.amdhsa_exception_fp_ieee_invalid_op 0
		.amdhsa_exception_fp_denorm_src 0
		.amdhsa_exception_fp_ieee_div_zero 0
		.amdhsa_exception_fp_ieee_overflow 0
		.amdhsa_exception_fp_ieee_underflow 0
		.amdhsa_exception_fp_ieee_inexact 0
		.amdhsa_exception_int_div_zero 0
	.end_amdhsa_kernel
	.section	.text._Z21inclusive_scan_kernelILj64ELN6hipcub18BlockScanAlgorithmE0EiEvPT1_,"axG",@progbits,_Z21inclusive_scan_kernelILj64ELN6hipcub18BlockScanAlgorithmE0EiEvPT1_,comdat
.Lfunc_end23:
	.size	_Z21inclusive_scan_kernelILj64ELN6hipcub18BlockScanAlgorithmE0EiEvPT1_, .Lfunc_end23-_Z21inclusive_scan_kernelILj64ELN6hipcub18BlockScanAlgorithmE0EiEvPT1_
                                        ; -- End function
	.section	.AMDGPU.csdata,"",@progbits
; Kernel info:
; codeLenInByte = 420
; NumSgprs: 18
; NumVgprs: 9
; ScratchSize: 0
; MemoryBound: 0
; FloatMode: 240
; IeeeMode: 1
; LDSByteSize: 8 bytes/workgroup (compile time only)
; SGPRBlocks: 2
; VGPRBlocks: 1
; NumSGPRsForWavesPerEU: 18
; NumVGPRsForWavesPerEU: 9
; Occupancy: 16
; WaveLimiterHint : 0
; COMPUTE_PGM_RSRC2:SCRATCH_EN: 0
; COMPUTE_PGM_RSRC2:USER_SGPR: 15
; COMPUTE_PGM_RSRC2:TRAP_HANDLER: 0
; COMPUTE_PGM_RSRC2:TGID_X_EN: 1
; COMPUTE_PGM_RSRC2:TGID_Y_EN: 0
; COMPUTE_PGM_RSRC2:TGID_Z_EN: 0
; COMPUTE_PGM_RSRC2:TIDIG_COMP_CNT: 0
	.section	.text._Z28inclusive_scan_reduce_kernelILj377ELN6hipcub18BlockScanAlgorithmE1EhEvPT1_S3_,"axG",@progbits,_Z28inclusive_scan_reduce_kernelILj377ELN6hipcub18BlockScanAlgorithmE1EhEvPT1_S3_,comdat
	.protected	_Z28inclusive_scan_reduce_kernelILj377ELN6hipcub18BlockScanAlgorithmE1EhEvPT1_S3_ ; -- Begin function _Z28inclusive_scan_reduce_kernelILj377ELN6hipcub18BlockScanAlgorithmE1EhEvPT1_S3_
	.globl	_Z28inclusive_scan_reduce_kernelILj377ELN6hipcub18BlockScanAlgorithmE1EhEvPT1_S3_
	.p2align	8
	.type	_Z28inclusive_scan_reduce_kernelILj377ELN6hipcub18BlockScanAlgorithmE1EhEvPT1_S3_,@function
_Z28inclusive_scan_reduce_kernelILj377ELN6hipcub18BlockScanAlgorithmE1EhEvPT1_S3_: ; @_Z28inclusive_scan_reduce_kernelILj377ELN6hipcub18BlockScanAlgorithmE1EhEvPT1_S3_
; %bb.0:
	s_load_b128 s[0:3], s[0:1], 0x0
	v_mad_u64_u32 v[1:2], null, 0x179, s15, v[0:1]
	s_waitcnt lgkmcnt(0)
	global_load_u8 v3, v1, s[0:1]
	v_add_co_u32 v1, s0, s0, v1
	s_delay_alu instid0(VALU_DEP_1)
	v_add_co_ci_u32_e64 v2, null, s1, 0, s0
	s_mov_b32 s0, exec_lo
	s_waitcnt vmcnt(0)
	ds_store_b8 v0, v3
	s_waitcnt lgkmcnt(0)
	s_barrier
	buffer_gl0_inv
	v_cmpx_gt_u32_e32 32, v0
	s_cbranch_execz .LBB24_2
; %bb.1:
	v_mul_u32_u24_e32 v7, 12, v0
	v_mbcnt_lo_u32_b32 v18, -1, 0
	ds_load_b96 v[4:6], v7
	v_add_nc_u32_e32 v21, -1, v18
	s_waitcnt lgkmcnt(0)
	v_lshrrev_b32_e32 v8, 8, v4
	v_lshrrev_b32_e32 v9, 16, v4
	;; [unrolled: 1-line block ×5, first 2 shown]
	v_add_nc_u16 v10, v8, v4
	v_lshrrev_b32_e32 v14, 24, v5
	v_lshrrev_b32_e32 v15, 8, v6
	;; [unrolled: 1-line block ×4, first 2 shown]
	v_add_nc_u16 v10, v10, v9
	s_delay_alu instid0(VALU_DEP_1) | instskip(NEXT) | instid1(VALU_DEP_1)
	v_add_nc_u16 v10, v10, v11
	v_add_nc_u16 v10, v10, v5
	s_delay_alu instid0(VALU_DEP_1) | instskip(NEXT) | instid1(VALU_DEP_1)
	v_add_nc_u16 v10, v10, v12
	;; [unrolled: 3-line block ×5, first 2 shown]
	v_and_b32_e32 v19, 0xff, v10
	s_delay_alu instid0(VALU_DEP_1) | instskip(SKIP_1) | instid1(VALU_DEP_1)
	v_mov_b32_dpp v19, v19 row_shr:1 row_mask:0xf bank_mask:0xf
	v_and_b32_e32 v20, 15, v18
	v_cmp_ne_u32_e32 vcc_lo, 0, v20
	s_delay_alu instid0(VALU_DEP_3) | instskip(SKIP_1) | instid1(VALU_DEP_2)
	v_cndmask_b32_e32 v19, 0, v19, vcc_lo
	v_cmp_lt_u32_e32 vcc_lo, 1, v20
	v_add_nc_u16 v10, v19, v10
	s_delay_alu instid0(VALU_DEP_1) | instskip(NEXT) | instid1(VALU_DEP_1)
	v_and_b32_e32 v19, 0xff, v10
	v_mov_b32_dpp v19, v19 row_shr:2 row_mask:0xf bank_mask:0xf
	s_delay_alu instid0(VALU_DEP_1) | instskip(SKIP_1) | instid1(VALU_DEP_2)
	v_cndmask_b32_e32 v19, 0, v19, vcc_lo
	v_cmp_lt_u32_e32 vcc_lo, 3, v20
	v_add_nc_u16 v10, v10, v19
	s_delay_alu instid0(VALU_DEP_1) | instskip(NEXT) | instid1(VALU_DEP_1)
	v_and_b32_e32 v19, 0xff, v10
	v_mov_b32_dpp v19, v19 row_shr:4 row_mask:0xf bank_mask:0xf
	s_delay_alu instid0(VALU_DEP_1) | instskip(SKIP_2) | instid1(VALU_DEP_3)
	v_cndmask_b32_e32 v19, 0, v19, vcc_lo
	v_cmp_lt_u32_e32 vcc_lo, 7, v20
	v_and_b32_e32 v20, 16, v18
	v_add_nc_u16 v10, v10, v19
	s_delay_alu instid0(VALU_DEP_1) | instskip(NEXT) | instid1(VALU_DEP_1)
	v_and_b32_e32 v19, 0xff, v10
	v_mov_b32_dpp v19, v19 row_shr:8 row_mask:0xf bank_mask:0xf
	s_delay_alu instid0(VALU_DEP_1) | instskip(SKIP_1) | instid1(VALU_DEP_2)
	v_cndmask_b32_e32 v19, 0, v19, vcc_lo
	v_cmp_ne_u32_e32 vcc_lo, 0, v20
	v_add_nc_u16 v10, v10, v19
	s_delay_alu instid0(VALU_DEP_1) | instskip(SKIP_4) | instid1(VALU_DEP_2)
	v_and_b32_e32 v19, 0xff, v10
	ds_swizzle_b32 v19, v19 offset:swizzle(BROADCAST,32,15)
	s_waitcnt lgkmcnt(0)
	v_cndmask_b32_e32 v19, 0, v19, vcc_lo
	v_cmp_gt_i32_e32 vcc_lo, 0, v21
	v_add_nc_u16 v10, v10, v19
	v_cndmask_b32_e32 v18, v21, v18, vcc_lo
	v_cmp_eq_u32_e32 vcc_lo, 0, v0
	s_delay_alu instid0(VALU_DEP_3) | instskip(NEXT) | instid1(VALU_DEP_3)
	v_and_b32_e32 v10, 0xff, v10
	v_lshlrev_b32_e32 v18, 2, v18
	ds_bpermute_b32 v10, v18, v10
	s_waitcnt lgkmcnt(0)
	v_add_nc_u16 v4, v4, v10
	s_delay_alu instid0(VALU_DEP_1) | instskip(NEXT) | instid1(VALU_DEP_1)
	v_cndmask_b32_e32 v3, v4, v3, vcc_lo
	v_add_nc_u16 v4, v3, v8
	v_and_b32_e32 v3, 0xff, v3
	s_delay_alu instid0(VALU_DEP_2) | instskip(SKIP_1) | instid1(VALU_DEP_2)
	v_add_nc_u16 v8, v4, v9
	v_lshlrev_b16 v4, 8, v4
	v_add_nc_u16 v9, v8, v11
	s_delay_alu instid0(VALU_DEP_2) | instskip(SKIP_1) | instid1(VALU_DEP_3)
	v_or_b32_e32 v3, v3, v4
	v_and_b32_e32 v4, 0xff, v8
	v_add_nc_u16 v5, v9, v5
	v_lshlrev_b16 v9, 8, v9
	s_delay_alu instid0(VALU_DEP_4) | instskip(NEXT) | instid1(VALU_DEP_3)
	v_and_b32_e32 v3, 0xffff, v3
	v_add_nc_u16 v10, v5, v12
	v_and_b32_e32 v5, 0xff, v5
	s_delay_alu instid0(VALU_DEP_4) | instskip(NEXT) | instid1(VALU_DEP_3)
	v_or_b32_e32 v4, v4, v9
	v_add_nc_u16 v11, v10, v13
	v_lshlrev_b16 v10, 8, v10
	s_delay_alu instid0(VALU_DEP_3) | instskip(NEXT) | instid1(VALU_DEP_3)
	v_lshlrev_b32_e32 v4, 16, v4
	v_add_nc_u16 v12, v11, v14
	v_and_b32_e32 v11, 0xff, v11
	s_delay_alu instid0(VALU_DEP_4) | instskip(NEXT) | instid1(VALU_DEP_4)
	v_or_b32_e32 v5, v5, v10
	v_or_b32_e32 v3, v3, v4
	s_delay_alu instid0(VALU_DEP_4) | instskip(SKIP_1) | instid1(VALU_DEP_4)
	v_add_nc_u16 v6, v12, v6
	v_lshlrev_b16 v12, 8, v12
	v_and_b32_e32 v5, 0xffff, v5
	s_delay_alu instid0(VALU_DEP_3) | instskip(SKIP_1) | instid1(VALU_DEP_4)
	v_add_nc_u16 v13, v6, v15
	v_and_b32_e32 v6, 0xff, v6
	v_or_b32_e32 v9, v11, v12
	s_delay_alu instid0(VALU_DEP_3) | instskip(SKIP_1) | instid1(VALU_DEP_3)
	v_add_nc_u16 v8, v13, v16
	v_lshlrev_b16 v13, 8, v13
	v_lshlrev_b32_e32 v9, 16, v9
	s_delay_alu instid0(VALU_DEP_3) | instskip(SKIP_1) | instid1(VALU_DEP_4)
	v_add_nc_u16 v14, v8, v17
	v_and_b32_e32 v8, 0xff, v8
	v_or_b32_e32 v6, v6, v13
	s_delay_alu instid0(VALU_DEP_4) | instskip(NEXT) | instid1(VALU_DEP_4)
	v_or_b32_e32 v4, v5, v9
	v_lshlrev_b16 v14, 8, v14
	s_delay_alu instid0(VALU_DEP_3) | instskip(NEXT) | instid1(VALU_DEP_2)
	v_and_b32_e32 v6, 0xffff, v6
	v_or_b32_e32 v8, v8, v14
	s_delay_alu instid0(VALU_DEP_1) | instskip(NEXT) | instid1(VALU_DEP_1)
	v_lshlrev_b32_e32 v8, 16, v8
	v_or_b32_e32 v5, v6, v8
	ds_store_b96 v7, v[3:5]
.LBB24_2:
	s_or_b32 exec_lo, exec_lo, s0
	s_waitcnt lgkmcnt(0)
	s_barrier
	buffer_gl0_inv
	ds_load_u8 v3, v0
	s_mov_b32 s0, exec_lo
	s_waitcnt lgkmcnt(0)
	global_store_b8 v[1:2], v3, off
	v_cmpx_eq_u32_e32 0, v0
	s_cbranch_execz .LBB24_4
; %bb.3:
	v_dual_mov_b32 v0, 0 :: v_dual_mov_b32 v1, s15
	ds_load_u8 v0, v0 offset:376
	s_waitcnt lgkmcnt(0)
	global_store_b8 v1, v0, s[2:3]
.LBB24_4:
	s_nop 0
	s_sendmsg sendmsg(MSG_DEALLOC_VGPRS)
	s_endpgm
	.section	.rodata,"a",@progbits
	.p2align	6, 0x0
	.amdhsa_kernel _Z28inclusive_scan_reduce_kernelILj377ELN6hipcub18BlockScanAlgorithmE1EhEvPT1_S3_
		.amdhsa_group_segment_fixed_size 384
		.amdhsa_private_segment_fixed_size 0
		.amdhsa_kernarg_size 16
		.amdhsa_user_sgpr_count 15
		.amdhsa_user_sgpr_dispatch_ptr 0
		.amdhsa_user_sgpr_queue_ptr 0
		.amdhsa_user_sgpr_kernarg_segment_ptr 1
		.amdhsa_user_sgpr_dispatch_id 0
		.amdhsa_user_sgpr_private_segment_size 0
		.amdhsa_wavefront_size32 1
		.amdhsa_uses_dynamic_stack 0
		.amdhsa_enable_private_segment 0
		.amdhsa_system_sgpr_workgroup_id_x 1
		.amdhsa_system_sgpr_workgroup_id_y 0
		.amdhsa_system_sgpr_workgroup_id_z 0
		.amdhsa_system_sgpr_workgroup_info 0
		.amdhsa_system_vgpr_workitem_id 0
		.amdhsa_next_free_vgpr 22
		.amdhsa_next_free_sgpr 16
		.amdhsa_reserve_vcc 1
		.amdhsa_float_round_mode_32 0
		.amdhsa_float_round_mode_16_64 0
		.amdhsa_float_denorm_mode_32 3
		.amdhsa_float_denorm_mode_16_64 3
		.amdhsa_dx10_clamp 1
		.amdhsa_ieee_mode 1
		.amdhsa_fp16_overflow 0
		.amdhsa_workgroup_processor_mode 1
		.amdhsa_memory_ordered 1
		.amdhsa_forward_progress 0
		.amdhsa_shared_vgpr_count 0
		.amdhsa_exception_fp_ieee_invalid_op 0
		.amdhsa_exception_fp_denorm_src 0
		.amdhsa_exception_fp_ieee_div_zero 0
		.amdhsa_exception_fp_ieee_overflow 0
		.amdhsa_exception_fp_ieee_underflow 0
		.amdhsa_exception_fp_ieee_inexact 0
		.amdhsa_exception_int_div_zero 0
	.end_amdhsa_kernel
	.section	.text._Z28inclusive_scan_reduce_kernelILj377ELN6hipcub18BlockScanAlgorithmE1EhEvPT1_S3_,"axG",@progbits,_Z28inclusive_scan_reduce_kernelILj377ELN6hipcub18BlockScanAlgorithmE1EhEvPT1_S3_,comdat
.Lfunc_end24:
	.size	_Z28inclusive_scan_reduce_kernelILj377ELN6hipcub18BlockScanAlgorithmE1EhEvPT1_S3_, .Lfunc_end24-_Z28inclusive_scan_reduce_kernelILj377ELN6hipcub18BlockScanAlgorithmE1EhEvPT1_S3_
                                        ; -- End function
	.section	.AMDGPU.csdata,"",@progbits
; Kernel info:
; codeLenInByte = 936
; NumSgprs: 18
; NumVgprs: 22
; ScratchSize: 0
; MemoryBound: 0
; FloatMode: 240
; IeeeMode: 1
; LDSByteSize: 384 bytes/workgroup (compile time only)
; SGPRBlocks: 2
; VGPRBlocks: 2
; NumSGPRsForWavesPerEU: 18
; NumVGPRsForWavesPerEU: 22
; Occupancy: 15
; WaveLimiterHint : 0
; COMPUTE_PGM_RSRC2:SCRATCH_EN: 0
; COMPUTE_PGM_RSRC2:USER_SGPR: 15
; COMPUTE_PGM_RSRC2:TRAP_HANDLER: 0
; COMPUTE_PGM_RSRC2:TGID_X_EN: 1
; COMPUTE_PGM_RSRC2:TGID_Y_EN: 0
; COMPUTE_PGM_RSRC2:TGID_Z_EN: 0
; COMPUTE_PGM_RSRC2:TIDIG_COMP_CNT: 0
	.section	.text._Z28inclusive_scan_reduce_kernelILj377ELN6hipcub18BlockScanAlgorithmE1EiEvPT1_S3_,"axG",@progbits,_Z28inclusive_scan_reduce_kernelILj377ELN6hipcub18BlockScanAlgorithmE1EiEvPT1_S3_,comdat
	.protected	_Z28inclusive_scan_reduce_kernelILj377ELN6hipcub18BlockScanAlgorithmE1EiEvPT1_S3_ ; -- Begin function _Z28inclusive_scan_reduce_kernelILj377ELN6hipcub18BlockScanAlgorithmE1EiEvPT1_S3_
	.globl	_Z28inclusive_scan_reduce_kernelILj377ELN6hipcub18BlockScanAlgorithmE1EiEvPT1_S3_
	.p2align	8
	.type	_Z28inclusive_scan_reduce_kernelILj377ELN6hipcub18BlockScanAlgorithmE1EiEvPT1_S3_,@function
_Z28inclusive_scan_reduce_kernelILj377ELN6hipcub18BlockScanAlgorithmE1EiEvPT1_S3_: ; @_Z28inclusive_scan_reduce_kernelILj377ELN6hipcub18BlockScanAlgorithmE1EiEvPT1_S3_
; %bb.0:
	s_load_b128 s[0:3], s[0:1], 0x0
	s_mov_b32 s4, s15
	v_lshlrev_b32_e32 v3, 2, v0
	v_mad_u64_u32 v[1:2], null, 0x179, s4, v[0:1]
	v_mov_b32_e32 v2, 0
	s_delay_alu instid0(VALU_DEP_1) | instskip(SKIP_1) | instid1(VALU_DEP_1)
	v_lshlrev_b64 v[1:2], 2, v[1:2]
	s_waitcnt lgkmcnt(0)
	v_add_co_u32 v1, vcc_lo, s0, v1
	s_delay_alu instid0(VALU_DEP_2)
	v_add_co_ci_u32_e32 v2, vcc_lo, s1, v2, vcc_lo
	s_mov_b32 s0, exec_lo
	global_load_b32 v4, v[1:2], off
	s_waitcnt vmcnt(0)
	ds_store_b32 v3, v4
	s_waitcnt lgkmcnt(0)
	s_barrier
	buffer_gl0_inv
	v_cmpx_gt_u32_e32 32, v0
	s_cbranch_execz .LBB25_2
; %bb.1:
	v_mul_u32_u24_e32 v5, 12, v0
	v_mbcnt_lo_u32_b32 v19, -1, 0
	s_delay_alu instid0(VALU_DEP_2) | instskip(NEXT) | instid1(VALU_DEP_2)
	v_lshlrev_b32_e32 v17, 2, v5
	v_bfe_i32 v22, v19, 4, 1
	ds_load_2addr_b32 v[5:6], v17 offset1:1
	ds_load_2addr_b32 v[7:8], v17 offset0:2 offset1:3
	ds_load_2addr_b32 v[9:10], v17 offset0:4 offset1:5
	;; [unrolled: 1-line block ×5, first 2 shown]
	s_waitcnt lgkmcnt(5)
	v_add_nc_u32_e32 v18, v6, v5
	s_waitcnt lgkmcnt(4)
	s_delay_alu instid0(VALU_DEP_1) | instskip(SKIP_1) | instid1(VALU_DEP_1)
	v_add3_u32 v18, v18, v7, v8
	s_waitcnt lgkmcnt(3)
	v_add3_u32 v18, v18, v9, v10
	s_waitcnt lgkmcnt(2)
	s_delay_alu instid0(VALU_DEP_1) | instskip(SKIP_1) | instid1(VALU_DEP_1)
	v_add3_u32 v18, v18, v11, v12
	s_waitcnt lgkmcnt(1)
	v_add3_u32 v18, v18, v13, v14
	s_waitcnt lgkmcnt(0)
	s_delay_alu instid0(VALU_DEP_1) | instskip(NEXT) | instid1(VALU_DEP_1)
	v_add3_u32 v18, v18, v15, v16
	v_mov_b32_dpp v21, v18 row_shr:1 row_mask:0xf bank_mask:0xf
	v_and_b32_e32 v20, 15, v19
	s_delay_alu instid0(VALU_DEP_1) | instskip(NEXT) | instid1(VALU_DEP_3)
	v_cmp_ne_u32_e32 vcc_lo, 0, v20
	v_cndmask_b32_e32 v21, 0, v21, vcc_lo
	v_cmp_lt_u32_e32 vcc_lo, 1, v20
	s_delay_alu instid0(VALU_DEP_2) | instskip(NEXT) | instid1(VALU_DEP_1)
	v_add_nc_u32_e32 v18, v21, v18
	v_mov_b32_dpp v21, v18 row_shr:2 row_mask:0xf bank_mask:0xf
	s_delay_alu instid0(VALU_DEP_1) | instskip(SKIP_1) | instid1(VALU_DEP_2)
	v_cndmask_b32_e32 v21, 0, v21, vcc_lo
	v_cmp_lt_u32_e32 vcc_lo, 3, v20
	v_add_nc_u32_e32 v18, v18, v21
	s_delay_alu instid0(VALU_DEP_1) | instskip(NEXT) | instid1(VALU_DEP_1)
	v_mov_b32_dpp v21, v18 row_shr:4 row_mask:0xf bank_mask:0xf
	v_cndmask_b32_e32 v21, 0, v21, vcc_lo
	v_cmp_lt_u32_e32 vcc_lo, 7, v20
	s_delay_alu instid0(VALU_DEP_2) | instskip(NEXT) | instid1(VALU_DEP_1)
	v_add_nc_u32_e32 v18, v18, v21
	v_mov_b32_dpp v21, v18 row_shr:8 row_mask:0xf bank_mask:0xf
	s_delay_alu instid0(VALU_DEP_1) | instskip(NEXT) | instid1(VALU_DEP_1)
	v_dual_cndmask_b32 v20, 0, v21 :: v_dual_add_nc_u32 v21, -1, v19
	v_add_nc_u32_e32 v18, v18, v20
	s_delay_alu instid0(VALU_DEP_2) | instskip(SKIP_3) | instid1(VALU_DEP_2)
	v_cmp_gt_i32_e32 vcc_lo, 0, v21
	ds_swizzle_b32 v20, v18 offset:swizzle(BROADCAST,32,15)
	v_cndmask_b32_e32 v19, v21, v19, vcc_lo
	v_cmp_eq_u32_e32 vcc_lo, 0, v0
	v_lshlrev_b32_e32 v19, 2, v19
	s_waitcnt lgkmcnt(0)
	v_and_b32_e32 v20, v22, v20
	s_delay_alu instid0(VALU_DEP_1) | instskip(SKIP_3) | instid1(VALU_DEP_1)
	v_add_nc_u32_e32 v18, v18, v20
	ds_bpermute_b32 v18, v19, v18
	s_waitcnt lgkmcnt(0)
	v_add_nc_u32_e32 v5, v18, v5
	v_cndmask_b32_e32 v4, v5, v4, vcc_lo
	s_delay_alu instid0(VALU_DEP_1) | instskip(NEXT) | instid1(VALU_DEP_1)
	v_add_nc_u32_e32 v5, v4, v6
	v_add_nc_u32_e32 v6, v5, v7
	s_delay_alu instid0(VALU_DEP_1) | instskip(NEXT) | instid1(VALU_DEP_1)
	v_add_nc_u32_e32 v7, v6, v8
	v_add_nc_u32_e32 v8, v7, v9
	;; [unrolled: 3-line block ×5, first 2 shown]
	s_delay_alu instid0(VALU_DEP_1)
	v_add_nc_u32_e32 v15, v14, v16
	ds_store_2addr_b32 v17, v4, v5 offset1:1
	ds_store_2addr_b32 v17, v6, v7 offset0:2 offset1:3
	ds_store_2addr_b32 v17, v8, v9 offset0:4 offset1:5
	;; [unrolled: 1-line block ×5, first 2 shown]
.LBB25_2:
	s_or_b32 exec_lo, exec_lo, s0
	s_waitcnt lgkmcnt(0)
	s_barrier
	buffer_gl0_inv
	ds_load_b32 v3, v3
	s_mov_b32 s5, 0
	s_mov_b32 s0, exec_lo
	s_waitcnt lgkmcnt(0)
	global_store_b32 v[1:2], v3, off
	v_cmpx_eq_u32_e32 0, v0
	s_cbranch_execz .LBB25_4
; %bb.3:
	v_mov_b32_e32 v0, 0
	s_lshl_b64 s[0:1], s[4:5], 2
	s_delay_alu instid0(SALU_CYCLE_1)
	s_add_u32 s0, s2, s0
	s_addc_u32 s1, s3, s1
	ds_load_b32 v1, v0 offset:1504
	s_waitcnt lgkmcnt(0)
	global_store_b32 v0, v1, s[0:1]
.LBB25_4:
	s_nop 0
	s_sendmsg sendmsg(MSG_DEALLOC_VGPRS)
	s_endpgm
	.section	.rodata,"a",@progbits
	.p2align	6, 0x0
	.amdhsa_kernel _Z28inclusive_scan_reduce_kernelILj377ELN6hipcub18BlockScanAlgorithmE1EiEvPT1_S3_
		.amdhsa_group_segment_fixed_size 1536
		.amdhsa_private_segment_fixed_size 0
		.amdhsa_kernarg_size 16
		.amdhsa_user_sgpr_count 15
		.amdhsa_user_sgpr_dispatch_ptr 0
		.amdhsa_user_sgpr_queue_ptr 0
		.amdhsa_user_sgpr_kernarg_segment_ptr 1
		.amdhsa_user_sgpr_dispatch_id 0
		.amdhsa_user_sgpr_private_segment_size 0
		.amdhsa_wavefront_size32 1
		.amdhsa_uses_dynamic_stack 0
		.amdhsa_enable_private_segment 0
		.amdhsa_system_sgpr_workgroup_id_x 1
		.amdhsa_system_sgpr_workgroup_id_y 0
		.amdhsa_system_sgpr_workgroup_id_z 0
		.amdhsa_system_sgpr_workgroup_info 0
		.amdhsa_system_vgpr_workitem_id 0
		.amdhsa_next_free_vgpr 23
		.amdhsa_next_free_sgpr 16
		.amdhsa_reserve_vcc 1
		.amdhsa_float_round_mode_32 0
		.amdhsa_float_round_mode_16_64 0
		.amdhsa_float_denorm_mode_32 3
		.amdhsa_float_denorm_mode_16_64 3
		.amdhsa_dx10_clamp 1
		.amdhsa_ieee_mode 1
		.amdhsa_fp16_overflow 0
		.amdhsa_workgroup_processor_mode 1
		.amdhsa_memory_ordered 1
		.amdhsa_forward_progress 0
		.amdhsa_shared_vgpr_count 0
		.amdhsa_exception_fp_ieee_invalid_op 0
		.amdhsa_exception_fp_denorm_src 0
		.amdhsa_exception_fp_ieee_div_zero 0
		.amdhsa_exception_fp_ieee_overflow 0
		.amdhsa_exception_fp_ieee_underflow 0
		.amdhsa_exception_fp_ieee_inexact 0
		.amdhsa_exception_int_div_zero 0
	.end_amdhsa_kernel
	.section	.text._Z28inclusive_scan_reduce_kernelILj377ELN6hipcub18BlockScanAlgorithmE1EiEvPT1_S3_,"axG",@progbits,_Z28inclusive_scan_reduce_kernelILj377ELN6hipcub18BlockScanAlgorithmE1EiEvPT1_S3_,comdat
.Lfunc_end25:
	.size	_Z28inclusive_scan_reduce_kernelILj377ELN6hipcub18BlockScanAlgorithmE1EiEvPT1_S3_, .Lfunc_end25-_Z28inclusive_scan_reduce_kernelILj377ELN6hipcub18BlockScanAlgorithmE1EiEvPT1_S3_
                                        ; -- End function
	.section	.AMDGPU.csdata,"",@progbits
; Kernel info:
; codeLenInByte = 668
; NumSgprs: 18
; NumVgprs: 23
; ScratchSize: 0
; MemoryBound: 0
; FloatMode: 240
; IeeeMode: 1
; LDSByteSize: 1536 bytes/workgroup (compile time only)
; SGPRBlocks: 2
; VGPRBlocks: 2
; NumSGPRsForWavesPerEU: 18
; NumVGPRsForWavesPerEU: 23
; Occupancy: 15
; WaveLimiterHint : 0
; COMPUTE_PGM_RSRC2:SCRATCH_EN: 0
; COMPUTE_PGM_RSRC2:USER_SGPR: 15
; COMPUTE_PGM_RSRC2:TRAP_HANDLER: 0
; COMPUTE_PGM_RSRC2:TGID_X_EN: 1
; COMPUTE_PGM_RSRC2:TGID_Y_EN: 0
; COMPUTE_PGM_RSRC2:TGID_Z_EN: 0
; COMPUTE_PGM_RSRC2:TIDIG_COMP_CNT: 0
	.section	.text._Z28inclusive_scan_reduce_kernelILj255ELN6hipcub18BlockScanAlgorithmE1EjEvPT1_S3_,"axG",@progbits,_Z28inclusive_scan_reduce_kernelILj255ELN6hipcub18BlockScanAlgorithmE1EjEvPT1_S3_,comdat
	.protected	_Z28inclusive_scan_reduce_kernelILj255ELN6hipcub18BlockScanAlgorithmE1EjEvPT1_S3_ ; -- Begin function _Z28inclusive_scan_reduce_kernelILj255ELN6hipcub18BlockScanAlgorithmE1EjEvPT1_S3_
	.globl	_Z28inclusive_scan_reduce_kernelILj255ELN6hipcub18BlockScanAlgorithmE1EjEvPT1_S3_
	.p2align	8
	.type	_Z28inclusive_scan_reduce_kernelILj255ELN6hipcub18BlockScanAlgorithmE1EjEvPT1_S3_,@function
_Z28inclusive_scan_reduce_kernelILj255ELN6hipcub18BlockScanAlgorithmE1EjEvPT1_S3_: ; @_Z28inclusive_scan_reduce_kernelILj255ELN6hipcub18BlockScanAlgorithmE1EjEvPT1_S3_
; %bb.0:
	s_load_b128 s[0:3], s[0:1], 0x0
	s_mov_b32 s4, s15
	v_lshrrev_b32_e32 v3, 5, v0
	v_mad_u64_u32 v[1:2], null, 0xff, s4, v[0:1]
	v_mov_b32_e32 v2, 0
	s_delay_alu instid0(VALU_DEP_3) | instskip(NEXT) | instid1(VALU_DEP_2)
	v_add_lshl_u32 v3, v3, v0, 2
	v_lshlrev_b64 v[1:2], 2, v[1:2]
	s_waitcnt lgkmcnt(0)
	s_delay_alu instid0(VALU_DEP_1) | instskip(NEXT) | instid1(VALU_DEP_2)
	v_add_co_u32 v1, vcc_lo, s0, v1
	v_add_co_ci_u32_e32 v2, vcc_lo, s1, v2, vcc_lo
	s_mov_b32 s0, exec_lo
	global_load_b32 v4, v[1:2], off
	s_waitcnt vmcnt(0)
	ds_store_b32 v3, v4
	s_waitcnt lgkmcnt(0)
	s_barrier
	buffer_gl0_inv
	v_cmpx_gt_u32_e32 32, v0
	s_cbranch_execz .LBB26_2
; %bb.1:
	v_and_b32_e32 v5, 0xfc, v0
	v_mbcnt_lo_u32_b32 v15, -1, 0
	s_delay_alu instid0(VALU_DEP_2) | instskip(NEXT) | instid1(VALU_DEP_2)
	v_lshl_or_b32 v13, v0, 5, v5
	v_add_nc_u32_e32 v18, -1, v15
	ds_load_2addr_b32 v[5:6], v13 offset1:1
	ds_load_2addr_b32 v[7:8], v13 offset0:2 offset1:3
	ds_load_2addr_b32 v[9:10], v13 offset0:4 offset1:5
	;; [unrolled: 1-line block ×3, first 2 shown]
	s_waitcnt lgkmcnt(3)
	v_add_nc_u32_e32 v14, v6, v5
	s_waitcnt lgkmcnt(2)
	s_delay_alu instid0(VALU_DEP_1) | instskip(SKIP_1) | instid1(VALU_DEP_1)
	v_add3_u32 v14, v14, v7, v8
	s_waitcnt lgkmcnt(1)
	v_add3_u32 v14, v14, v9, v10
	s_waitcnt lgkmcnt(0)
	s_delay_alu instid0(VALU_DEP_1) | instskip(NEXT) | instid1(VALU_DEP_1)
	v_add3_u32 v14, v14, v11, v12
	v_mov_b32_dpp v17, v14 row_shr:1 row_mask:0xf bank_mask:0xf
	v_and_b32_e32 v16, 15, v15
	s_delay_alu instid0(VALU_DEP_1) | instskip(NEXT) | instid1(VALU_DEP_3)
	v_cmp_ne_u32_e32 vcc_lo, 0, v16
	v_cndmask_b32_e32 v17, 0, v17, vcc_lo
	v_cmp_lt_u32_e32 vcc_lo, 1, v16
	s_delay_alu instid0(VALU_DEP_2) | instskip(NEXT) | instid1(VALU_DEP_1)
	v_add_nc_u32_e32 v14, v17, v14
	v_mov_b32_dpp v17, v14 row_shr:2 row_mask:0xf bank_mask:0xf
	s_delay_alu instid0(VALU_DEP_1) | instskip(SKIP_1) | instid1(VALU_DEP_2)
	v_cndmask_b32_e32 v17, 0, v17, vcc_lo
	v_cmp_lt_u32_e32 vcc_lo, 3, v16
	v_add_nc_u32_e32 v14, v14, v17
	s_delay_alu instid0(VALU_DEP_1) | instskip(NEXT) | instid1(VALU_DEP_1)
	v_mov_b32_dpp v17, v14 row_shr:4 row_mask:0xf bank_mask:0xf
	v_cndmask_b32_e32 v17, 0, v17, vcc_lo
	v_cmp_lt_u32_e32 vcc_lo, 7, v16
	s_delay_alu instid0(VALU_DEP_2) | instskip(NEXT) | instid1(VALU_DEP_1)
	v_add_nc_u32_e32 v14, v14, v17
	v_mov_b32_dpp v17, v14 row_shr:8 row_mask:0xf bank_mask:0xf
	s_delay_alu instid0(VALU_DEP_1) | instskip(SKIP_2) | instid1(VALU_DEP_3)
	v_cndmask_b32_e32 v16, 0, v17, vcc_lo
	v_bfe_i32 v17, v15, 4, 1
	v_cmp_gt_i32_e32 vcc_lo, 0, v18
	v_add_nc_u32_e32 v14, v14, v16
	v_cndmask_b32_e32 v15, v18, v15, vcc_lo
	v_cmp_eq_u32_e32 vcc_lo, 0, v0
	ds_swizzle_b32 v16, v14 offset:swizzle(BROADCAST,32,15)
	v_lshlrev_b32_e32 v15, 2, v15
	s_waitcnt lgkmcnt(0)
	v_and_b32_e32 v16, v17, v16
	s_delay_alu instid0(VALU_DEP_1) | instskip(SKIP_3) | instid1(VALU_DEP_1)
	v_add_nc_u32_e32 v14, v14, v16
	ds_bpermute_b32 v14, v15, v14
	s_waitcnt lgkmcnt(0)
	v_add_nc_u32_e32 v5, v14, v5
	v_cndmask_b32_e32 v4, v5, v4, vcc_lo
	s_delay_alu instid0(VALU_DEP_1) | instskip(NEXT) | instid1(VALU_DEP_1)
	v_add_nc_u32_e32 v5, v4, v6
	v_add_nc_u32_e32 v6, v5, v7
	s_delay_alu instid0(VALU_DEP_1) | instskip(NEXT) | instid1(VALU_DEP_1)
	v_add_nc_u32_e32 v7, v6, v8
	v_add_nc_u32_e32 v8, v7, v9
	;; [unrolled: 3-line block ×3, first 2 shown]
	s_delay_alu instid0(VALU_DEP_1)
	v_add_nc_u32_e32 v11, v10, v12
	ds_store_2addr_b32 v13, v4, v5 offset1:1
	ds_store_2addr_b32 v13, v6, v7 offset0:2 offset1:3
	ds_store_2addr_b32 v13, v8, v9 offset0:4 offset1:5
	;; [unrolled: 1-line block ×3, first 2 shown]
.LBB26_2:
	s_or_b32 exec_lo, exec_lo, s0
	s_waitcnt lgkmcnt(0)
	s_barrier
	buffer_gl0_inv
	ds_load_b32 v3, v3
	s_mov_b32 s5, 0
	s_mov_b32 s0, exec_lo
	s_waitcnt lgkmcnt(0)
	global_store_b32 v[1:2], v3, off
	v_cmpx_eq_u32_e32 0, v0
	s_cbranch_execz .LBB26_4
; %bb.3:
	v_mov_b32_e32 v0, 0
	s_lshl_b64 s[0:1], s[4:5], 2
	s_delay_alu instid0(SALU_CYCLE_1)
	s_add_u32 s0, s2, s0
	s_addc_u32 s1, s3, s1
	ds_load_b32 v1, v0 offset:1044
	s_waitcnt lgkmcnt(0)
	global_store_b32 v0, v1, s[0:1]
.LBB26_4:
	s_nop 0
	s_sendmsg sendmsg(MSG_DEALLOC_VGPRS)
	s_endpgm
	.section	.rodata,"a",@progbits
	.p2align	6, 0x0
	.amdhsa_kernel _Z28inclusive_scan_reduce_kernelILj255ELN6hipcub18BlockScanAlgorithmE1EjEvPT1_S3_
		.amdhsa_group_segment_fixed_size 1056
		.amdhsa_private_segment_fixed_size 0
		.amdhsa_kernarg_size 16
		.amdhsa_user_sgpr_count 15
		.amdhsa_user_sgpr_dispatch_ptr 0
		.amdhsa_user_sgpr_queue_ptr 0
		.amdhsa_user_sgpr_kernarg_segment_ptr 1
		.amdhsa_user_sgpr_dispatch_id 0
		.amdhsa_user_sgpr_private_segment_size 0
		.amdhsa_wavefront_size32 1
		.amdhsa_uses_dynamic_stack 0
		.amdhsa_enable_private_segment 0
		.amdhsa_system_sgpr_workgroup_id_x 1
		.amdhsa_system_sgpr_workgroup_id_y 0
		.amdhsa_system_sgpr_workgroup_id_z 0
		.amdhsa_system_sgpr_workgroup_info 0
		.amdhsa_system_vgpr_workitem_id 0
		.amdhsa_next_free_vgpr 19
		.amdhsa_next_free_sgpr 16
		.amdhsa_reserve_vcc 1
		.amdhsa_float_round_mode_32 0
		.amdhsa_float_round_mode_16_64 0
		.amdhsa_float_denorm_mode_32 3
		.amdhsa_float_denorm_mode_16_64 3
		.amdhsa_dx10_clamp 1
		.amdhsa_ieee_mode 1
		.amdhsa_fp16_overflow 0
		.amdhsa_workgroup_processor_mode 1
		.amdhsa_memory_ordered 1
		.amdhsa_forward_progress 0
		.amdhsa_shared_vgpr_count 0
		.amdhsa_exception_fp_ieee_invalid_op 0
		.amdhsa_exception_fp_denorm_src 0
		.amdhsa_exception_fp_ieee_div_zero 0
		.amdhsa_exception_fp_ieee_overflow 0
		.amdhsa_exception_fp_ieee_underflow 0
		.amdhsa_exception_fp_ieee_inexact 0
		.amdhsa_exception_int_div_zero 0
	.end_amdhsa_kernel
	.section	.text._Z28inclusive_scan_reduce_kernelILj255ELN6hipcub18BlockScanAlgorithmE1EjEvPT1_S3_,"axG",@progbits,_Z28inclusive_scan_reduce_kernelILj255ELN6hipcub18BlockScanAlgorithmE1EjEvPT1_S3_,comdat
.Lfunc_end26:
	.size	_Z28inclusive_scan_reduce_kernelILj255ELN6hipcub18BlockScanAlgorithmE1EjEvPT1_S3_, .Lfunc_end26-_Z28inclusive_scan_reduce_kernelILj255ELN6hipcub18BlockScanAlgorithmE1EjEvPT1_S3_
                                        ; -- End function
	.section	.AMDGPU.csdata,"",@progbits
; Kernel info:
; codeLenInByte = 596
; NumSgprs: 18
; NumVgprs: 19
; ScratchSize: 0
; MemoryBound: 0
; FloatMode: 240
; IeeeMode: 1
; LDSByteSize: 1056 bytes/workgroup (compile time only)
; SGPRBlocks: 2
; VGPRBlocks: 2
; NumSGPRsForWavesPerEU: 18
; NumVGPRsForWavesPerEU: 19
; Occupancy: 16
; WaveLimiterHint : 0
; COMPUTE_PGM_RSRC2:SCRATCH_EN: 0
; COMPUTE_PGM_RSRC2:USER_SGPR: 15
; COMPUTE_PGM_RSRC2:TRAP_HANDLER: 0
; COMPUTE_PGM_RSRC2:TGID_X_EN: 1
; COMPUTE_PGM_RSRC2:TGID_Y_EN: 0
; COMPUTE_PGM_RSRC2:TGID_Z_EN: 0
; COMPUTE_PGM_RSRC2:TIDIG_COMP_CNT: 0
	.section	.text._Z28inclusive_scan_reduce_kernelILj162ELN6hipcub18BlockScanAlgorithmE1EsEvPT1_S3_,"axG",@progbits,_Z28inclusive_scan_reduce_kernelILj162ELN6hipcub18BlockScanAlgorithmE1EsEvPT1_S3_,comdat
	.protected	_Z28inclusive_scan_reduce_kernelILj162ELN6hipcub18BlockScanAlgorithmE1EsEvPT1_S3_ ; -- Begin function _Z28inclusive_scan_reduce_kernelILj162ELN6hipcub18BlockScanAlgorithmE1EsEvPT1_S3_
	.globl	_Z28inclusive_scan_reduce_kernelILj162ELN6hipcub18BlockScanAlgorithmE1EsEvPT1_S3_
	.p2align	8
	.type	_Z28inclusive_scan_reduce_kernelILj162ELN6hipcub18BlockScanAlgorithmE1EsEvPT1_S3_,@function
_Z28inclusive_scan_reduce_kernelILj162ELN6hipcub18BlockScanAlgorithmE1EsEvPT1_S3_: ; @_Z28inclusive_scan_reduce_kernelILj162ELN6hipcub18BlockScanAlgorithmE1EsEvPT1_S3_
; %bb.0:
	s_load_b128 s[0:3], s[0:1], 0x0
	s_mov_b32 s4, s15
	v_lshlrev_b32_e32 v3, 1, v0
	v_mad_u64_u32 v[1:2], null, 0xa2, s4, v[0:1]
	v_mov_b32_e32 v2, 0
	s_delay_alu instid0(VALU_DEP_1) | instskip(SKIP_1) | instid1(VALU_DEP_1)
	v_lshlrev_b64 v[1:2], 1, v[1:2]
	s_waitcnt lgkmcnt(0)
	v_add_co_u32 v1, vcc_lo, s0, v1
	s_delay_alu instid0(VALU_DEP_2)
	v_add_co_ci_u32_e32 v2, vcc_lo, s1, v2, vcc_lo
	s_mov_b32 s0, exec_lo
	global_load_u16 v4, v[1:2], off
	s_waitcnt vmcnt(0)
	ds_store_b16 v3, v4
	s_waitcnt lgkmcnt(0)
	s_barrier
	buffer_gl0_inv
	v_cmpx_gt_u32_e32 32, v0
	s_cbranch_execz .LBB27_2
; %bb.1:
	v_mul_u32_u24_e32 v5, 6, v0
	v_mbcnt_lo_u32_b32 v13, -1, 0
	s_delay_alu instid0(VALU_DEP_2)
	v_lshlrev_b32_e32 v8, 1, v5
	ds_load_b96 v[5:7], v8
	s_waitcnt lgkmcnt(0)
	v_lshrrev_b32_e32 v9, 16, v5
	v_lshrrev_b32_e32 v11, 16, v6
	;; [unrolled: 1-line block ×3, first 2 shown]
	s_delay_alu instid0(VALU_DEP_3) | instskip(NEXT) | instid1(VALU_DEP_1)
	v_add_nc_u16 v10, v9, v5
	v_add_nc_u16 v10, v10, v6
	s_delay_alu instid0(VALU_DEP_1) | instskip(NEXT) | instid1(VALU_DEP_1)
	v_add_nc_u16 v10, v10, v11
	v_add_nc_u16 v10, v10, v7
	s_delay_alu instid0(VALU_DEP_1) | instskip(NEXT) | instid1(VALU_DEP_1)
	v_add_nc_u16 v10, v10, v12
	v_and_b32_e32 v14, 0xffff, v10
	s_delay_alu instid0(VALU_DEP_1) | instskip(SKIP_1) | instid1(VALU_DEP_1)
	v_mov_b32_dpp v14, v14 row_shr:1 row_mask:0xf bank_mask:0xf
	v_and_b32_e32 v15, 15, v13
	v_cmp_ne_u32_e32 vcc_lo, 0, v15
	s_delay_alu instid0(VALU_DEP_3) | instskip(SKIP_1) | instid1(VALU_DEP_2)
	v_cndmask_b32_e32 v14, 0, v14, vcc_lo
	v_cmp_lt_u32_e32 vcc_lo, 1, v15
	v_add_nc_u16 v10, v14, v10
	s_delay_alu instid0(VALU_DEP_1) | instskip(NEXT) | instid1(VALU_DEP_1)
	v_and_b32_e32 v14, 0xffff, v10
	v_mov_b32_dpp v14, v14 row_shr:2 row_mask:0xf bank_mask:0xf
	s_delay_alu instid0(VALU_DEP_1) | instskip(SKIP_1) | instid1(VALU_DEP_2)
	v_cndmask_b32_e32 v14, 0, v14, vcc_lo
	v_cmp_lt_u32_e32 vcc_lo, 3, v15
	v_add_nc_u16 v10, v10, v14
	s_delay_alu instid0(VALU_DEP_1) | instskip(NEXT) | instid1(VALU_DEP_1)
	v_and_b32_e32 v14, 0xffff, v10
	v_mov_b32_dpp v14, v14 row_shr:4 row_mask:0xf bank_mask:0xf
	s_delay_alu instid0(VALU_DEP_1) | instskip(SKIP_2) | instid1(VALU_DEP_3)
	v_cndmask_b32_e32 v14, 0, v14, vcc_lo
	v_cmp_lt_u32_e32 vcc_lo, 7, v15
	v_and_b32_e32 v15, 16, v13
	v_add_nc_u16 v10, v10, v14
	s_delay_alu instid0(VALU_DEP_1) | instskip(NEXT) | instid1(VALU_DEP_1)
	v_and_b32_e32 v14, 0xffff, v10
	v_mov_b32_dpp v14, v14 row_shr:8 row_mask:0xf bank_mask:0xf
	s_delay_alu instid0(VALU_DEP_1) | instskip(SKIP_2) | instid1(VALU_DEP_3)
	v_cndmask_b32_e32 v14, 0, v14, vcc_lo
	v_cmp_ne_u32_e32 vcc_lo, 0, v15
	v_add_nc_u32_e32 v15, -1, v13
	v_add_nc_u16 v10, v10, v14
	s_delay_alu instid0(VALU_DEP_1) | instskip(SKIP_4) | instid1(VALU_DEP_2)
	v_and_b32_e32 v14, 0xffff, v10
	ds_swizzle_b32 v14, v14 offset:swizzle(BROADCAST,32,15)
	s_waitcnt lgkmcnt(0)
	v_cndmask_b32_e32 v14, 0, v14, vcc_lo
	v_cmp_gt_i32_e32 vcc_lo, 0, v15
	v_add_nc_u16 v10, v10, v14
	v_cndmask_b32_e32 v13, v15, v13, vcc_lo
	v_cmp_eq_u32_e32 vcc_lo, 0, v0
	s_delay_alu instid0(VALU_DEP_3) | instskip(NEXT) | instid1(VALU_DEP_3)
	v_and_b32_e32 v10, 0xffff, v10
	v_lshlrev_b32_e32 v13, 2, v13
	ds_bpermute_b32 v10, v13, v10
	s_waitcnt lgkmcnt(0)
	v_add_nc_u16 v5, v5, v10
	s_delay_alu instid0(VALU_DEP_1) | instskip(NEXT) | instid1(VALU_DEP_1)
	v_cndmask_b32_e32 v4, v5, v4, vcc_lo
	v_add_nc_u16 v5, v4, v9
	s_delay_alu instid0(VALU_DEP_1) | instskip(SKIP_1) | instid1(VALU_DEP_2)
	v_add_nc_u16 v6, v5, v6
	v_perm_b32 v4, v5, v4, 0x5040100
	v_add_nc_u16 v9, v6, v11
	s_delay_alu instid0(VALU_DEP_1) | instskip(SKIP_1) | instid1(VALU_DEP_2)
	v_add_nc_u16 v7, v9, v7
	v_perm_b32 v5, v9, v6, 0x5040100
	v_add_nc_u16 v10, v7, v12
	s_delay_alu instid0(VALU_DEP_1)
	v_perm_b32 v6, v10, v7, 0x5040100
	ds_store_b96 v8, v[4:6]
.LBB27_2:
	s_or_b32 exec_lo, exec_lo, s0
	s_waitcnt lgkmcnt(0)
	s_barrier
	buffer_gl0_inv
	ds_load_u16 v3, v3
	s_mov_b32 s5, 0
	s_mov_b32 s0, exec_lo
	s_waitcnt lgkmcnt(0)
	global_store_b16 v[1:2], v3, off
	v_cmpx_eq_u32_e32 0, v0
	s_cbranch_execz .LBB27_4
; %bb.3:
	v_mov_b32_e32 v0, 0
	s_lshl_b64 s[0:1], s[4:5], 1
	s_delay_alu instid0(SALU_CYCLE_1)
	s_add_u32 s0, s2, s0
	s_addc_u32 s1, s3, s1
	ds_load_u16 v1, v0 offset:322
	s_waitcnt lgkmcnt(0)
	global_store_b16 v0, v1, s[0:1]
.LBB27_4:
	s_nop 0
	s_sendmsg sendmsg(MSG_DEALLOC_VGPRS)
	s_endpgm
	.section	.rodata,"a",@progbits
	.p2align	6, 0x0
	.amdhsa_kernel _Z28inclusive_scan_reduce_kernelILj162ELN6hipcub18BlockScanAlgorithmE1EsEvPT1_S3_
		.amdhsa_group_segment_fixed_size 384
		.amdhsa_private_segment_fixed_size 0
		.amdhsa_kernarg_size 16
		.amdhsa_user_sgpr_count 15
		.amdhsa_user_sgpr_dispatch_ptr 0
		.amdhsa_user_sgpr_queue_ptr 0
		.amdhsa_user_sgpr_kernarg_segment_ptr 1
		.amdhsa_user_sgpr_dispatch_id 0
		.amdhsa_user_sgpr_private_segment_size 0
		.amdhsa_wavefront_size32 1
		.amdhsa_uses_dynamic_stack 0
		.amdhsa_enable_private_segment 0
		.amdhsa_system_sgpr_workgroup_id_x 1
		.amdhsa_system_sgpr_workgroup_id_y 0
		.amdhsa_system_sgpr_workgroup_id_z 0
		.amdhsa_system_sgpr_workgroup_info 0
		.amdhsa_system_vgpr_workitem_id 0
		.amdhsa_next_free_vgpr 16
		.amdhsa_next_free_sgpr 16
		.amdhsa_reserve_vcc 1
		.amdhsa_float_round_mode_32 0
		.amdhsa_float_round_mode_16_64 0
		.amdhsa_float_denorm_mode_32 3
		.amdhsa_float_denorm_mode_16_64 3
		.amdhsa_dx10_clamp 1
		.amdhsa_ieee_mode 1
		.amdhsa_fp16_overflow 0
		.amdhsa_workgroup_processor_mode 1
		.amdhsa_memory_ordered 1
		.amdhsa_forward_progress 0
		.amdhsa_shared_vgpr_count 0
		.amdhsa_exception_fp_ieee_invalid_op 0
		.amdhsa_exception_fp_denorm_src 0
		.amdhsa_exception_fp_ieee_div_zero 0
		.amdhsa_exception_fp_ieee_overflow 0
		.amdhsa_exception_fp_ieee_underflow 0
		.amdhsa_exception_fp_ieee_inexact 0
		.amdhsa_exception_int_div_zero 0
	.end_amdhsa_kernel
	.section	.text._Z28inclusive_scan_reduce_kernelILj162ELN6hipcub18BlockScanAlgorithmE1EsEvPT1_S3_,"axG",@progbits,_Z28inclusive_scan_reduce_kernelILj162ELN6hipcub18BlockScanAlgorithmE1EsEvPT1_S3_,comdat
.Lfunc_end27:
	.size	_Z28inclusive_scan_reduce_kernelILj162ELN6hipcub18BlockScanAlgorithmE1EsEvPT1_S3_, .Lfunc_end27-_Z28inclusive_scan_reduce_kernelILj162ELN6hipcub18BlockScanAlgorithmE1EsEvPT1_S3_
                                        ; -- End function
	.section	.AMDGPU.csdata,"",@progbits
; Kernel info:
; codeLenInByte = 680
; NumSgprs: 18
; NumVgprs: 16
; ScratchSize: 0
; MemoryBound: 0
; FloatMode: 240
; IeeeMode: 1
; LDSByteSize: 384 bytes/workgroup (compile time only)
; SGPRBlocks: 2
; VGPRBlocks: 1
; NumSGPRsForWavesPerEU: 18
; NumVGPRsForWavesPerEU: 16
; Occupancy: 15
; WaveLimiterHint : 0
; COMPUTE_PGM_RSRC2:SCRATCH_EN: 0
; COMPUTE_PGM_RSRC2:USER_SGPR: 15
; COMPUTE_PGM_RSRC2:TRAP_HANDLER: 0
; COMPUTE_PGM_RSRC2:TGID_X_EN: 1
; COMPUTE_PGM_RSRC2:TGID_Y_EN: 0
; COMPUTE_PGM_RSRC2:TGID_Z_EN: 0
; COMPUTE_PGM_RSRC2:TIDIG_COMP_CNT: 0
	.section	.text._Z28inclusive_scan_reduce_kernelILj37ELN6hipcub18BlockScanAlgorithmE1ElEvPT1_S3_,"axG",@progbits,_Z28inclusive_scan_reduce_kernelILj37ELN6hipcub18BlockScanAlgorithmE1ElEvPT1_S3_,comdat
	.protected	_Z28inclusive_scan_reduce_kernelILj37ELN6hipcub18BlockScanAlgorithmE1ElEvPT1_S3_ ; -- Begin function _Z28inclusive_scan_reduce_kernelILj37ELN6hipcub18BlockScanAlgorithmE1ElEvPT1_S3_
	.globl	_Z28inclusive_scan_reduce_kernelILj37ELN6hipcub18BlockScanAlgorithmE1ElEvPT1_S3_
	.p2align	8
	.type	_Z28inclusive_scan_reduce_kernelILj37ELN6hipcub18BlockScanAlgorithmE1ElEvPT1_S3_,@function
_Z28inclusive_scan_reduce_kernelILj37ELN6hipcub18BlockScanAlgorithmE1ElEvPT1_S3_: ; @_Z28inclusive_scan_reduce_kernelILj37ELN6hipcub18BlockScanAlgorithmE1ElEvPT1_S3_
; %bb.0:
	s_load_b128 s[0:3], s[0:1], 0x0
	s_mov_b32 s4, s15
	s_delay_alu instid0(SALU_CYCLE_1) | instskip(SKIP_1) | instid1(VALU_DEP_1)
	v_mad_u64_u32 v[1:2], null, s4, 37, v[0:1]
	v_mov_b32_e32 v2, 0
	v_lshlrev_b64 v[1:2], 3, v[1:2]
	s_waitcnt lgkmcnt(0)
	s_delay_alu instid0(VALU_DEP_1) | instskip(NEXT) | instid1(VALU_DEP_2)
	v_add_co_u32 v5, vcc_lo, s0, v1
	v_add_co_ci_u32_e32 v6, vcc_lo, s1, v2, vcc_lo
	v_lshrrev_b32_e32 v1, 5, v0
	s_mov_b32 s0, exec_lo
	global_load_b64 v[7:8], v[5:6], off
	v_add_lshl_u32 v13, v1, v0, 3
	s_waitcnt vmcnt(0)
	ds_store_b64 v13, v[7:8]
	s_waitcnt lgkmcnt(0)
	s_barrier
	buffer_gl0_inv
	v_cmpx_gt_u32_e32 32, v0
	s_cbranch_execz .LBB28_10
; %bb.1:
	v_lshrrev_b32_e32 v1, 1, v0
	v_mbcnt_lo_u32_b32 v15, -1, 0
	s_mov_b32 s1, exec_lo
	s_delay_alu instid0(VALU_DEP_2) | instskip(NEXT) | instid1(VALU_DEP_1)
	v_and_b32_e32 v1, 24, v1
	v_lshl_or_b32 v14, v0, 4, v1
	ds_load_2addr_b64 v[1:4], v14 offset1:1
	s_waitcnt lgkmcnt(0)
	v_add_co_u32 v9, vcc_lo, v3, v1
	v_add_co_ci_u32_e32 v10, vcc_lo, v4, v2, vcc_lo
	v_and_b32_e32 v16, 15, v15
	s_delay_alu instid0(VALU_DEP_3) | instskip(NEXT) | instid1(VALU_DEP_3)
	v_mov_b32_dpp v18, v9 row_shr:1 row_mask:0xf bank_mask:0xf
	v_dual_mov_b32 v12, v10 :: v_dual_mov_b32 v11, v9
	v_mov_b32_dpp v17, v10 row_shr:1 row_mask:0xf bank_mask:0xf
	s_delay_alu instid0(VALU_DEP_4)
	v_cmpx_ne_u32_e32 0, v16
; %bb.2:
	s_delay_alu instid0(VALU_DEP_4) | instskip(SKIP_1) | instid1(VALU_DEP_2)
	v_add_co_u32 v9, vcc_lo, v9, v18
	v_add_co_ci_u32_e32 v10, vcc_lo, 0, v10, vcc_lo
	v_add_co_u32 v11, vcc_lo, 0, v9
	s_delay_alu instid0(VALU_DEP_2) | instskip(NEXT) | instid1(VALU_DEP_1)
	v_add_co_ci_u32_e32 v12, vcc_lo, v17, v10, vcc_lo
	v_mov_b32_e32 v10, v12
; %bb.3:
	s_or_b32 exec_lo, exec_lo, s1
	v_mov_b32_dpp v18, v9 row_shr:2 row_mask:0xf bank_mask:0xf
	s_delay_alu instid0(VALU_DEP_2)
	v_mov_b32_dpp v17, v10 row_shr:2 row_mask:0xf bank_mask:0xf
	s_mov_b32 s1, exec_lo
	v_cmpx_lt_u32_e32 1, v16
; %bb.4:
	s_delay_alu instid0(VALU_DEP_3) | instskip(SKIP_1) | instid1(VALU_DEP_2)
	v_add_co_u32 v9, vcc_lo, v11, v18
	v_add_co_ci_u32_e32 v10, vcc_lo, 0, v12, vcc_lo
	v_add_co_u32 v11, vcc_lo, 0, v9
	s_delay_alu instid0(VALU_DEP_2) | instskip(NEXT) | instid1(VALU_DEP_1)
	v_add_co_ci_u32_e32 v12, vcc_lo, v17, v10, vcc_lo
	v_mov_b32_e32 v10, v12
; %bb.5:
	s_or_b32 exec_lo, exec_lo, s1
	v_mov_b32_dpp v18, v9 row_shr:4 row_mask:0xf bank_mask:0xf
	s_delay_alu instid0(VALU_DEP_2)
	v_mov_b32_dpp v17, v10 row_shr:4 row_mask:0xf bank_mask:0xf
	s_mov_b32 s1, exec_lo
	v_cmpx_lt_u32_e32 3, v16
; %bb.6:
	s_delay_alu instid0(VALU_DEP_3) | instskip(SKIP_1) | instid1(VALU_DEP_2)
	;; [unrolled: 15-line block ×3, first 2 shown]
	v_add_co_u32 v9, vcc_lo, v11, v18
	v_add_co_ci_u32_e32 v10, vcc_lo, 0, v12, vcc_lo
	v_add_co_u32 v11, vcc_lo, 0, v9
	s_delay_alu instid0(VALU_DEP_2) | instskip(NEXT) | instid1(VALU_DEP_1)
	v_add_co_ci_u32_e32 v12, vcc_lo, v17, v10, vcc_lo
	v_mov_b32_e32 v10, v12
; %bb.9:
	s_or_b32 exec_lo, exec_lo, s1
	ds_swizzle_b32 v16, v9 offset:swizzle(BROADCAST,32,15)
	ds_swizzle_b32 v17, v10 offset:swizzle(BROADCAST,32,15)
	v_add_nc_u32_e32 v18, -1, v15
	v_and_b32_e32 v19, 16, v15
	s_delay_alu instid0(VALU_DEP_2) | instskip(SKIP_1) | instid1(VALU_DEP_1)
	v_cmp_gt_i32_e32 vcc_lo, 0, v18
	v_cndmask_b32_e32 v15, v18, v15, vcc_lo
	v_lshlrev_b32_e32 v15, 2, v15
	s_waitcnt lgkmcnt(1)
	v_add_co_u32 v11, vcc_lo, v11, v16
	v_add_co_ci_u32_e32 v12, vcc_lo, 0, v12, vcc_lo
	v_cmp_eq_u32_e32 vcc_lo, 0, v19
	s_delay_alu instid0(VALU_DEP_3) | instskip(SKIP_1) | instid1(VALU_DEP_3)
	v_cndmask_b32_e32 v9, v11, v9, vcc_lo
	s_waitcnt lgkmcnt(0)
	v_add_nc_u32_e32 v11, v17, v12
	ds_bpermute_b32 v9, v15, v9
	v_cndmask_b32_e32 v10, v11, v10, vcc_lo
	ds_bpermute_b32 v10, v15, v10
	s_waitcnt lgkmcnt(1)
	v_add_co_u32 v1, vcc_lo, v1, v9
	v_add_co_ci_u32_e32 v2, vcc_lo, 0, v2, vcc_lo
	s_delay_alu instid0(VALU_DEP_2) | instskip(SKIP_1) | instid1(VALU_DEP_2)
	v_add_co_u32 v1, vcc_lo, v1, 0
	s_waitcnt lgkmcnt(0)
	v_add_co_ci_u32_e32 v2, vcc_lo, v2, v10, vcc_lo
	v_cmp_eq_u32_e32 vcc_lo, 0, v0
	s_delay_alu instid0(VALU_DEP_2) | instskip(NEXT) | instid1(VALU_DEP_1)
	v_dual_cndmask_b32 v2, v2, v8 :: v_dual_cndmask_b32 v1, v1, v7
	v_add_co_u32 v3, vcc_lo, v1, v3
	s_delay_alu instid0(VALU_DEP_2)
	v_add_co_ci_u32_e32 v4, vcc_lo, v2, v4, vcc_lo
	ds_store_2addr_b64 v14, v[1:2], v[3:4] offset1:1
.LBB28_10:
	s_or_b32 exec_lo, exec_lo, s0
	s_waitcnt lgkmcnt(0)
	s_barrier
	buffer_gl0_inv
	ds_load_b64 v[1:2], v13
	s_mov_b32 s5, 0
	s_mov_b32 s0, exec_lo
	s_waitcnt lgkmcnt(0)
	global_store_b64 v[5:6], v[1:2], off
	v_cmpx_eq_u32_e32 0, v0
	s_cbranch_execz .LBB28_12
; %bb.11:
	v_mov_b32_e32 v2, 0
	s_lshl_b64 s[0:1], s[4:5], 3
	s_delay_alu instid0(SALU_CYCLE_1)
	s_add_u32 s0, s2, s0
	s_addc_u32 s1, s3, s1
	ds_load_b64 v[0:1], v2 offset:296
	s_waitcnt lgkmcnt(0)
	global_store_b64 v2, v[0:1], s[0:1]
.LBB28_12:
	s_nop 0
	s_sendmsg sendmsg(MSG_DEALLOC_VGPRS)
	s_endpgm
	.section	.rodata,"a",@progbits
	.p2align	6, 0x0
	.amdhsa_kernel _Z28inclusive_scan_reduce_kernelILj37ELN6hipcub18BlockScanAlgorithmE1ElEvPT1_S3_
		.amdhsa_group_segment_fixed_size 528
		.amdhsa_private_segment_fixed_size 0
		.amdhsa_kernarg_size 16
		.amdhsa_user_sgpr_count 15
		.amdhsa_user_sgpr_dispatch_ptr 0
		.amdhsa_user_sgpr_queue_ptr 0
		.amdhsa_user_sgpr_kernarg_segment_ptr 1
		.amdhsa_user_sgpr_dispatch_id 0
		.amdhsa_user_sgpr_private_segment_size 0
		.amdhsa_wavefront_size32 1
		.amdhsa_uses_dynamic_stack 0
		.amdhsa_enable_private_segment 0
		.amdhsa_system_sgpr_workgroup_id_x 1
		.amdhsa_system_sgpr_workgroup_id_y 0
		.amdhsa_system_sgpr_workgroup_id_z 0
		.amdhsa_system_sgpr_workgroup_info 0
		.amdhsa_system_vgpr_workitem_id 0
		.amdhsa_next_free_vgpr 20
		.amdhsa_next_free_sgpr 16
		.amdhsa_reserve_vcc 1
		.amdhsa_float_round_mode_32 0
		.amdhsa_float_round_mode_16_64 0
		.amdhsa_float_denorm_mode_32 3
		.amdhsa_float_denorm_mode_16_64 3
		.amdhsa_dx10_clamp 1
		.amdhsa_ieee_mode 1
		.amdhsa_fp16_overflow 0
		.amdhsa_workgroup_processor_mode 1
		.amdhsa_memory_ordered 1
		.amdhsa_forward_progress 0
		.amdhsa_shared_vgpr_count 0
		.amdhsa_exception_fp_ieee_invalid_op 0
		.amdhsa_exception_fp_denorm_src 0
		.amdhsa_exception_fp_ieee_div_zero 0
		.amdhsa_exception_fp_ieee_overflow 0
		.amdhsa_exception_fp_ieee_underflow 0
		.amdhsa_exception_fp_ieee_inexact 0
		.amdhsa_exception_int_div_zero 0
	.end_amdhsa_kernel
	.section	.text._Z28inclusive_scan_reduce_kernelILj37ELN6hipcub18BlockScanAlgorithmE1ElEvPT1_S3_,"axG",@progbits,_Z28inclusive_scan_reduce_kernelILj37ELN6hipcub18BlockScanAlgorithmE1ElEvPT1_S3_,comdat
.Lfunc_end28:
	.size	_Z28inclusive_scan_reduce_kernelILj37ELN6hipcub18BlockScanAlgorithmE1ElEvPT1_S3_, .Lfunc_end28-_Z28inclusive_scan_reduce_kernelILj37ELN6hipcub18BlockScanAlgorithmE1ElEvPT1_S3_
                                        ; -- End function
	.section	.AMDGPU.csdata,"",@progbits
; Kernel info:
; codeLenInByte = 736
; NumSgprs: 18
; NumVgprs: 20
; ScratchSize: 0
; MemoryBound: 0
; FloatMode: 240
; IeeeMode: 1
; LDSByteSize: 528 bytes/workgroup (compile time only)
; SGPRBlocks: 2
; VGPRBlocks: 2
; NumSGPRsForWavesPerEU: 18
; NumVGPRsForWavesPerEU: 20
; Occupancy: 16
; WaveLimiterHint : 0
; COMPUTE_PGM_RSRC2:SCRATCH_EN: 0
; COMPUTE_PGM_RSRC2:USER_SGPR: 15
; COMPUTE_PGM_RSRC2:TRAP_HANDLER: 0
; COMPUTE_PGM_RSRC2:TGID_X_EN: 1
; COMPUTE_PGM_RSRC2:TGID_Y_EN: 0
; COMPUTE_PGM_RSRC2:TGID_Z_EN: 0
; COMPUTE_PGM_RSRC2:TIDIG_COMP_CNT: 0
	.section	.text._Z28inclusive_scan_reduce_kernelILj65ELN6hipcub18BlockScanAlgorithmE1EmEvPT1_S3_,"axG",@progbits,_Z28inclusive_scan_reduce_kernelILj65ELN6hipcub18BlockScanAlgorithmE1EmEvPT1_S3_,comdat
	.protected	_Z28inclusive_scan_reduce_kernelILj65ELN6hipcub18BlockScanAlgorithmE1EmEvPT1_S3_ ; -- Begin function _Z28inclusive_scan_reduce_kernelILj65ELN6hipcub18BlockScanAlgorithmE1EmEvPT1_S3_
	.globl	_Z28inclusive_scan_reduce_kernelILj65ELN6hipcub18BlockScanAlgorithmE1EmEvPT1_S3_
	.p2align	8
	.type	_Z28inclusive_scan_reduce_kernelILj65ELN6hipcub18BlockScanAlgorithmE1EmEvPT1_S3_,@function
_Z28inclusive_scan_reduce_kernelILj65ELN6hipcub18BlockScanAlgorithmE1EmEvPT1_S3_: ; @_Z28inclusive_scan_reduce_kernelILj65ELN6hipcub18BlockScanAlgorithmE1EmEvPT1_S3_
; %bb.0:
	s_load_b128 s[0:3], s[0:1], 0x0
	s_mov_b32 s4, s15
	v_lshlrev_b32_e32 v15, 3, v0
	v_mad_u64_u32 v[1:2], null, 0x41, s4, v[0:1]
	v_mov_b32_e32 v2, 0
	s_delay_alu instid0(VALU_DEP_1) | instskip(SKIP_1) | instid1(VALU_DEP_1)
	v_lshlrev_b64 v[1:2], 3, v[1:2]
	s_waitcnt lgkmcnt(0)
	v_add_co_u32 v5, vcc_lo, s0, v1
	s_delay_alu instid0(VALU_DEP_2)
	v_add_co_ci_u32_e32 v6, vcc_lo, s1, v2, vcc_lo
	s_mov_b32 s0, exec_lo
	global_load_b64 v[7:8], v[5:6], off
	s_waitcnt vmcnt(0)
	ds_store_b64 v15, v[7:8]
	s_waitcnt lgkmcnt(0)
	s_barrier
	buffer_gl0_inv
	v_cmpx_gt_u32_e32 32, v0
	s_cbranch_execz .LBB29_10
; %bb.1:
	v_mul_u32_u24_e32 v1, 3, v0
	v_mbcnt_lo_u32_b32 v17, -1, 0
	s_mov_b32 s1, exec_lo
	s_delay_alu instid0(VALU_DEP_2) | instskip(NEXT) | instid1(VALU_DEP_2)
	v_lshlrev_b32_e32 v16, 3, v1
	v_and_b32_e32 v18, 15, v17
	ds_load_2addr_b64 v[1:4], v16 offset1:1
	ds_load_b64 v[9:10], v16 offset:16
	s_waitcnt lgkmcnt(1)
	v_add_co_u32 v11, vcc_lo, v3, v1
	v_add_co_ci_u32_e32 v12, vcc_lo, v4, v2, vcc_lo
	s_waitcnt lgkmcnt(0)
	s_delay_alu instid0(VALU_DEP_2) | instskip(NEXT) | instid1(VALU_DEP_2)
	v_add_co_u32 v11, vcc_lo, v11, v9
	v_add_co_ci_u32_e32 v12, vcc_lo, v12, v10, vcc_lo
	s_delay_alu instid0(VALU_DEP_2) | instskip(NEXT) | instid1(VALU_DEP_2)
	v_mov_b32_dpp v20, v11 row_shr:1 row_mask:0xf bank_mask:0xf
	v_dual_mov_b32 v14, v12 :: v_dual_mov_b32 v13, v11
	v_mov_b32_dpp v19, v12 row_shr:1 row_mask:0xf bank_mask:0xf
	v_cmpx_ne_u32_e32 0, v18
; %bb.2:
	s_delay_alu instid0(VALU_DEP_4) | instskip(SKIP_1) | instid1(VALU_DEP_2)
	v_add_co_u32 v11, vcc_lo, v11, v20
	v_add_co_ci_u32_e32 v12, vcc_lo, 0, v12, vcc_lo
	v_add_co_u32 v13, vcc_lo, 0, v11
	s_delay_alu instid0(VALU_DEP_2) | instskip(NEXT) | instid1(VALU_DEP_1)
	v_add_co_ci_u32_e32 v14, vcc_lo, v19, v12, vcc_lo
	v_mov_b32_e32 v12, v14
; %bb.3:
	s_or_b32 exec_lo, exec_lo, s1
	v_mov_b32_dpp v20, v11 row_shr:2 row_mask:0xf bank_mask:0xf
	s_delay_alu instid0(VALU_DEP_2)
	v_mov_b32_dpp v19, v12 row_shr:2 row_mask:0xf bank_mask:0xf
	s_mov_b32 s1, exec_lo
	v_cmpx_lt_u32_e32 1, v18
; %bb.4:
	s_delay_alu instid0(VALU_DEP_3) | instskip(SKIP_1) | instid1(VALU_DEP_2)
	v_add_co_u32 v11, vcc_lo, v13, v20
	v_add_co_ci_u32_e32 v12, vcc_lo, 0, v14, vcc_lo
	v_add_co_u32 v13, vcc_lo, 0, v11
	s_delay_alu instid0(VALU_DEP_2) | instskip(NEXT) | instid1(VALU_DEP_1)
	v_add_co_ci_u32_e32 v14, vcc_lo, v19, v12, vcc_lo
	v_mov_b32_e32 v12, v14
; %bb.5:
	s_or_b32 exec_lo, exec_lo, s1
	v_mov_b32_dpp v20, v11 row_shr:4 row_mask:0xf bank_mask:0xf
	s_delay_alu instid0(VALU_DEP_2)
	v_mov_b32_dpp v19, v12 row_shr:4 row_mask:0xf bank_mask:0xf
	s_mov_b32 s1, exec_lo
	v_cmpx_lt_u32_e32 3, v18
; %bb.6:
	s_delay_alu instid0(VALU_DEP_3) | instskip(SKIP_1) | instid1(VALU_DEP_2)
	;; [unrolled: 15-line block ×3, first 2 shown]
	v_add_co_u32 v11, vcc_lo, v13, v20
	v_add_co_ci_u32_e32 v12, vcc_lo, 0, v14, vcc_lo
	v_add_co_u32 v13, vcc_lo, 0, v11
	s_delay_alu instid0(VALU_DEP_2) | instskip(NEXT) | instid1(VALU_DEP_1)
	v_add_co_ci_u32_e32 v14, vcc_lo, v19, v12, vcc_lo
	v_mov_b32_e32 v12, v14
; %bb.9:
	s_or_b32 exec_lo, exec_lo, s1
	ds_swizzle_b32 v18, v11 offset:swizzle(BROADCAST,32,15)
	ds_swizzle_b32 v19, v12 offset:swizzle(BROADCAST,32,15)
	v_add_nc_u32_e32 v20, -1, v17
	v_and_b32_e32 v21, 16, v17
	s_delay_alu instid0(VALU_DEP_2) | instskip(SKIP_1) | instid1(VALU_DEP_1)
	v_cmp_gt_i32_e32 vcc_lo, 0, v20
	v_cndmask_b32_e32 v17, v20, v17, vcc_lo
	v_lshlrev_b32_e32 v17, 2, v17
	s_waitcnt lgkmcnt(1)
	v_add_co_u32 v13, vcc_lo, v13, v18
	v_add_co_ci_u32_e32 v14, vcc_lo, 0, v14, vcc_lo
	v_cmp_eq_u32_e32 vcc_lo, 0, v21
	s_delay_alu instid0(VALU_DEP_3) | instskip(SKIP_1) | instid1(VALU_DEP_3)
	v_cndmask_b32_e32 v11, v13, v11, vcc_lo
	s_waitcnt lgkmcnt(0)
	v_add_nc_u32_e32 v13, v19, v14
	ds_bpermute_b32 v11, v17, v11
	v_cndmask_b32_e32 v12, v13, v12, vcc_lo
	ds_bpermute_b32 v12, v17, v12
	s_waitcnt lgkmcnt(1)
	v_add_co_u32 v1, vcc_lo, v1, v11
	v_add_co_ci_u32_e32 v2, vcc_lo, 0, v2, vcc_lo
	s_delay_alu instid0(VALU_DEP_2) | instskip(SKIP_1) | instid1(VALU_DEP_2)
	v_add_co_u32 v1, vcc_lo, v1, 0
	s_waitcnt lgkmcnt(0)
	v_add_co_ci_u32_e32 v2, vcc_lo, v2, v12, vcc_lo
	v_cmp_eq_u32_e32 vcc_lo, 0, v0
	s_delay_alu instid0(VALU_DEP_2) | instskip(NEXT) | instid1(VALU_DEP_1)
	v_dual_cndmask_b32 v2, v2, v8 :: v_dual_cndmask_b32 v1, v1, v7
	v_add_co_u32 v3, vcc_lo, v1, v3
	s_delay_alu instid0(VALU_DEP_2) | instskip(NEXT) | instid1(VALU_DEP_2)
	v_add_co_ci_u32_e32 v4, vcc_lo, v2, v4, vcc_lo
	v_add_co_u32 v7, vcc_lo, v3, v9
	s_delay_alu instid0(VALU_DEP_2)
	v_add_co_ci_u32_e32 v8, vcc_lo, v4, v10, vcc_lo
	ds_store_2addr_b64 v16, v[1:2], v[3:4] offset1:1
	ds_store_b64 v16, v[7:8] offset:16
.LBB29_10:
	s_or_b32 exec_lo, exec_lo, s0
	s_waitcnt lgkmcnt(0)
	s_barrier
	buffer_gl0_inv
	ds_load_b64 v[1:2], v15
	s_mov_b32 s5, 0
	s_mov_b32 s0, exec_lo
	s_waitcnt lgkmcnt(0)
	global_store_b64 v[5:6], v[1:2], off
	v_cmpx_eq_u32_e32 0, v0
	s_cbranch_execz .LBB29_12
; %bb.11:
	v_mov_b32_e32 v2, 0
	s_lshl_b64 s[0:1], s[4:5], 3
	s_delay_alu instid0(SALU_CYCLE_1)
	s_add_u32 s0, s2, s0
	s_addc_u32 s1, s3, s1
	ds_load_b64 v[0:1], v2 offset:512
	s_waitcnt lgkmcnt(0)
	global_store_b64 v2, v[0:1], s[0:1]
.LBB29_12:
	s_nop 0
	s_sendmsg sendmsg(MSG_DEALLOC_VGPRS)
	s_endpgm
	.section	.rodata,"a",@progbits
	.p2align	6, 0x0
	.amdhsa_kernel _Z28inclusive_scan_reduce_kernelILj65ELN6hipcub18BlockScanAlgorithmE1EmEvPT1_S3_
		.amdhsa_group_segment_fixed_size 768
		.amdhsa_private_segment_fixed_size 0
		.amdhsa_kernarg_size 16
		.amdhsa_user_sgpr_count 15
		.amdhsa_user_sgpr_dispatch_ptr 0
		.amdhsa_user_sgpr_queue_ptr 0
		.amdhsa_user_sgpr_kernarg_segment_ptr 1
		.amdhsa_user_sgpr_dispatch_id 0
		.amdhsa_user_sgpr_private_segment_size 0
		.amdhsa_wavefront_size32 1
		.amdhsa_uses_dynamic_stack 0
		.amdhsa_enable_private_segment 0
		.amdhsa_system_sgpr_workgroup_id_x 1
		.amdhsa_system_sgpr_workgroup_id_y 0
		.amdhsa_system_sgpr_workgroup_id_z 0
		.amdhsa_system_sgpr_workgroup_info 0
		.amdhsa_system_vgpr_workitem_id 0
		.amdhsa_next_free_vgpr 22
		.amdhsa_next_free_sgpr 16
		.amdhsa_reserve_vcc 1
		.amdhsa_float_round_mode_32 0
		.amdhsa_float_round_mode_16_64 0
		.amdhsa_float_denorm_mode_32 3
		.amdhsa_float_denorm_mode_16_64 3
		.amdhsa_dx10_clamp 1
		.amdhsa_ieee_mode 1
		.amdhsa_fp16_overflow 0
		.amdhsa_workgroup_processor_mode 1
		.amdhsa_memory_ordered 1
		.amdhsa_forward_progress 0
		.amdhsa_shared_vgpr_count 0
		.amdhsa_exception_fp_ieee_invalid_op 0
		.amdhsa_exception_fp_denorm_src 0
		.amdhsa_exception_fp_ieee_div_zero 0
		.amdhsa_exception_fp_ieee_overflow 0
		.amdhsa_exception_fp_ieee_underflow 0
		.amdhsa_exception_fp_ieee_inexact 0
		.amdhsa_exception_int_div_zero 0
	.end_amdhsa_kernel
	.section	.text._Z28inclusive_scan_reduce_kernelILj65ELN6hipcub18BlockScanAlgorithmE1EmEvPT1_S3_,"axG",@progbits,_Z28inclusive_scan_reduce_kernelILj65ELN6hipcub18BlockScanAlgorithmE1EmEvPT1_S3_,comdat
.Lfunc_end29:
	.size	_Z28inclusive_scan_reduce_kernelILj65ELN6hipcub18BlockScanAlgorithmE1EmEvPT1_S3_, .Lfunc_end29-_Z28inclusive_scan_reduce_kernelILj65ELN6hipcub18BlockScanAlgorithmE1EmEvPT1_S3_
                                        ; -- End function
	.section	.AMDGPU.csdata,"",@progbits
; Kernel info:
; codeLenInByte = 772
; NumSgprs: 18
; NumVgprs: 22
; ScratchSize: 0
; MemoryBound: 0
; FloatMode: 240
; IeeeMode: 1
; LDSByteSize: 768 bytes/workgroup (compile time only)
; SGPRBlocks: 2
; VGPRBlocks: 2
; NumSGPRsForWavesPerEU: 18
; NumVGPRsForWavesPerEU: 22
; Occupancy: 16
; WaveLimiterHint : 0
; COMPUTE_PGM_RSRC2:SCRATCH_EN: 0
; COMPUTE_PGM_RSRC2:USER_SGPR: 15
; COMPUTE_PGM_RSRC2:TRAP_HANDLER: 0
; COMPUTE_PGM_RSRC2:TGID_X_EN: 1
; COMPUTE_PGM_RSRC2:TGID_Y_EN: 0
; COMPUTE_PGM_RSRC2:TGID_Z_EN: 0
; COMPUTE_PGM_RSRC2:TIDIG_COMP_CNT: 0
	.section	.text._Z28inclusive_scan_reduce_kernelILj512ELN6hipcub18BlockScanAlgorithmE1EiEvPT1_S3_,"axG",@progbits,_Z28inclusive_scan_reduce_kernelILj512ELN6hipcub18BlockScanAlgorithmE1EiEvPT1_S3_,comdat
	.protected	_Z28inclusive_scan_reduce_kernelILj512ELN6hipcub18BlockScanAlgorithmE1EiEvPT1_S3_ ; -- Begin function _Z28inclusive_scan_reduce_kernelILj512ELN6hipcub18BlockScanAlgorithmE1EiEvPT1_S3_
	.globl	_Z28inclusive_scan_reduce_kernelILj512ELN6hipcub18BlockScanAlgorithmE1EiEvPT1_S3_
	.p2align	8
	.type	_Z28inclusive_scan_reduce_kernelILj512ELN6hipcub18BlockScanAlgorithmE1EiEvPT1_S3_,@function
_Z28inclusive_scan_reduce_kernelILj512ELN6hipcub18BlockScanAlgorithmE1EiEvPT1_S3_: ; @_Z28inclusive_scan_reduce_kernelILj512ELN6hipcub18BlockScanAlgorithmE1EiEvPT1_S3_
; %bb.0:
	s_load_b128 s[0:3], s[0:1], 0x0
	s_mov_b32 s4, s15
	v_mov_b32_e32 v2, 0
	v_lshl_or_b32 v1, s4, 9, v0
	v_lshrrev_b32_e32 v3, 5, v0
	s_delay_alu instid0(VALU_DEP_2) | instskip(NEXT) | instid1(VALU_DEP_2)
	v_lshlrev_b64 v[1:2], 2, v[1:2]
	v_add_lshl_u32 v3, v3, v0, 2
	s_waitcnt lgkmcnt(0)
	s_delay_alu instid0(VALU_DEP_2) | instskip(NEXT) | instid1(VALU_DEP_3)
	v_add_co_u32 v1, vcc_lo, s0, v1
	v_add_co_ci_u32_e32 v2, vcc_lo, s1, v2, vcc_lo
	s_mov_b32 s0, exec_lo
	global_load_b32 v4, v[1:2], off
	s_waitcnt vmcnt(0)
	ds_store_b32 v3, v4
	s_waitcnt lgkmcnt(0)
	s_barrier
	buffer_gl0_inv
	v_cmpx_gt_u32_e32 32, v0
	s_cbranch_execz .LBB30_2
; %bb.1:
	v_lshlrev_b32_e32 v5, 1, v0
	v_mbcnt_lo_u32_b32 v23, -1, 0
	s_delay_alu instid0(VALU_DEP_2) | instskip(NEXT) | instid1(VALU_DEP_2)
	v_and_b32_e32 v5, 0x3fc, v5
	v_bfe_i32 v26, v23, 4, 1
	s_delay_alu instid0(VALU_DEP_2)
	v_lshl_or_b32 v21, v0, 6, v5
	ds_load_2addr_b32 v[5:6], v21 offset1:1
	ds_load_2addr_b32 v[7:8], v21 offset0:2 offset1:3
	ds_load_2addr_b32 v[9:10], v21 offset0:4 offset1:5
	;; [unrolled: 1-line block ×4, first 2 shown]
	s_waitcnt lgkmcnt(4)
	v_add_nc_u32_e32 v15, v6, v5
	s_waitcnt lgkmcnt(3)
	s_delay_alu instid0(VALU_DEP_1)
	v_add3_u32 v17, v15, v7, v8
	ds_load_2addr_b32 v[15:16], v21 offset0:10 offset1:11
	s_waitcnt lgkmcnt(3)
	v_add3_u32 v22, v17, v9, v10
	ds_load_2addr_b32 v[17:18], v21 offset0:12 offset1:13
	ds_load_2addr_b32 v[19:20], v21 offset0:14 offset1:15
	s_waitcnt lgkmcnt(4)
	v_add3_u32 v22, v22, v11, v12
	s_waitcnt lgkmcnt(3)
	s_delay_alu instid0(VALU_DEP_1) | instskip(SKIP_1) | instid1(VALU_DEP_1)
	v_add3_u32 v22, v22, v13, v14
	s_waitcnt lgkmcnt(2)
	v_add3_u32 v22, v22, v15, v16
	s_waitcnt lgkmcnt(1)
	s_delay_alu instid0(VALU_DEP_1) | instskip(SKIP_1) | instid1(VALU_DEP_1)
	v_add3_u32 v22, v22, v17, v18
	s_waitcnt lgkmcnt(0)
	v_add3_u32 v22, v22, v19, v20
	s_delay_alu instid0(VALU_DEP_1) | instskip(SKIP_1) | instid1(VALU_DEP_1)
	v_mov_b32_dpp v25, v22 row_shr:1 row_mask:0xf bank_mask:0xf
	v_and_b32_e32 v24, 15, v23
	v_cmp_ne_u32_e32 vcc_lo, 0, v24
	s_delay_alu instid0(VALU_DEP_3) | instskip(SKIP_1) | instid1(VALU_DEP_2)
	v_cndmask_b32_e32 v25, 0, v25, vcc_lo
	v_cmp_lt_u32_e32 vcc_lo, 1, v24
	v_add_nc_u32_e32 v22, v25, v22
	s_delay_alu instid0(VALU_DEP_1) | instskip(NEXT) | instid1(VALU_DEP_1)
	v_mov_b32_dpp v25, v22 row_shr:2 row_mask:0xf bank_mask:0xf
	v_cndmask_b32_e32 v25, 0, v25, vcc_lo
	v_cmp_lt_u32_e32 vcc_lo, 3, v24
	s_delay_alu instid0(VALU_DEP_2) | instskip(NEXT) | instid1(VALU_DEP_1)
	v_add_nc_u32_e32 v22, v22, v25
	v_mov_b32_dpp v25, v22 row_shr:4 row_mask:0xf bank_mask:0xf
	s_delay_alu instid0(VALU_DEP_1) | instskip(SKIP_1) | instid1(VALU_DEP_2)
	v_cndmask_b32_e32 v25, 0, v25, vcc_lo
	v_cmp_lt_u32_e32 vcc_lo, 7, v24
	v_add_nc_u32_e32 v22, v22, v25
	s_delay_alu instid0(VALU_DEP_1) | instskip(NEXT) | instid1(VALU_DEP_1)
	v_mov_b32_dpp v25, v22 row_shr:8 row_mask:0xf bank_mask:0xf
	v_dual_cndmask_b32 v24, 0, v25 :: v_dual_add_nc_u32 v25, -1, v23
	s_delay_alu instid0(VALU_DEP_1) | instskip(NEXT) | instid1(VALU_DEP_2)
	v_add_nc_u32_e32 v22, v22, v24
	v_cmp_gt_i32_e32 vcc_lo, 0, v25
	ds_swizzle_b32 v24, v22 offset:swizzle(BROADCAST,32,15)
	v_cndmask_b32_e32 v23, v25, v23, vcc_lo
	v_cmp_eq_u32_e32 vcc_lo, 0, v0
	s_delay_alu instid0(VALU_DEP_2) | instskip(SKIP_2) | instid1(VALU_DEP_1)
	v_lshlrev_b32_e32 v23, 2, v23
	s_waitcnt lgkmcnt(0)
	v_and_b32_e32 v24, v26, v24
	v_add_nc_u32_e32 v22, v22, v24
	ds_bpermute_b32 v22, v23, v22
	s_waitcnt lgkmcnt(0)
	v_add_nc_u32_e32 v5, v22, v5
	s_delay_alu instid0(VALU_DEP_1) | instskip(NEXT) | instid1(VALU_DEP_1)
	v_cndmask_b32_e32 v4, v5, v4, vcc_lo
	v_add_nc_u32_e32 v5, v4, v6
	s_delay_alu instid0(VALU_DEP_1) | instskip(NEXT) | instid1(VALU_DEP_1)
	v_add_nc_u32_e32 v6, v5, v7
	v_add_nc_u32_e32 v7, v6, v8
	s_delay_alu instid0(VALU_DEP_1) | instskip(NEXT) | instid1(VALU_DEP_1)
	v_add_nc_u32_e32 v8, v7, v9
	;; [unrolled: 3-line block ×7, first 2 shown]
	v_add_nc_u32_e32 v19, v18, v20
	ds_store_2addr_b32 v21, v4, v5 offset1:1
	ds_store_2addr_b32 v21, v6, v7 offset0:2 offset1:3
	ds_store_2addr_b32 v21, v8, v9 offset0:4 offset1:5
	;; [unrolled: 1-line block ×7, first 2 shown]
.LBB30_2:
	s_or_b32 exec_lo, exec_lo, s0
	s_waitcnt lgkmcnt(0)
	s_barrier
	buffer_gl0_inv
	ds_load_b32 v3, v3
	s_mov_b32 s5, 0
	s_mov_b32 s0, exec_lo
	s_waitcnt lgkmcnt(0)
	global_store_b32 v[1:2], v3, off
	v_cmpx_eq_u32_e32 0, v0
	s_cbranch_execz .LBB30_4
; %bb.3:
	v_mov_b32_e32 v0, 0
	s_lshl_b64 s[0:1], s[4:5], 2
	s_delay_alu instid0(SALU_CYCLE_1)
	s_add_u32 s0, s2, s0
	s_addc_u32 s1, s3, s1
	ds_load_b32 v1, v0 offset:2104
	s_waitcnt lgkmcnt(0)
	global_store_b32 v0, v1, s[0:1]
.LBB30_4:
	s_nop 0
	s_sendmsg sendmsg(MSG_DEALLOC_VGPRS)
	s_endpgm
	.section	.rodata,"a",@progbits
	.p2align	6, 0x0
	.amdhsa_kernel _Z28inclusive_scan_reduce_kernelILj512ELN6hipcub18BlockScanAlgorithmE1EiEvPT1_S3_
		.amdhsa_group_segment_fixed_size 2112
		.amdhsa_private_segment_fixed_size 0
		.amdhsa_kernarg_size 16
		.amdhsa_user_sgpr_count 15
		.amdhsa_user_sgpr_dispatch_ptr 0
		.amdhsa_user_sgpr_queue_ptr 0
		.amdhsa_user_sgpr_kernarg_segment_ptr 1
		.amdhsa_user_sgpr_dispatch_id 0
		.amdhsa_user_sgpr_private_segment_size 0
		.amdhsa_wavefront_size32 1
		.amdhsa_uses_dynamic_stack 0
		.amdhsa_enable_private_segment 0
		.amdhsa_system_sgpr_workgroup_id_x 1
		.amdhsa_system_sgpr_workgroup_id_y 0
		.amdhsa_system_sgpr_workgroup_id_z 0
		.amdhsa_system_sgpr_workgroup_info 0
		.amdhsa_system_vgpr_workitem_id 0
		.amdhsa_next_free_vgpr 27
		.amdhsa_next_free_sgpr 16
		.amdhsa_reserve_vcc 1
		.amdhsa_float_round_mode_32 0
		.amdhsa_float_round_mode_16_64 0
		.amdhsa_float_denorm_mode_32 3
		.amdhsa_float_denorm_mode_16_64 3
		.amdhsa_dx10_clamp 1
		.amdhsa_ieee_mode 1
		.amdhsa_fp16_overflow 0
		.amdhsa_workgroup_processor_mode 1
		.amdhsa_memory_ordered 1
		.amdhsa_forward_progress 0
		.amdhsa_shared_vgpr_count 0
		.amdhsa_exception_fp_ieee_invalid_op 0
		.amdhsa_exception_fp_denorm_src 0
		.amdhsa_exception_fp_ieee_div_zero 0
		.amdhsa_exception_fp_ieee_overflow 0
		.amdhsa_exception_fp_ieee_underflow 0
		.amdhsa_exception_fp_ieee_inexact 0
		.amdhsa_exception_int_div_zero 0
	.end_amdhsa_kernel
	.section	.text._Z28inclusive_scan_reduce_kernelILj512ELN6hipcub18BlockScanAlgorithmE1EiEvPT1_S3_,"axG",@progbits,_Z28inclusive_scan_reduce_kernelILj512ELN6hipcub18BlockScanAlgorithmE1EiEvPT1_S3_,comdat
.Lfunc_end30:
	.size	_Z28inclusive_scan_reduce_kernelILj512ELN6hipcub18BlockScanAlgorithmE1EiEvPT1_S3_, .Lfunc_end30-_Z28inclusive_scan_reduce_kernelILj512ELN6hipcub18BlockScanAlgorithmE1EiEvPT1_S3_
                                        ; -- End function
	.section	.AMDGPU.csdata,"",@progbits
; Kernel info:
; codeLenInByte = 768
; NumSgprs: 18
; NumVgprs: 27
; ScratchSize: 0
; MemoryBound: 0
; FloatMode: 240
; IeeeMode: 1
; LDSByteSize: 2112 bytes/workgroup (compile time only)
; SGPRBlocks: 2
; VGPRBlocks: 3
; NumSGPRsForWavesPerEU: 18
; NumVGPRsForWavesPerEU: 27
; Occupancy: 16
; WaveLimiterHint : 0
; COMPUTE_PGM_RSRC2:SCRATCH_EN: 0
; COMPUTE_PGM_RSRC2:USER_SGPR: 15
; COMPUTE_PGM_RSRC2:TRAP_HANDLER: 0
; COMPUTE_PGM_RSRC2:TGID_X_EN: 1
; COMPUTE_PGM_RSRC2:TGID_Y_EN: 0
; COMPUTE_PGM_RSRC2:TGID_Z_EN: 0
; COMPUTE_PGM_RSRC2:TIDIG_COMP_CNT: 0
	.section	.text._Z28inclusive_scan_reduce_kernelILj256ELN6hipcub18BlockScanAlgorithmE1EiEvPT1_S3_,"axG",@progbits,_Z28inclusive_scan_reduce_kernelILj256ELN6hipcub18BlockScanAlgorithmE1EiEvPT1_S3_,comdat
	.protected	_Z28inclusive_scan_reduce_kernelILj256ELN6hipcub18BlockScanAlgorithmE1EiEvPT1_S3_ ; -- Begin function _Z28inclusive_scan_reduce_kernelILj256ELN6hipcub18BlockScanAlgorithmE1EiEvPT1_S3_
	.globl	_Z28inclusive_scan_reduce_kernelILj256ELN6hipcub18BlockScanAlgorithmE1EiEvPT1_S3_
	.p2align	8
	.type	_Z28inclusive_scan_reduce_kernelILj256ELN6hipcub18BlockScanAlgorithmE1EiEvPT1_S3_,@function
_Z28inclusive_scan_reduce_kernelILj256ELN6hipcub18BlockScanAlgorithmE1EiEvPT1_S3_: ; @_Z28inclusive_scan_reduce_kernelILj256ELN6hipcub18BlockScanAlgorithmE1EiEvPT1_S3_
; %bb.0:
	s_load_b128 s[0:3], s[0:1], 0x0
	s_mov_b32 s4, s15
	v_mov_b32_e32 v2, 0
	v_lshl_or_b32 v1, s4, 8, v0
	v_lshrrev_b32_e32 v3, 5, v0
	s_delay_alu instid0(VALU_DEP_2) | instskip(NEXT) | instid1(VALU_DEP_2)
	v_lshlrev_b64 v[1:2], 2, v[1:2]
	v_add_lshl_u32 v3, v3, v0, 2
	s_waitcnt lgkmcnt(0)
	s_delay_alu instid0(VALU_DEP_2) | instskip(NEXT) | instid1(VALU_DEP_3)
	v_add_co_u32 v1, vcc_lo, s0, v1
	v_add_co_ci_u32_e32 v2, vcc_lo, s1, v2, vcc_lo
	s_mov_b32 s0, exec_lo
	global_load_b32 v4, v[1:2], off
	s_waitcnt vmcnt(0)
	ds_store_b32 v3, v4
	s_waitcnt lgkmcnt(0)
	s_barrier
	buffer_gl0_inv
	v_cmpx_gt_u32_e32 32, v0
	s_cbranch_execz .LBB31_2
; %bb.1:
	v_and_b32_e32 v5, 0xfc, v0
	v_mbcnt_lo_u32_b32 v15, -1, 0
	s_delay_alu instid0(VALU_DEP_2) | instskip(NEXT) | instid1(VALU_DEP_2)
	v_lshl_or_b32 v13, v0, 5, v5
	v_add_nc_u32_e32 v18, -1, v15
	ds_load_2addr_b32 v[5:6], v13 offset1:1
	ds_load_2addr_b32 v[7:8], v13 offset0:2 offset1:3
	ds_load_2addr_b32 v[9:10], v13 offset0:4 offset1:5
	;; [unrolled: 1-line block ×3, first 2 shown]
	s_waitcnt lgkmcnt(3)
	v_add_nc_u32_e32 v14, v6, v5
	s_waitcnt lgkmcnt(2)
	s_delay_alu instid0(VALU_DEP_1) | instskip(SKIP_1) | instid1(VALU_DEP_1)
	v_add3_u32 v14, v14, v7, v8
	s_waitcnt lgkmcnt(1)
	v_add3_u32 v14, v14, v9, v10
	s_waitcnt lgkmcnt(0)
	s_delay_alu instid0(VALU_DEP_1) | instskip(NEXT) | instid1(VALU_DEP_1)
	v_add3_u32 v14, v14, v11, v12
	v_mov_b32_dpp v17, v14 row_shr:1 row_mask:0xf bank_mask:0xf
	v_and_b32_e32 v16, 15, v15
	s_delay_alu instid0(VALU_DEP_1) | instskip(NEXT) | instid1(VALU_DEP_3)
	v_cmp_ne_u32_e32 vcc_lo, 0, v16
	v_cndmask_b32_e32 v17, 0, v17, vcc_lo
	v_cmp_lt_u32_e32 vcc_lo, 1, v16
	s_delay_alu instid0(VALU_DEP_2) | instskip(NEXT) | instid1(VALU_DEP_1)
	v_add_nc_u32_e32 v14, v17, v14
	v_mov_b32_dpp v17, v14 row_shr:2 row_mask:0xf bank_mask:0xf
	s_delay_alu instid0(VALU_DEP_1) | instskip(SKIP_1) | instid1(VALU_DEP_2)
	v_cndmask_b32_e32 v17, 0, v17, vcc_lo
	v_cmp_lt_u32_e32 vcc_lo, 3, v16
	v_add_nc_u32_e32 v14, v14, v17
	s_delay_alu instid0(VALU_DEP_1) | instskip(NEXT) | instid1(VALU_DEP_1)
	v_mov_b32_dpp v17, v14 row_shr:4 row_mask:0xf bank_mask:0xf
	v_cndmask_b32_e32 v17, 0, v17, vcc_lo
	v_cmp_lt_u32_e32 vcc_lo, 7, v16
	s_delay_alu instid0(VALU_DEP_2) | instskip(NEXT) | instid1(VALU_DEP_1)
	v_add_nc_u32_e32 v14, v14, v17
	v_mov_b32_dpp v17, v14 row_shr:8 row_mask:0xf bank_mask:0xf
	s_delay_alu instid0(VALU_DEP_1) | instskip(SKIP_2) | instid1(VALU_DEP_3)
	v_cndmask_b32_e32 v16, 0, v17, vcc_lo
	v_bfe_i32 v17, v15, 4, 1
	v_cmp_gt_i32_e32 vcc_lo, 0, v18
	v_add_nc_u32_e32 v14, v14, v16
	v_cndmask_b32_e32 v15, v18, v15, vcc_lo
	v_cmp_eq_u32_e32 vcc_lo, 0, v0
	ds_swizzle_b32 v16, v14 offset:swizzle(BROADCAST,32,15)
	v_lshlrev_b32_e32 v15, 2, v15
	s_waitcnt lgkmcnt(0)
	v_and_b32_e32 v16, v17, v16
	s_delay_alu instid0(VALU_DEP_1) | instskip(SKIP_3) | instid1(VALU_DEP_1)
	v_add_nc_u32_e32 v14, v14, v16
	ds_bpermute_b32 v14, v15, v14
	s_waitcnt lgkmcnt(0)
	v_add_nc_u32_e32 v5, v14, v5
	v_cndmask_b32_e32 v4, v5, v4, vcc_lo
	s_delay_alu instid0(VALU_DEP_1) | instskip(NEXT) | instid1(VALU_DEP_1)
	v_add_nc_u32_e32 v5, v4, v6
	v_add_nc_u32_e32 v6, v5, v7
	s_delay_alu instid0(VALU_DEP_1) | instskip(NEXT) | instid1(VALU_DEP_1)
	v_add_nc_u32_e32 v7, v6, v8
	v_add_nc_u32_e32 v8, v7, v9
	;; [unrolled: 3-line block ×3, first 2 shown]
	s_delay_alu instid0(VALU_DEP_1)
	v_add_nc_u32_e32 v11, v10, v12
	ds_store_2addr_b32 v13, v4, v5 offset1:1
	ds_store_2addr_b32 v13, v6, v7 offset0:2 offset1:3
	ds_store_2addr_b32 v13, v8, v9 offset0:4 offset1:5
	;; [unrolled: 1-line block ×3, first 2 shown]
.LBB31_2:
	s_or_b32 exec_lo, exec_lo, s0
	s_waitcnt lgkmcnt(0)
	s_barrier
	buffer_gl0_inv
	ds_load_b32 v3, v3
	s_mov_b32 s5, 0
	s_mov_b32 s0, exec_lo
	s_waitcnt lgkmcnt(0)
	global_store_b32 v[1:2], v3, off
	v_cmpx_eq_u32_e32 0, v0
	s_cbranch_execz .LBB31_4
; %bb.3:
	v_mov_b32_e32 v0, 0
	s_lshl_b64 s[0:1], s[4:5], 2
	s_delay_alu instid0(SALU_CYCLE_1)
	s_add_u32 s0, s2, s0
	s_addc_u32 s1, s3, s1
	ds_load_b32 v1, v0 offset:1048
	s_waitcnt lgkmcnt(0)
	global_store_b32 v0, v1, s[0:1]
.LBB31_4:
	s_nop 0
	s_sendmsg sendmsg(MSG_DEALLOC_VGPRS)
	s_endpgm
	.section	.rodata,"a",@progbits
	.p2align	6, 0x0
	.amdhsa_kernel _Z28inclusive_scan_reduce_kernelILj256ELN6hipcub18BlockScanAlgorithmE1EiEvPT1_S3_
		.amdhsa_group_segment_fixed_size 1056
		.amdhsa_private_segment_fixed_size 0
		.amdhsa_kernarg_size 16
		.amdhsa_user_sgpr_count 15
		.amdhsa_user_sgpr_dispatch_ptr 0
		.amdhsa_user_sgpr_queue_ptr 0
		.amdhsa_user_sgpr_kernarg_segment_ptr 1
		.amdhsa_user_sgpr_dispatch_id 0
		.amdhsa_user_sgpr_private_segment_size 0
		.amdhsa_wavefront_size32 1
		.amdhsa_uses_dynamic_stack 0
		.amdhsa_enable_private_segment 0
		.amdhsa_system_sgpr_workgroup_id_x 1
		.amdhsa_system_sgpr_workgroup_id_y 0
		.amdhsa_system_sgpr_workgroup_id_z 0
		.amdhsa_system_sgpr_workgroup_info 0
		.amdhsa_system_vgpr_workitem_id 0
		.amdhsa_next_free_vgpr 19
		.amdhsa_next_free_sgpr 16
		.amdhsa_reserve_vcc 1
		.amdhsa_float_round_mode_32 0
		.amdhsa_float_round_mode_16_64 0
		.amdhsa_float_denorm_mode_32 3
		.amdhsa_float_denorm_mode_16_64 3
		.amdhsa_dx10_clamp 1
		.amdhsa_ieee_mode 1
		.amdhsa_fp16_overflow 0
		.amdhsa_workgroup_processor_mode 1
		.amdhsa_memory_ordered 1
		.amdhsa_forward_progress 0
		.amdhsa_shared_vgpr_count 0
		.amdhsa_exception_fp_ieee_invalid_op 0
		.amdhsa_exception_fp_denorm_src 0
		.amdhsa_exception_fp_ieee_div_zero 0
		.amdhsa_exception_fp_ieee_overflow 0
		.amdhsa_exception_fp_ieee_underflow 0
		.amdhsa_exception_fp_ieee_inexact 0
		.amdhsa_exception_int_div_zero 0
	.end_amdhsa_kernel
	.section	.text._Z28inclusive_scan_reduce_kernelILj256ELN6hipcub18BlockScanAlgorithmE1EiEvPT1_S3_,"axG",@progbits,_Z28inclusive_scan_reduce_kernelILj256ELN6hipcub18BlockScanAlgorithmE1EiEvPT1_S3_,comdat
.Lfunc_end31:
	.size	_Z28inclusive_scan_reduce_kernelILj256ELN6hipcub18BlockScanAlgorithmE1EiEvPT1_S3_, .Lfunc_end31-_Z28inclusive_scan_reduce_kernelILj256ELN6hipcub18BlockScanAlgorithmE1EiEvPT1_S3_
                                        ; -- End function
	.section	.AMDGPU.csdata,"",@progbits
; Kernel info:
; codeLenInByte = 592
; NumSgprs: 18
; NumVgprs: 19
; ScratchSize: 0
; MemoryBound: 0
; FloatMode: 240
; IeeeMode: 1
; LDSByteSize: 1056 bytes/workgroup (compile time only)
; SGPRBlocks: 2
; VGPRBlocks: 2
; NumSGPRsForWavesPerEU: 18
; NumVGPRsForWavesPerEU: 19
; Occupancy: 16
; WaveLimiterHint : 0
; COMPUTE_PGM_RSRC2:SCRATCH_EN: 0
; COMPUTE_PGM_RSRC2:USER_SGPR: 15
; COMPUTE_PGM_RSRC2:TRAP_HANDLER: 0
; COMPUTE_PGM_RSRC2:TGID_X_EN: 1
; COMPUTE_PGM_RSRC2:TGID_Y_EN: 0
; COMPUTE_PGM_RSRC2:TGID_Z_EN: 0
; COMPUTE_PGM_RSRC2:TIDIG_COMP_CNT: 0
	.section	.text._Z28inclusive_scan_reduce_kernelILj128ELN6hipcub18BlockScanAlgorithmE1EiEvPT1_S3_,"axG",@progbits,_Z28inclusive_scan_reduce_kernelILj128ELN6hipcub18BlockScanAlgorithmE1EiEvPT1_S3_,comdat
	.protected	_Z28inclusive_scan_reduce_kernelILj128ELN6hipcub18BlockScanAlgorithmE1EiEvPT1_S3_ ; -- Begin function _Z28inclusive_scan_reduce_kernelILj128ELN6hipcub18BlockScanAlgorithmE1EiEvPT1_S3_
	.globl	_Z28inclusive_scan_reduce_kernelILj128ELN6hipcub18BlockScanAlgorithmE1EiEvPT1_S3_
	.p2align	8
	.type	_Z28inclusive_scan_reduce_kernelILj128ELN6hipcub18BlockScanAlgorithmE1EiEvPT1_S3_,@function
_Z28inclusive_scan_reduce_kernelILj128ELN6hipcub18BlockScanAlgorithmE1EiEvPT1_S3_: ; @_Z28inclusive_scan_reduce_kernelILj128ELN6hipcub18BlockScanAlgorithmE1EiEvPT1_S3_
; %bb.0:
	s_load_b128 s[0:3], s[0:1], 0x0
	s_mov_b32 s4, s15
	v_mov_b32_e32 v2, 0
	v_lshl_or_b32 v1, s4, 7, v0
	v_lshrrev_b32_e32 v3, 5, v0
	s_delay_alu instid0(VALU_DEP_2) | instskip(NEXT) | instid1(VALU_DEP_2)
	v_lshlrev_b64 v[1:2], 2, v[1:2]
	v_add_lshl_u32 v3, v3, v0, 2
	s_waitcnt lgkmcnt(0)
	s_delay_alu instid0(VALU_DEP_2) | instskip(NEXT) | instid1(VALU_DEP_3)
	v_add_co_u32 v1, vcc_lo, s0, v1
	v_add_co_ci_u32_e32 v2, vcc_lo, s1, v2, vcc_lo
	s_mov_b32 s0, exec_lo
	global_load_b32 v4, v[1:2], off
	s_waitcnt vmcnt(0)
	ds_store_b32 v3, v4
	s_waitcnt lgkmcnt(0)
	s_barrier
	buffer_gl0_inv
	v_cmpx_gt_u32_e32 32, v0
	s_cbranch_execz .LBB32_2
; %bb.1:
	v_lshrrev_b32_e32 v5, 1, v0
	v_mbcnt_lo_u32_b32 v11, -1, 0
	s_delay_alu instid0(VALU_DEP_2) | instskip(NEXT) | instid1(VALU_DEP_2)
	v_and_b32_e32 v5, 60, v5
	v_add_nc_u32_e32 v14, -1, v11
	s_delay_alu instid0(VALU_DEP_2)
	v_lshl_or_b32 v9, v0, 4, v5
	ds_load_2addr_b32 v[5:6], v9 offset1:1
	ds_load_2addr_b32 v[7:8], v9 offset0:2 offset1:3
	s_waitcnt lgkmcnt(1)
	v_add_nc_u32_e32 v10, v6, v5
	s_waitcnt lgkmcnt(0)
	s_delay_alu instid0(VALU_DEP_1) | instskip(NEXT) | instid1(VALU_DEP_1)
	v_add3_u32 v10, v10, v7, v8
	v_mov_b32_dpp v13, v10 row_shr:1 row_mask:0xf bank_mask:0xf
	v_and_b32_e32 v12, 15, v11
	s_delay_alu instid0(VALU_DEP_1) | instskip(NEXT) | instid1(VALU_DEP_3)
	v_cmp_ne_u32_e32 vcc_lo, 0, v12
	v_cndmask_b32_e32 v13, 0, v13, vcc_lo
	v_cmp_lt_u32_e32 vcc_lo, 1, v12
	s_delay_alu instid0(VALU_DEP_2) | instskip(NEXT) | instid1(VALU_DEP_1)
	v_add_nc_u32_e32 v10, v13, v10
	v_mov_b32_dpp v13, v10 row_shr:2 row_mask:0xf bank_mask:0xf
	s_delay_alu instid0(VALU_DEP_1) | instskip(SKIP_1) | instid1(VALU_DEP_2)
	v_cndmask_b32_e32 v13, 0, v13, vcc_lo
	v_cmp_lt_u32_e32 vcc_lo, 3, v12
	v_add_nc_u32_e32 v10, v10, v13
	s_delay_alu instid0(VALU_DEP_1) | instskip(NEXT) | instid1(VALU_DEP_1)
	v_mov_b32_dpp v13, v10 row_shr:4 row_mask:0xf bank_mask:0xf
	v_cndmask_b32_e32 v13, 0, v13, vcc_lo
	v_cmp_lt_u32_e32 vcc_lo, 7, v12
	s_delay_alu instid0(VALU_DEP_2) | instskip(NEXT) | instid1(VALU_DEP_1)
	v_add_nc_u32_e32 v10, v10, v13
	v_mov_b32_dpp v13, v10 row_shr:8 row_mask:0xf bank_mask:0xf
	s_delay_alu instid0(VALU_DEP_1) | instskip(SKIP_3) | instid1(VALU_DEP_4)
	v_cndmask_b32_e32 v12, 0, v13, vcc_lo
	v_cmp_gt_i32_e32 vcc_lo, 0, v14
	v_bfe_i32 v13, v11, 4, 1
	v_cndmask_b32_e32 v11, v14, v11, vcc_lo
	v_add_nc_u32_e32 v10, v10, v12
	v_cmp_eq_u32_e32 vcc_lo, 0, v0
	s_delay_alu instid0(VALU_DEP_3) | instskip(SKIP_3) | instid1(VALU_DEP_1)
	v_lshlrev_b32_e32 v11, 2, v11
	ds_swizzle_b32 v12, v10 offset:swizzle(BROADCAST,32,15)
	s_waitcnt lgkmcnt(0)
	v_and_b32_e32 v12, v13, v12
	v_add_nc_u32_e32 v10, v10, v12
	ds_bpermute_b32 v10, v11, v10
	s_waitcnt lgkmcnt(0)
	v_add_nc_u32_e32 v5, v10, v5
	s_delay_alu instid0(VALU_DEP_1) | instskip(NEXT) | instid1(VALU_DEP_1)
	v_cndmask_b32_e32 v4, v5, v4, vcc_lo
	v_add_nc_u32_e32 v5, v4, v6
	s_delay_alu instid0(VALU_DEP_1) | instskip(NEXT) | instid1(VALU_DEP_1)
	v_add_nc_u32_e32 v6, v5, v7
	v_add_nc_u32_e32 v7, v6, v8
	ds_store_2addr_b32 v9, v4, v5 offset1:1
	ds_store_2addr_b32 v9, v6, v7 offset0:2 offset1:3
.LBB32_2:
	s_or_b32 exec_lo, exec_lo, s0
	s_waitcnt lgkmcnt(0)
	s_barrier
	buffer_gl0_inv
	ds_load_b32 v3, v3
	s_mov_b32 s5, 0
	s_mov_b32 s0, exec_lo
	s_waitcnt lgkmcnt(0)
	global_store_b32 v[1:2], v3, off
	v_cmpx_eq_u32_e32 0, v0
	s_cbranch_execz .LBB32_4
; %bb.3:
	v_mov_b32_e32 v0, 0
	s_lshl_b64 s[0:1], s[4:5], 2
	s_delay_alu instid0(SALU_CYCLE_1)
	s_add_u32 s0, s2, s0
	s_addc_u32 s1, s3, s1
	ds_load_b32 v1, v0 offset:520
	s_waitcnt lgkmcnt(0)
	global_store_b32 v0, v1, s[0:1]
.LBB32_4:
	s_nop 0
	s_sendmsg sendmsg(MSG_DEALLOC_VGPRS)
	s_endpgm
	.section	.rodata,"a",@progbits
	.p2align	6, 0x0
	.amdhsa_kernel _Z28inclusive_scan_reduce_kernelILj128ELN6hipcub18BlockScanAlgorithmE1EiEvPT1_S3_
		.amdhsa_group_segment_fixed_size 528
		.amdhsa_private_segment_fixed_size 0
		.amdhsa_kernarg_size 16
		.amdhsa_user_sgpr_count 15
		.amdhsa_user_sgpr_dispatch_ptr 0
		.amdhsa_user_sgpr_queue_ptr 0
		.amdhsa_user_sgpr_kernarg_segment_ptr 1
		.amdhsa_user_sgpr_dispatch_id 0
		.amdhsa_user_sgpr_private_segment_size 0
		.amdhsa_wavefront_size32 1
		.amdhsa_uses_dynamic_stack 0
		.amdhsa_enable_private_segment 0
		.amdhsa_system_sgpr_workgroup_id_x 1
		.amdhsa_system_sgpr_workgroup_id_y 0
		.amdhsa_system_sgpr_workgroup_id_z 0
		.amdhsa_system_sgpr_workgroup_info 0
		.amdhsa_system_vgpr_workitem_id 0
		.amdhsa_next_free_vgpr 15
		.amdhsa_next_free_sgpr 16
		.amdhsa_reserve_vcc 1
		.amdhsa_float_round_mode_32 0
		.amdhsa_float_round_mode_16_64 0
		.amdhsa_float_denorm_mode_32 3
		.amdhsa_float_denorm_mode_16_64 3
		.amdhsa_dx10_clamp 1
		.amdhsa_ieee_mode 1
		.amdhsa_fp16_overflow 0
		.amdhsa_workgroup_processor_mode 1
		.amdhsa_memory_ordered 1
		.amdhsa_forward_progress 0
		.amdhsa_shared_vgpr_count 0
		.amdhsa_exception_fp_ieee_invalid_op 0
		.amdhsa_exception_fp_denorm_src 0
		.amdhsa_exception_fp_ieee_div_zero 0
		.amdhsa_exception_fp_ieee_overflow 0
		.amdhsa_exception_fp_ieee_underflow 0
		.amdhsa_exception_fp_ieee_inexact 0
		.amdhsa_exception_int_div_zero 0
	.end_amdhsa_kernel
	.section	.text._Z28inclusive_scan_reduce_kernelILj128ELN6hipcub18BlockScanAlgorithmE1EiEvPT1_S3_,"axG",@progbits,_Z28inclusive_scan_reduce_kernelILj128ELN6hipcub18BlockScanAlgorithmE1EiEvPT1_S3_,comdat
.Lfunc_end32:
	.size	_Z28inclusive_scan_reduce_kernelILj128ELN6hipcub18BlockScanAlgorithmE1EiEvPT1_S3_, .Lfunc_end32-_Z28inclusive_scan_reduce_kernelILj128ELN6hipcub18BlockScanAlgorithmE1EiEvPT1_S3_
                                        ; -- End function
	.section	.AMDGPU.csdata,"",@progbits
; Kernel info:
; codeLenInByte = 512
; NumSgprs: 18
; NumVgprs: 15
; ScratchSize: 0
; MemoryBound: 0
; FloatMode: 240
; IeeeMode: 1
; LDSByteSize: 528 bytes/workgroup (compile time only)
; SGPRBlocks: 2
; VGPRBlocks: 1
; NumSGPRsForWavesPerEU: 18
; NumVGPRsForWavesPerEU: 15
; Occupancy: 16
; WaveLimiterHint : 0
; COMPUTE_PGM_RSRC2:SCRATCH_EN: 0
; COMPUTE_PGM_RSRC2:USER_SGPR: 15
; COMPUTE_PGM_RSRC2:TRAP_HANDLER: 0
; COMPUTE_PGM_RSRC2:TGID_X_EN: 1
; COMPUTE_PGM_RSRC2:TGID_Y_EN: 0
; COMPUTE_PGM_RSRC2:TGID_Z_EN: 0
; COMPUTE_PGM_RSRC2:TIDIG_COMP_CNT: 0
	.section	.text._Z28inclusive_scan_reduce_kernelILj64ELN6hipcub18BlockScanAlgorithmE1EiEvPT1_S3_,"axG",@progbits,_Z28inclusive_scan_reduce_kernelILj64ELN6hipcub18BlockScanAlgorithmE1EiEvPT1_S3_,comdat
	.protected	_Z28inclusive_scan_reduce_kernelILj64ELN6hipcub18BlockScanAlgorithmE1EiEvPT1_S3_ ; -- Begin function _Z28inclusive_scan_reduce_kernelILj64ELN6hipcub18BlockScanAlgorithmE1EiEvPT1_S3_
	.globl	_Z28inclusive_scan_reduce_kernelILj64ELN6hipcub18BlockScanAlgorithmE1EiEvPT1_S3_
	.p2align	8
	.type	_Z28inclusive_scan_reduce_kernelILj64ELN6hipcub18BlockScanAlgorithmE1EiEvPT1_S3_,@function
_Z28inclusive_scan_reduce_kernelILj64ELN6hipcub18BlockScanAlgorithmE1EiEvPT1_S3_: ; @_Z28inclusive_scan_reduce_kernelILj64ELN6hipcub18BlockScanAlgorithmE1EiEvPT1_S3_
; %bb.0:
	s_load_b128 s[0:3], s[0:1], 0x0
	s_mov_b32 s4, s15
	v_mov_b32_e32 v2, 0
	v_lshl_or_b32 v1, s4, 6, v0
	v_lshrrev_b32_e32 v3, 5, v0
	s_delay_alu instid0(VALU_DEP_2) | instskip(NEXT) | instid1(VALU_DEP_2)
	v_lshlrev_b64 v[1:2], 2, v[1:2]
	v_add_lshl_u32 v3, v3, v0, 2
	s_waitcnt lgkmcnt(0)
	s_delay_alu instid0(VALU_DEP_2) | instskip(NEXT) | instid1(VALU_DEP_3)
	v_add_co_u32 v1, vcc_lo, s0, v1
	v_add_co_ci_u32_e32 v2, vcc_lo, s1, v2, vcc_lo
	s_mov_b32 s0, exec_lo
	global_load_b32 v4, v[1:2], off
	s_waitcnt vmcnt(0)
	ds_store_b32 v3, v4
	s_waitcnt lgkmcnt(0)
	s_barrier
	buffer_gl0_inv
	v_cmpx_gt_u32_e32 32, v0
	s_cbranch_execz .LBB33_2
; %bb.1:
	v_lshrrev_b32_e32 v5, 2, v0
	v_mbcnt_lo_u32_b32 v8, -1, 0
	s_delay_alu instid0(VALU_DEP_2) | instskip(NEXT) | instid1(VALU_DEP_2)
	v_and_b32_e32 v5, 12, v5
	v_add_nc_u32_e32 v12, -1, v8
	s_delay_alu instid0(VALU_DEP_2) | instskip(SKIP_3) | instid1(VALU_DEP_1)
	v_lshl_or_b32 v7, v0, 3, v5
	ds_load_2addr_b32 v[5:6], v7 offset1:1
	s_waitcnt lgkmcnt(0)
	v_add_nc_u32_e32 v9, v6, v5
	v_mov_b32_dpp v11, v9 row_shr:1 row_mask:0xf bank_mask:0xf
	v_and_b32_e32 v10, 15, v8
	s_delay_alu instid0(VALU_DEP_1) | instskip(NEXT) | instid1(VALU_DEP_3)
	v_cmp_ne_u32_e32 vcc_lo, 0, v10
	v_cndmask_b32_e32 v11, 0, v11, vcc_lo
	v_cmp_lt_u32_e32 vcc_lo, 1, v10
	s_delay_alu instid0(VALU_DEP_2) | instskip(NEXT) | instid1(VALU_DEP_1)
	v_add_nc_u32_e32 v9, v11, v9
	v_mov_b32_dpp v11, v9 row_shr:2 row_mask:0xf bank_mask:0xf
	s_delay_alu instid0(VALU_DEP_1) | instskip(SKIP_1) | instid1(VALU_DEP_2)
	v_cndmask_b32_e32 v11, 0, v11, vcc_lo
	v_cmp_lt_u32_e32 vcc_lo, 3, v10
	v_add_nc_u32_e32 v9, v9, v11
	s_delay_alu instid0(VALU_DEP_1) | instskip(NEXT) | instid1(VALU_DEP_1)
	v_mov_b32_dpp v11, v9 row_shr:4 row_mask:0xf bank_mask:0xf
	v_cndmask_b32_e32 v11, 0, v11, vcc_lo
	v_cmp_lt_u32_e32 vcc_lo, 7, v10
	s_delay_alu instid0(VALU_DEP_2) | instskip(NEXT) | instid1(VALU_DEP_1)
	v_add_nc_u32_e32 v9, v9, v11
	v_mov_b32_dpp v11, v9 row_shr:8 row_mask:0xf bank_mask:0xf
	s_delay_alu instid0(VALU_DEP_1) | instskip(SKIP_2) | instid1(VALU_DEP_3)
	v_cndmask_b32_e32 v10, 0, v11, vcc_lo
	v_bfe_i32 v11, v8, 4, 1
	v_cmp_gt_i32_e32 vcc_lo, 0, v12
	v_dual_cndmask_b32 v8, v12, v8 :: v_dual_add_nc_u32 v9, v9, v10
	v_cmp_eq_u32_e32 vcc_lo, 0, v0
	ds_swizzle_b32 v10, v9 offset:swizzle(BROADCAST,32,15)
	v_lshlrev_b32_e32 v8, 2, v8
	s_waitcnt lgkmcnt(0)
	v_and_b32_e32 v10, v11, v10
	s_delay_alu instid0(VALU_DEP_1) | instskip(SKIP_3) | instid1(VALU_DEP_1)
	v_add_nc_u32_e32 v9, v9, v10
	ds_bpermute_b32 v8, v8, v9
	s_waitcnt lgkmcnt(0)
	v_add_nc_u32_e32 v5, v8, v5
	v_cndmask_b32_e32 v4, v5, v4, vcc_lo
	s_delay_alu instid0(VALU_DEP_1)
	v_add_nc_u32_e32 v5, v4, v6
	ds_store_2addr_b32 v7, v4, v5 offset1:1
.LBB33_2:
	s_or_b32 exec_lo, exec_lo, s0
	s_waitcnt lgkmcnt(0)
	s_barrier
	buffer_gl0_inv
	ds_load_b32 v3, v3
	s_mov_b32 s5, 0
	s_mov_b32 s0, exec_lo
	s_waitcnt lgkmcnt(0)
	global_store_b32 v[1:2], v3, off
	v_cmpx_eq_u32_e32 0, v0
	s_cbranch_execz .LBB33_4
; %bb.3:
	v_mov_b32_e32 v0, 0
	s_lshl_b64 s[0:1], s[4:5], 2
	s_delay_alu instid0(SALU_CYCLE_1)
	s_add_u32 s0, s2, s0
	s_addc_u32 s1, s3, s1
	ds_load_b32 v1, v0 offset:256
	s_waitcnt lgkmcnt(0)
	global_store_b32 v0, v1, s[0:1]
.LBB33_4:
	s_nop 0
	s_sendmsg sendmsg(MSG_DEALLOC_VGPRS)
	s_endpgm
	.section	.rodata,"a",@progbits
	.p2align	6, 0x0
	.amdhsa_kernel _Z28inclusive_scan_reduce_kernelILj64ELN6hipcub18BlockScanAlgorithmE1EiEvPT1_S3_
		.amdhsa_group_segment_fixed_size 264
		.amdhsa_private_segment_fixed_size 0
		.amdhsa_kernarg_size 16
		.amdhsa_user_sgpr_count 15
		.amdhsa_user_sgpr_dispatch_ptr 0
		.amdhsa_user_sgpr_queue_ptr 0
		.amdhsa_user_sgpr_kernarg_segment_ptr 1
		.amdhsa_user_sgpr_dispatch_id 0
		.amdhsa_user_sgpr_private_segment_size 0
		.amdhsa_wavefront_size32 1
		.amdhsa_uses_dynamic_stack 0
		.amdhsa_enable_private_segment 0
		.amdhsa_system_sgpr_workgroup_id_x 1
		.amdhsa_system_sgpr_workgroup_id_y 0
		.amdhsa_system_sgpr_workgroup_id_z 0
		.amdhsa_system_sgpr_workgroup_info 0
		.amdhsa_system_vgpr_workitem_id 0
		.amdhsa_next_free_vgpr 13
		.amdhsa_next_free_sgpr 16
		.amdhsa_reserve_vcc 1
		.amdhsa_float_round_mode_32 0
		.amdhsa_float_round_mode_16_64 0
		.amdhsa_float_denorm_mode_32 3
		.amdhsa_float_denorm_mode_16_64 3
		.amdhsa_dx10_clamp 1
		.amdhsa_ieee_mode 1
		.amdhsa_fp16_overflow 0
		.amdhsa_workgroup_processor_mode 1
		.amdhsa_memory_ordered 1
		.amdhsa_forward_progress 0
		.amdhsa_shared_vgpr_count 0
		.amdhsa_exception_fp_ieee_invalid_op 0
		.amdhsa_exception_fp_denorm_src 0
		.amdhsa_exception_fp_ieee_div_zero 0
		.amdhsa_exception_fp_ieee_overflow 0
		.amdhsa_exception_fp_ieee_underflow 0
		.amdhsa_exception_fp_ieee_inexact 0
		.amdhsa_exception_int_div_zero 0
	.end_amdhsa_kernel
	.section	.text._Z28inclusive_scan_reduce_kernelILj64ELN6hipcub18BlockScanAlgorithmE1EiEvPT1_S3_,"axG",@progbits,_Z28inclusive_scan_reduce_kernelILj64ELN6hipcub18BlockScanAlgorithmE1EiEvPT1_S3_,comdat
.Lfunc_end33:
	.size	_Z28inclusive_scan_reduce_kernelILj64ELN6hipcub18BlockScanAlgorithmE1EiEvPT1_S3_, .Lfunc_end33-_Z28inclusive_scan_reduce_kernelILj64ELN6hipcub18BlockScanAlgorithmE1EiEvPT1_S3_
                                        ; -- End function
	.section	.AMDGPU.csdata,"",@progbits
; Kernel info:
; codeLenInByte = 468
; NumSgprs: 18
; NumVgprs: 13
; ScratchSize: 0
; MemoryBound: 0
; FloatMode: 240
; IeeeMode: 1
; LDSByteSize: 264 bytes/workgroup (compile time only)
; SGPRBlocks: 2
; VGPRBlocks: 1
; NumSGPRsForWavesPerEU: 18
; NumVGPRsForWavesPerEU: 13
; Occupancy: 16
; WaveLimiterHint : 0
; COMPUTE_PGM_RSRC2:SCRATCH_EN: 0
; COMPUTE_PGM_RSRC2:USER_SGPR: 15
; COMPUTE_PGM_RSRC2:TRAP_HANDLER: 0
; COMPUTE_PGM_RSRC2:TGID_X_EN: 1
; COMPUTE_PGM_RSRC2:TGID_Y_EN: 0
; COMPUTE_PGM_RSRC2:TGID_Z_EN: 0
; COMPUTE_PGM_RSRC2:TIDIG_COMP_CNT: 0
	.section	.text._Z28inclusive_scan_reduce_kernelILj377ELN6hipcub18BlockScanAlgorithmE0ElEvPT1_S3_,"axG",@progbits,_Z28inclusive_scan_reduce_kernelILj377ELN6hipcub18BlockScanAlgorithmE0ElEvPT1_S3_,comdat
	.protected	_Z28inclusive_scan_reduce_kernelILj377ELN6hipcub18BlockScanAlgorithmE0ElEvPT1_S3_ ; -- Begin function _Z28inclusive_scan_reduce_kernelILj377ELN6hipcub18BlockScanAlgorithmE0ElEvPT1_S3_
	.globl	_Z28inclusive_scan_reduce_kernelILj377ELN6hipcub18BlockScanAlgorithmE0ElEvPT1_S3_
	.p2align	8
	.type	_Z28inclusive_scan_reduce_kernelILj377ELN6hipcub18BlockScanAlgorithmE0ElEvPT1_S3_,@function
_Z28inclusive_scan_reduce_kernelILj377ELN6hipcub18BlockScanAlgorithmE0ElEvPT1_S3_: ; @_Z28inclusive_scan_reduce_kernelILj377ELN6hipcub18BlockScanAlgorithmE0ElEvPT1_S3_
; %bb.0:
	s_load_b128 s[4:7], s[0:1], 0x0
	s_mov_b32 s8, s15
	v_mbcnt_lo_u32_b32 v5, -1, 0
	v_mad_u64_u32 v[1:2], null, 0x179, s8, v[0:1]
	s_delay_alu instid0(VALU_DEP_2) | instskip(NEXT) | instid1(VALU_DEP_1)
	v_dual_mov_b32 v2, 0 :: v_dual_and_b32 v7, 15, v5
	v_lshlrev_b64 v[1:2], 3, v[1:2]
	s_waitcnt lgkmcnt(0)
	s_delay_alu instid0(VALU_DEP_1) | instskip(NEXT) | instid1(VALU_DEP_2)
	v_add_co_u32 v1, vcc_lo, s4, v1
	v_add_co_ci_u32_e32 v2, vcc_lo, s5, v2, vcc_lo
	v_cmp_ne_u32_e32 vcc_lo, 0, v7
	global_load_b64 v[3:4], v[1:2], off
	s_waitcnt vmcnt(0)
	v_mov_b32_dpp v9, v3 row_shr:1 row_mask:0xf bank_mask:0xf
	v_mov_b32_dpp v8, v4 row_shr:1 row_mask:0xf bank_mask:0xf
	v_mov_b32_e32 v6, v3
	s_and_saveexec_b32 s1, vcc_lo
; %bb.1:
	s_delay_alu instid0(VALU_DEP_3) | instskip(NEXT) | instid1(VALU_DEP_1)
	v_add_co_u32 v6, s0, v3, v9
	v_add_co_ci_u32_e64 v4, s0, 0, v4, s0
	s_delay_alu instid0(VALU_DEP_2) | instskip(NEXT) | instid1(VALU_DEP_1)
	v_add_co_u32 v3, s0, 0, v6
	v_add_co_ci_u32_e64 v4, s0, v8, v4, s0
; %bb.2:
	s_or_b32 exec_lo, exec_lo, s1
	v_mov_b32_dpp v9, v6 row_shr:2 row_mask:0xf bank_mask:0xf
	s_delay_alu instid0(VALU_DEP_2) | instskip(SKIP_1) | instid1(VALU_DEP_1)
	v_mov_b32_dpp v8, v4 row_shr:2 row_mask:0xf bank_mask:0xf
	v_cmp_lt_u32_e64 s0, 1, v7
	s_and_saveexec_b32 s2, s0
; %bb.3:
	s_delay_alu instid0(VALU_DEP_3) | instskip(NEXT) | instid1(VALU_DEP_1)
	v_add_co_u32 v6, s1, v3, v9
	v_add_co_ci_u32_e64 v4, s1, 0, v4, s1
	s_delay_alu instid0(VALU_DEP_2) | instskip(NEXT) | instid1(VALU_DEP_1)
	v_add_co_u32 v3, s1, 0, v6
	v_add_co_ci_u32_e64 v4, s1, v8, v4, s1
; %bb.4:
	s_or_b32 exec_lo, exec_lo, s2
	v_mov_b32_dpp v9, v6 row_shr:4 row_mask:0xf bank_mask:0xf
	s_delay_alu instid0(VALU_DEP_2) | instskip(SKIP_1) | instid1(VALU_DEP_1)
	v_mov_b32_dpp v8, v4 row_shr:4 row_mask:0xf bank_mask:0xf
	v_cmp_lt_u32_e64 s1, 3, v7
	s_and_saveexec_b32 s3, s1
	;; [unrolled: 14-line block ×3, first 2 shown]
; %bb.7:
	s_delay_alu instid0(VALU_DEP_3) | instskip(NEXT) | instid1(VALU_DEP_1)
	v_add_co_u32 v6, s3, v3, v9
	v_add_co_ci_u32_e64 v4, s3, 0, v4, s3
	s_delay_alu instid0(VALU_DEP_2) | instskip(NEXT) | instid1(VALU_DEP_1)
	v_add_co_u32 v3, s3, 0, v6
	v_add_co_ci_u32_e64 v4, s3, v8, v4, s3
; %bb.8:
	s_or_b32 exec_lo, exec_lo, s4
	ds_swizzle_b32 v7, v6 offset:swizzle(BROADCAST,32,15)
	ds_swizzle_b32 v6, v4 offset:swizzle(BROADCAST,32,15)
	v_and_b32_e32 v5, 16, v5
	s_mov_b32 s4, exec_lo
	s_delay_alu instid0(VALU_DEP_1)
	v_cmpx_ne_u32_e32 0, v5
	s_cbranch_execz .LBB34_10
; %bb.9:
	s_waitcnt lgkmcnt(1)
	v_add_co_u32 v3, s3, v3, v7
	s_delay_alu instid0(VALU_DEP_1) | instskip(NEXT) | instid1(VALU_DEP_2)
	v_add_co_ci_u32_e64 v4, s3, 0, v4, s3
	v_add_co_u32 v3, s3, v3, 0
	s_waitcnt lgkmcnt(0)
	s_delay_alu instid0(VALU_DEP_2)
	v_add_co_ci_u32_e64 v4, s3, v4, v6, s3
.LBB34_10:
	s_or_b32 exec_lo, exec_lo, s4
	v_and_b32_e32 v5, 0x1e0, v0
	s_waitcnt lgkmcnt(1)
	v_lshrrev_b32_e32 v7, 5, v0
	s_mov_b32 s4, exec_lo
	s_delay_alu instid0(VALU_DEP_2) | instskip(NEXT) | instid1(VALU_DEP_1)
	v_min_u32_e32 v5, 0x159, v5
	v_add_nc_u32_e32 v5, 31, v5
	s_delay_alu instid0(VALU_DEP_1)
	v_cmpx_eq_u32_e64 v5, v0
	s_cbranch_execz .LBB34_12
; %bb.11:
	v_lshlrev_b32_e32 v5, 3, v7
	ds_store_b64 v5, v[3:4]
.LBB34_12:
	s_or_b32 exec_lo, exec_lo, s4
	s_delay_alu instid0(SALU_CYCLE_1)
	s_mov_b32 s4, exec_lo
	s_waitcnt lgkmcnt(0)
	s_barrier
	buffer_gl0_inv
	v_cmpx_gt_u32_e32 12, v0
	s_cbranch_execz .LBB34_22
; %bb.13:
	v_lshlrev_b32_e32 v8, 3, v0
	ds_load_b64 v[5:6], v8
	s_waitcnt lgkmcnt(0)
	v_mov_b32_e32 v9, v5
	v_mov_b32_dpp v11, v5 row_shr:1 row_mask:0xf bank_mask:0xf
	v_mov_b32_dpp v10, v6 row_shr:1 row_mask:0xf bank_mask:0xf
	s_and_saveexec_b32 s3, vcc_lo
; %bb.14:
	s_delay_alu instid0(VALU_DEP_2) | instskip(SKIP_1) | instid1(VALU_DEP_2)
	v_add_co_u32 v9, vcc_lo, v5, v11
	v_add_co_ci_u32_e32 v6, vcc_lo, 0, v6, vcc_lo
	v_add_co_u32 v5, vcc_lo, 0, v9
	s_delay_alu instid0(VALU_DEP_2)
	v_add_co_ci_u32_e32 v6, vcc_lo, v10, v6, vcc_lo
; %bb.15:
	s_or_b32 exec_lo, exec_lo, s3
	v_mov_b32_dpp v11, v9 row_shr:2 row_mask:0xf bank_mask:0xf
	s_delay_alu instid0(VALU_DEP_2)
	v_mov_b32_dpp v10, v6 row_shr:2 row_mask:0xf bank_mask:0xf
	s_and_saveexec_b32 s3, s0
; %bb.16:
	s_delay_alu instid0(VALU_DEP_2) | instskip(SKIP_1) | instid1(VALU_DEP_2)
	v_add_co_u32 v9, vcc_lo, v5, v11
	v_add_co_ci_u32_e32 v6, vcc_lo, 0, v6, vcc_lo
	v_add_co_u32 v5, vcc_lo, 0, v9
	s_delay_alu instid0(VALU_DEP_2)
	v_add_co_ci_u32_e32 v6, vcc_lo, v10, v6, vcc_lo
; %bb.17:
	s_or_b32 exec_lo, exec_lo, s3
	v_mov_b32_dpp v11, v9 row_shr:4 row_mask:0xf bank_mask:0xf
	s_delay_alu instid0(VALU_DEP_2)
	v_mov_b32_dpp v10, v6 row_shr:4 row_mask:0xf bank_mask:0xf
	s_and_saveexec_b32 s0, s1
	;; [unrolled: 13-line block ×3, first 2 shown]
; %bb.20:
	s_delay_alu instid0(VALU_DEP_2) | instskip(SKIP_1) | instid1(VALU_DEP_2)
	v_add_co_u32 v5, vcc_lo, v5, v10
	v_add_co_ci_u32_e32 v6, vcc_lo, 0, v6, vcc_lo
	v_add_co_u32 v5, vcc_lo, v5, 0
	s_delay_alu instid0(VALU_DEP_2)
	v_add_co_ci_u32_e32 v6, vcc_lo, v6, v9, vcc_lo
; %bb.21:
	s_or_b32 exec_lo, exec_lo, s0
	ds_store_b64 v8, v[5:6]
.LBB34_22:
	s_or_b32 exec_lo, exec_lo, s4
	s_delay_alu instid0(SALU_CYCLE_1)
	s_mov_b32 s0, exec_lo
	s_waitcnt lgkmcnt(0)
	s_barrier
	buffer_gl0_inv
	v_cmpx_lt_u32_e32 31, v0
	s_cbranch_execz .LBB34_24
; %bb.23:
	v_lshl_add_u32 v5, v7, 3, -8
	ds_load_b64 v[5:6], v5
	s_waitcnt lgkmcnt(0)
	v_add_co_u32 v3, vcc_lo, v5, v3
	v_add_co_ci_u32_e32 v4, vcc_lo, v6, v4, vcc_lo
.LBB34_24:
	s_or_b32 exec_lo, exec_lo, s0
	s_mov_b32 s9, 0
	global_store_b64 v[1:2], v[3:4], off
	s_mov_b32 s0, exec_lo
	v_cmpx_eq_u32_e32 0, v0
	s_cbranch_execz .LBB34_26
; %bb.25:
	v_mov_b32_e32 v2, 0
	s_lshl_b64 s[0:1], s[8:9], 3
	s_delay_alu instid0(SALU_CYCLE_1)
	s_add_u32 s0, s6, s0
	s_addc_u32 s1, s7, s1
	ds_load_b64 v[0:1], v2 offset:88
	s_waitcnt lgkmcnt(0)
	global_store_b64 v2, v[0:1], s[0:1]
.LBB34_26:
	s_nop 0
	s_sendmsg sendmsg(MSG_DEALLOC_VGPRS)
	s_endpgm
	.section	.rodata,"a",@progbits
	.p2align	6, 0x0
	.amdhsa_kernel _Z28inclusive_scan_reduce_kernelILj377ELN6hipcub18BlockScanAlgorithmE0ElEvPT1_S3_
		.amdhsa_group_segment_fixed_size 96
		.amdhsa_private_segment_fixed_size 0
		.amdhsa_kernarg_size 16
		.amdhsa_user_sgpr_count 15
		.amdhsa_user_sgpr_dispatch_ptr 0
		.amdhsa_user_sgpr_queue_ptr 0
		.amdhsa_user_sgpr_kernarg_segment_ptr 1
		.amdhsa_user_sgpr_dispatch_id 0
		.amdhsa_user_sgpr_private_segment_size 0
		.amdhsa_wavefront_size32 1
		.amdhsa_uses_dynamic_stack 0
		.amdhsa_enable_private_segment 0
		.amdhsa_system_sgpr_workgroup_id_x 1
		.amdhsa_system_sgpr_workgroup_id_y 0
		.amdhsa_system_sgpr_workgroup_id_z 0
		.amdhsa_system_sgpr_workgroup_info 0
		.amdhsa_system_vgpr_workitem_id 0
		.amdhsa_next_free_vgpr 12
		.amdhsa_next_free_sgpr 16
		.amdhsa_reserve_vcc 1
		.amdhsa_float_round_mode_32 0
		.amdhsa_float_round_mode_16_64 0
		.amdhsa_float_denorm_mode_32 3
		.amdhsa_float_denorm_mode_16_64 3
		.amdhsa_dx10_clamp 1
		.amdhsa_ieee_mode 1
		.amdhsa_fp16_overflow 0
		.amdhsa_workgroup_processor_mode 1
		.amdhsa_memory_ordered 1
		.amdhsa_forward_progress 0
		.amdhsa_shared_vgpr_count 0
		.amdhsa_exception_fp_ieee_invalid_op 0
		.amdhsa_exception_fp_denorm_src 0
		.amdhsa_exception_fp_ieee_div_zero 0
		.amdhsa_exception_fp_ieee_overflow 0
		.amdhsa_exception_fp_ieee_underflow 0
		.amdhsa_exception_fp_ieee_inexact 0
		.amdhsa_exception_int_div_zero 0
	.end_amdhsa_kernel
	.section	.text._Z28inclusive_scan_reduce_kernelILj377ELN6hipcub18BlockScanAlgorithmE0ElEvPT1_S3_,"axG",@progbits,_Z28inclusive_scan_reduce_kernelILj377ELN6hipcub18BlockScanAlgorithmE0ElEvPT1_S3_,comdat
.Lfunc_end34:
	.size	_Z28inclusive_scan_reduce_kernelILj377ELN6hipcub18BlockScanAlgorithmE0ElEvPT1_S3_, .Lfunc_end34-_Z28inclusive_scan_reduce_kernelILj377ELN6hipcub18BlockScanAlgorithmE0ElEvPT1_S3_
                                        ; -- End function
	.section	.AMDGPU.csdata,"",@progbits
; Kernel info:
; codeLenInByte = 984
; NumSgprs: 18
; NumVgprs: 12
; ScratchSize: 0
; MemoryBound: 0
; FloatMode: 240
; IeeeMode: 1
; LDSByteSize: 96 bytes/workgroup (compile time only)
; SGPRBlocks: 2
; VGPRBlocks: 1
; NumSGPRsForWavesPerEU: 18
; NumVGPRsForWavesPerEU: 12
; Occupancy: 15
; WaveLimiterHint : 0
; COMPUTE_PGM_RSRC2:SCRATCH_EN: 0
; COMPUTE_PGM_RSRC2:USER_SGPR: 15
; COMPUTE_PGM_RSRC2:TRAP_HANDLER: 0
; COMPUTE_PGM_RSRC2:TGID_X_EN: 1
; COMPUTE_PGM_RSRC2:TGID_Y_EN: 0
; COMPUTE_PGM_RSRC2:TGID_Z_EN: 0
; COMPUTE_PGM_RSRC2:TIDIG_COMP_CNT: 0
	.section	.text._Z28inclusive_scan_reduce_kernelILj256ELN6hipcub18BlockScanAlgorithmE0ElEvPT1_S3_,"axG",@progbits,_Z28inclusive_scan_reduce_kernelILj256ELN6hipcub18BlockScanAlgorithmE0ElEvPT1_S3_,comdat
	.protected	_Z28inclusive_scan_reduce_kernelILj256ELN6hipcub18BlockScanAlgorithmE0ElEvPT1_S3_ ; -- Begin function _Z28inclusive_scan_reduce_kernelILj256ELN6hipcub18BlockScanAlgorithmE0ElEvPT1_S3_
	.globl	_Z28inclusive_scan_reduce_kernelILj256ELN6hipcub18BlockScanAlgorithmE0ElEvPT1_S3_
	.p2align	8
	.type	_Z28inclusive_scan_reduce_kernelILj256ELN6hipcub18BlockScanAlgorithmE0ElEvPT1_S3_,@function
_Z28inclusive_scan_reduce_kernelILj256ELN6hipcub18BlockScanAlgorithmE0ElEvPT1_S3_: ; @_Z28inclusive_scan_reduce_kernelILj256ELN6hipcub18BlockScanAlgorithmE0ElEvPT1_S3_
; %bb.0:
	s_load_b128 s[0:3], s[0:1], 0x0
	s_mov_b32 s4, s15
	v_mov_b32_e32 v2, 0
	v_lshl_or_b32 v1, s4, 8, v0
	v_mbcnt_lo_u32_b32 v7, -1, 0
	s_delay_alu instid0(VALU_DEP_2) | instskip(NEXT) | instid1(VALU_DEP_2)
	v_lshlrev_b64 v[1:2], 3, v[1:2]
	v_and_b32_e32 v6, 15, v7
	s_waitcnt lgkmcnt(0)
	s_delay_alu instid0(VALU_DEP_2) | instskip(NEXT) | instid1(VALU_DEP_3)
	v_add_co_u32 v1, vcc_lo, s0, v1
	v_add_co_ci_u32_e32 v2, vcc_lo, s1, v2, vcc_lo
	s_mov_b32 s0, exec_lo
	global_load_b64 v[3:4], v[1:2], off
	s_waitcnt vmcnt(0)
	v_mov_b32_e32 v5, v3
	v_mov_b32_dpp v9, v3 row_shr:1 row_mask:0xf bank_mask:0xf
	v_mov_b32_dpp v8, v4 row_shr:1 row_mask:0xf bank_mask:0xf
	v_cmpx_ne_u32_e32 0, v6
; %bb.1:
	s_delay_alu instid0(VALU_DEP_3) | instskip(SKIP_1) | instid1(VALU_DEP_2)
	v_add_co_u32 v5, vcc_lo, v3, v9
	v_add_co_ci_u32_e32 v4, vcc_lo, 0, v4, vcc_lo
	v_add_co_u32 v3, vcc_lo, 0, v5
	s_delay_alu instid0(VALU_DEP_2)
	v_add_co_ci_u32_e32 v4, vcc_lo, v8, v4, vcc_lo
; %bb.2:
	s_or_b32 exec_lo, exec_lo, s0
	v_mov_b32_dpp v9, v5 row_shr:2 row_mask:0xf bank_mask:0xf
	s_delay_alu instid0(VALU_DEP_2)
	v_mov_b32_dpp v8, v4 row_shr:2 row_mask:0xf bank_mask:0xf
	s_mov_b32 s0, exec_lo
	v_cmpx_lt_u32_e32 1, v6
; %bb.3:
	s_delay_alu instid0(VALU_DEP_3) | instskip(SKIP_1) | instid1(VALU_DEP_2)
	v_add_co_u32 v5, vcc_lo, v3, v9
	v_add_co_ci_u32_e32 v4, vcc_lo, 0, v4, vcc_lo
	v_add_co_u32 v3, vcc_lo, 0, v5
	s_delay_alu instid0(VALU_DEP_2)
	v_add_co_ci_u32_e32 v4, vcc_lo, v8, v4, vcc_lo
; %bb.4:
	s_or_b32 exec_lo, exec_lo, s0
	v_mov_b32_dpp v9, v5 row_shr:4 row_mask:0xf bank_mask:0xf
	s_delay_alu instid0(VALU_DEP_2)
	v_mov_b32_dpp v8, v4 row_shr:4 row_mask:0xf bank_mask:0xf
	s_mov_b32 s0, exec_lo
	v_cmpx_lt_u32_e32 3, v6
; %bb.5:
	s_delay_alu instid0(VALU_DEP_3) | instskip(SKIP_1) | instid1(VALU_DEP_2)
	v_add_co_u32 v5, vcc_lo, v3, v9
	v_add_co_ci_u32_e32 v4, vcc_lo, 0, v4, vcc_lo
	v_add_co_u32 v3, vcc_lo, 0, v5
	s_delay_alu instid0(VALU_DEP_2)
	v_add_co_ci_u32_e32 v4, vcc_lo, v8, v4, vcc_lo
; %bb.6:
	s_or_b32 exec_lo, exec_lo, s0
	v_mov_b32_dpp v9, v5 row_shr:8 row_mask:0xf bank_mask:0xf
	s_delay_alu instid0(VALU_DEP_2)
	v_mov_b32_dpp v8, v4 row_shr:8 row_mask:0xf bank_mask:0xf
	s_mov_b32 s0, exec_lo
	v_cmpx_lt_u32_e32 7, v6
; %bb.7:
	s_delay_alu instid0(VALU_DEP_3) | instskip(SKIP_1) | instid1(VALU_DEP_2)
	v_add_co_u32 v5, vcc_lo, v3, v9
	v_add_co_ci_u32_e32 v4, vcc_lo, 0, v4, vcc_lo
	v_add_co_u32 v3, vcc_lo, 0, v5
	s_delay_alu instid0(VALU_DEP_2)
	v_add_co_ci_u32_e32 v4, vcc_lo, v8, v4, vcc_lo
; %bb.8:
	s_or_b32 exec_lo, exec_lo, s0
	ds_swizzle_b32 v6, v5 offset:swizzle(BROADCAST,32,15)
	ds_swizzle_b32 v5, v4 offset:swizzle(BROADCAST,32,15)
	v_and_b32_e32 v8, 16, v7
	s_mov_b32 s0, exec_lo
	s_delay_alu instid0(VALU_DEP_1)
	v_cmpx_ne_u32_e32 0, v8
	s_cbranch_execz .LBB35_10
; %bb.9:
	s_waitcnt lgkmcnt(1)
	v_add_co_u32 v3, vcc_lo, v3, v6
	v_add_co_ci_u32_e32 v4, vcc_lo, 0, v4, vcc_lo
	s_delay_alu instid0(VALU_DEP_2) | instskip(SKIP_1) | instid1(VALU_DEP_2)
	v_add_co_u32 v3, vcc_lo, v3, 0
	s_waitcnt lgkmcnt(0)
	v_add_co_ci_u32_e32 v4, vcc_lo, v4, v5, vcc_lo
.LBB35_10:
	s_or_b32 exec_lo, exec_lo, s0
	s_waitcnt lgkmcnt(0)
	v_or_b32_e32 v5, 31, v0
	v_lshrrev_b32_e32 v8, 5, v0
	s_mov_b32 s0, exec_lo
	s_delay_alu instid0(VALU_DEP_2)
	v_cmpx_eq_u32_e64 v5, v0
	s_cbranch_execz .LBB35_12
; %bb.11:
	s_delay_alu instid0(VALU_DEP_2)
	v_lshlrev_b32_e32 v5, 3, v8
	ds_store_b64 v5, v[3:4]
.LBB35_12:
	s_or_b32 exec_lo, exec_lo, s0
	s_delay_alu instid0(SALU_CYCLE_1)
	s_mov_b32 s0, exec_lo
	s_waitcnt lgkmcnt(0)
	s_barrier
	buffer_gl0_inv
	v_cmpx_gt_u32_e32 8, v0
	s_cbranch_execz .LBB35_20
; %bb.13:
	v_lshlrev_b32_e32 v9, 3, v0
	v_and_b32_e32 v7, 7, v7
	s_mov_b32 s1, exec_lo
	ds_load_b64 v[5:6], v9
	s_waitcnt lgkmcnt(0)
	v_mov_b32_e32 v10, v5
	v_mov_b32_dpp v12, v5 row_shr:1 row_mask:0xf bank_mask:0xf
	v_mov_b32_dpp v11, v6 row_shr:1 row_mask:0xf bank_mask:0xf
	v_cmpx_ne_u32_e32 0, v7
; %bb.14:
	s_delay_alu instid0(VALU_DEP_3) | instskip(SKIP_1) | instid1(VALU_DEP_2)
	v_add_co_u32 v10, vcc_lo, v5, v12
	v_add_co_ci_u32_e32 v6, vcc_lo, 0, v6, vcc_lo
	v_add_co_u32 v5, vcc_lo, 0, v10
	s_delay_alu instid0(VALU_DEP_2)
	v_add_co_ci_u32_e32 v6, vcc_lo, v11, v6, vcc_lo
; %bb.15:
	s_or_b32 exec_lo, exec_lo, s1
	v_mov_b32_dpp v12, v10 row_shr:2 row_mask:0xf bank_mask:0xf
	s_delay_alu instid0(VALU_DEP_2)
	v_mov_b32_dpp v11, v6 row_shr:2 row_mask:0xf bank_mask:0xf
	s_mov_b32 s1, exec_lo
	v_cmpx_lt_u32_e32 1, v7
; %bb.16:
	s_delay_alu instid0(VALU_DEP_3) | instskip(SKIP_1) | instid1(VALU_DEP_2)
	v_add_co_u32 v10, vcc_lo, v5, v12
	v_add_co_ci_u32_e32 v6, vcc_lo, 0, v6, vcc_lo
	v_add_co_u32 v5, vcc_lo, 0, v10
	s_delay_alu instid0(VALU_DEP_2)
	v_add_co_ci_u32_e32 v6, vcc_lo, v11, v6, vcc_lo
; %bb.17:
	s_or_b32 exec_lo, exec_lo, s1
	v_mov_b32_dpp v11, v10 row_shr:4 row_mask:0xf bank_mask:0xf
	s_delay_alu instid0(VALU_DEP_2)
	v_mov_b32_dpp v10, v6 row_shr:4 row_mask:0xf bank_mask:0xf
	s_mov_b32 s1, exec_lo
	v_cmpx_lt_u32_e32 3, v7
; %bb.18:
	s_delay_alu instid0(VALU_DEP_3) | instskip(SKIP_1) | instid1(VALU_DEP_2)
	v_add_co_u32 v5, vcc_lo, v5, v11
	v_add_co_ci_u32_e32 v6, vcc_lo, 0, v6, vcc_lo
	v_add_co_u32 v5, vcc_lo, v5, 0
	s_delay_alu instid0(VALU_DEP_2)
	v_add_co_ci_u32_e32 v6, vcc_lo, v6, v10, vcc_lo
; %bb.19:
	s_or_b32 exec_lo, exec_lo, s1
	ds_store_b64 v9, v[5:6]
.LBB35_20:
	s_or_b32 exec_lo, exec_lo, s0
	s_delay_alu instid0(SALU_CYCLE_1)
	s_mov_b32 s0, exec_lo
	s_waitcnt lgkmcnt(0)
	s_barrier
	buffer_gl0_inv
	v_cmpx_lt_u32_e32 31, v0
	s_cbranch_execz .LBB35_22
; %bb.21:
	v_lshl_add_u32 v5, v8, 3, -8
	ds_load_b64 v[5:6], v5
	s_waitcnt lgkmcnt(0)
	v_add_co_u32 v3, vcc_lo, v5, v3
	v_add_co_ci_u32_e32 v4, vcc_lo, v6, v4, vcc_lo
.LBB35_22:
	s_or_b32 exec_lo, exec_lo, s0
	s_mov_b32 s5, 0
	global_store_b64 v[1:2], v[3:4], off
	s_mov_b32 s0, exec_lo
	v_cmpx_eq_u32_e32 0, v0
	s_cbranch_execz .LBB35_24
; %bb.23:
	v_mov_b32_e32 v2, 0
	s_lshl_b64 s[0:1], s[4:5], 3
	s_delay_alu instid0(SALU_CYCLE_1)
	s_add_u32 s0, s2, s0
	s_addc_u32 s1, s3, s1
	ds_load_b64 v[0:1], v2 offset:56
	s_waitcnt lgkmcnt(0)
	global_store_b64 v2, v[0:1], s[0:1]
.LBB35_24:
	s_nop 0
	s_sendmsg sendmsg(MSG_DEALLOC_VGPRS)
	s_endpgm
	.section	.rodata,"a",@progbits
	.p2align	6, 0x0
	.amdhsa_kernel _Z28inclusive_scan_reduce_kernelILj256ELN6hipcub18BlockScanAlgorithmE0ElEvPT1_S3_
		.amdhsa_group_segment_fixed_size 64
		.amdhsa_private_segment_fixed_size 0
		.amdhsa_kernarg_size 16
		.amdhsa_user_sgpr_count 15
		.amdhsa_user_sgpr_dispatch_ptr 0
		.amdhsa_user_sgpr_queue_ptr 0
		.amdhsa_user_sgpr_kernarg_segment_ptr 1
		.amdhsa_user_sgpr_dispatch_id 0
		.amdhsa_user_sgpr_private_segment_size 0
		.amdhsa_wavefront_size32 1
		.amdhsa_uses_dynamic_stack 0
		.amdhsa_enable_private_segment 0
		.amdhsa_system_sgpr_workgroup_id_x 1
		.amdhsa_system_sgpr_workgroup_id_y 0
		.amdhsa_system_sgpr_workgroup_id_z 0
		.amdhsa_system_sgpr_workgroup_info 0
		.amdhsa_system_vgpr_workitem_id 0
		.amdhsa_next_free_vgpr 13
		.amdhsa_next_free_sgpr 16
		.amdhsa_reserve_vcc 1
		.amdhsa_float_round_mode_32 0
		.amdhsa_float_round_mode_16_64 0
		.amdhsa_float_denorm_mode_32 3
		.amdhsa_float_denorm_mode_16_64 3
		.amdhsa_dx10_clamp 1
		.amdhsa_ieee_mode 1
		.amdhsa_fp16_overflow 0
		.amdhsa_workgroup_processor_mode 1
		.amdhsa_memory_ordered 1
		.amdhsa_forward_progress 0
		.amdhsa_shared_vgpr_count 0
		.amdhsa_exception_fp_ieee_invalid_op 0
		.amdhsa_exception_fp_denorm_src 0
		.amdhsa_exception_fp_ieee_div_zero 0
		.amdhsa_exception_fp_ieee_overflow 0
		.amdhsa_exception_fp_ieee_underflow 0
		.amdhsa_exception_fp_ieee_inexact 0
		.amdhsa_exception_int_div_zero 0
	.end_amdhsa_kernel
	.section	.text._Z28inclusive_scan_reduce_kernelILj256ELN6hipcub18BlockScanAlgorithmE0ElEvPT1_S3_,"axG",@progbits,_Z28inclusive_scan_reduce_kernelILj256ELN6hipcub18BlockScanAlgorithmE0ElEvPT1_S3_,comdat
.Lfunc_end35:
	.size	_Z28inclusive_scan_reduce_kernelILj256ELN6hipcub18BlockScanAlgorithmE0ElEvPT1_S3_, .Lfunc_end35-_Z28inclusive_scan_reduce_kernelILj256ELN6hipcub18BlockScanAlgorithmE0ElEvPT1_S3_
                                        ; -- End function
	.section	.AMDGPU.csdata,"",@progbits
; Kernel info:
; codeLenInByte = 864
; NumSgprs: 18
; NumVgprs: 13
; ScratchSize: 0
; MemoryBound: 0
; FloatMode: 240
; IeeeMode: 1
; LDSByteSize: 64 bytes/workgroup (compile time only)
; SGPRBlocks: 2
; VGPRBlocks: 1
; NumSGPRsForWavesPerEU: 18
; NumVGPRsForWavesPerEU: 13
; Occupancy: 16
; WaveLimiterHint : 0
; COMPUTE_PGM_RSRC2:SCRATCH_EN: 0
; COMPUTE_PGM_RSRC2:USER_SGPR: 15
; COMPUTE_PGM_RSRC2:TRAP_HANDLER: 0
; COMPUTE_PGM_RSRC2:TGID_X_EN: 1
; COMPUTE_PGM_RSRC2:TGID_Y_EN: 0
; COMPUTE_PGM_RSRC2:TGID_Z_EN: 0
; COMPUTE_PGM_RSRC2:TIDIG_COMP_CNT: 0
	.section	.text._Z28inclusive_scan_reduce_kernelILj64ELN6hipcub18BlockScanAlgorithmE0ElEvPT1_S3_,"axG",@progbits,_Z28inclusive_scan_reduce_kernelILj64ELN6hipcub18BlockScanAlgorithmE0ElEvPT1_S3_,comdat
	.protected	_Z28inclusive_scan_reduce_kernelILj64ELN6hipcub18BlockScanAlgorithmE0ElEvPT1_S3_ ; -- Begin function _Z28inclusive_scan_reduce_kernelILj64ELN6hipcub18BlockScanAlgorithmE0ElEvPT1_S3_
	.globl	_Z28inclusive_scan_reduce_kernelILj64ELN6hipcub18BlockScanAlgorithmE0ElEvPT1_S3_
	.p2align	8
	.type	_Z28inclusive_scan_reduce_kernelILj64ELN6hipcub18BlockScanAlgorithmE0ElEvPT1_S3_,@function
_Z28inclusive_scan_reduce_kernelILj64ELN6hipcub18BlockScanAlgorithmE0ElEvPT1_S3_: ; @_Z28inclusive_scan_reduce_kernelILj64ELN6hipcub18BlockScanAlgorithmE0ElEvPT1_S3_
; %bb.0:
	s_load_b128 s[0:3], s[0:1], 0x0
	s_mov_b32 s4, s15
	v_mov_b32_e32 v2, 0
	v_lshl_or_b32 v1, s4, 6, v0
	v_mbcnt_lo_u32_b32 v7, -1, 0
	s_delay_alu instid0(VALU_DEP_2) | instskip(NEXT) | instid1(VALU_DEP_2)
	v_lshlrev_b64 v[1:2], 3, v[1:2]
	v_and_b32_e32 v6, 15, v7
	s_waitcnt lgkmcnt(0)
	s_delay_alu instid0(VALU_DEP_2) | instskip(NEXT) | instid1(VALU_DEP_3)
	v_add_co_u32 v1, vcc_lo, s0, v1
	v_add_co_ci_u32_e32 v2, vcc_lo, s1, v2, vcc_lo
	s_mov_b32 s0, exec_lo
	global_load_b64 v[3:4], v[1:2], off
	s_waitcnt vmcnt(0)
	v_mov_b32_e32 v5, v3
	v_mov_b32_dpp v9, v3 row_shr:1 row_mask:0xf bank_mask:0xf
	v_mov_b32_dpp v8, v4 row_shr:1 row_mask:0xf bank_mask:0xf
	v_cmpx_ne_u32_e32 0, v6
; %bb.1:
	s_delay_alu instid0(VALU_DEP_3) | instskip(SKIP_1) | instid1(VALU_DEP_2)
	v_add_co_u32 v5, vcc_lo, v3, v9
	v_add_co_ci_u32_e32 v4, vcc_lo, 0, v4, vcc_lo
	v_add_co_u32 v3, vcc_lo, 0, v5
	s_delay_alu instid0(VALU_DEP_2)
	v_add_co_ci_u32_e32 v4, vcc_lo, v8, v4, vcc_lo
; %bb.2:
	s_or_b32 exec_lo, exec_lo, s0
	v_mov_b32_dpp v9, v5 row_shr:2 row_mask:0xf bank_mask:0xf
	s_delay_alu instid0(VALU_DEP_2)
	v_mov_b32_dpp v8, v4 row_shr:2 row_mask:0xf bank_mask:0xf
	s_mov_b32 s0, exec_lo
	v_cmpx_lt_u32_e32 1, v6
; %bb.3:
	s_delay_alu instid0(VALU_DEP_3) | instskip(SKIP_1) | instid1(VALU_DEP_2)
	v_add_co_u32 v5, vcc_lo, v3, v9
	v_add_co_ci_u32_e32 v4, vcc_lo, 0, v4, vcc_lo
	v_add_co_u32 v3, vcc_lo, 0, v5
	s_delay_alu instid0(VALU_DEP_2)
	v_add_co_ci_u32_e32 v4, vcc_lo, v8, v4, vcc_lo
; %bb.4:
	s_or_b32 exec_lo, exec_lo, s0
	v_mov_b32_dpp v9, v5 row_shr:4 row_mask:0xf bank_mask:0xf
	s_delay_alu instid0(VALU_DEP_2)
	v_mov_b32_dpp v8, v4 row_shr:4 row_mask:0xf bank_mask:0xf
	s_mov_b32 s0, exec_lo
	v_cmpx_lt_u32_e32 3, v6
; %bb.5:
	s_delay_alu instid0(VALU_DEP_3) | instskip(SKIP_1) | instid1(VALU_DEP_2)
	v_add_co_u32 v5, vcc_lo, v3, v9
	v_add_co_ci_u32_e32 v4, vcc_lo, 0, v4, vcc_lo
	v_add_co_u32 v3, vcc_lo, 0, v5
	s_delay_alu instid0(VALU_DEP_2)
	v_add_co_ci_u32_e32 v4, vcc_lo, v8, v4, vcc_lo
; %bb.6:
	s_or_b32 exec_lo, exec_lo, s0
	v_mov_b32_dpp v9, v5 row_shr:8 row_mask:0xf bank_mask:0xf
	s_delay_alu instid0(VALU_DEP_2)
	v_mov_b32_dpp v8, v4 row_shr:8 row_mask:0xf bank_mask:0xf
	s_mov_b32 s0, exec_lo
	v_cmpx_lt_u32_e32 7, v6
; %bb.7:
	s_delay_alu instid0(VALU_DEP_3) | instskip(SKIP_1) | instid1(VALU_DEP_2)
	v_add_co_u32 v5, vcc_lo, v3, v9
	v_add_co_ci_u32_e32 v4, vcc_lo, 0, v4, vcc_lo
	v_add_co_u32 v3, vcc_lo, 0, v5
	s_delay_alu instid0(VALU_DEP_2)
	v_add_co_ci_u32_e32 v4, vcc_lo, v8, v4, vcc_lo
; %bb.8:
	s_or_b32 exec_lo, exec_lo, s0
	ds_swizzle_b32 v6, v5 offset:swizzle(BROADCAST,32,15)
	ds_swizzle_b32 v5, v4 offset:swizzle(BROADCAST,32,15)
	v_and_b32_e32 v8, 16, v7
	s_mov_b32 s0, exec_lo
	s_delay_alu instid0(VALU_DEP_1)
	v_cmpx_ne_u32_e32 0, v8
	s_cbranch_execz .LBB36_10
; %bb.9:
	s_waitcnt lgkmcnt(1)
	v_add_co_u32 v3, vcc_lo, v3, v6
	v_add_co_ci_u32_e32 v4, vcc_lo, 0, v4, vcc_lo
	s_delay_alu instid0(VALU_DEP_2) | instskip(SKIP_1) | instid1(VALU_DEP_2)
	v_add_co_u32 v3, vcc_lo, v3, 0
	s_waitcnt lgkmcnt(0)
	v_add_co_ci_u32_e32 v4, vcc_lo, v4, v5, vcc_lo
.LBB36_10:
	s_or_b32 exec_lo, exec_lo, s0
	s_waitcnt lgkmcnt(0)
	v_or_b32_e32 v5, 31, v0
	v_lshrrev_b32_e32 v8, 5, v0
	s_mov_b32 s0, exec_lo
	s_delay_alu instid0(VALU_DEP_2)
	v_cmpx_eq_u32_e64 v5, v0
	s_cbranch_execz .LBB36_12
; %bb.11:
	s_delay_alu instid0(VALU_DEP_2)
	v_lshlrev_b32_e32 v5, 3, v8
	ds_store_b64 v5, v[3:4]
.LBB36_12:
	s_or_b32 exec_lo, exec_lo, s0
	s_delay_alu instid0(SALU_CYCLE_1)
	s_mov_b32 s0, exec_lo
	s_waitcnt lgkmcnt(0)
	s_barrier
	buffer_gl0_inv
	v_cmpx_gt_u32_e32 2, v0
	s_cbranch_execz .LBB36_16
; %bb.13:
	v_lshlrev_b32_e32 v9, 3, v0
	v_and_b32_e32 v11, 1, v7
	s_mov_b32 s1, exec_lo
	ds_load_b64 v[5:6], v9
	s_waitcnt lgkmcnt(0)
	v_mov_b32_dpp v10, v5 row_shr:1 row_mask:0xf bank_mask:0xf
	v_mov_b32_dpp v7, v6 row_shr:1 row_mask:0xf bank_mask:0xf
	v_cmpx_eq_u32_e32 1, v11
; %bb.14:
	s_delay_alu instid0(VALU_DEP_3) | instskip(SKIP_1) | instid1(VALU_DEP_2)
	v_add_co_u32 v5, vcc_lo, v5, v10
	v_add_co_ci_u32_e32 v6, vcc_lo, 0, v6, vcc_lo
	v_add_co_u32 v5, vcc_lo, v5, 0
	s_delay_alu instid0(VALU_DEP_2)
	v_add_co_ci_u32_e32 v6, vcc_lo, v6, v7, vcc_lo
; %bb.15:
	s_or_b32 exec_lo, exec_lo, s1
	ds_store_b64 v9, v[5:6]
.LBB36_16:
	s_or_b32 exec_lo, exec_lo, s0
	s_delay_alu instid0(SALU_CYCLE_1)
	s_mov_b32 s0, exec_lo
	s_waitcnt lgkmcnt(0)
	s_barrier
	buffer_gl0_inv
	v_cmpx_lt_u32_e32 31, v0
	s_cbranch_execz .LBB36_18
; %bb.17:
	v_lshl_add_u32 v5, v8, 3, -8
	ds_load_b64 v[5:6], v5
	s_waitcnt lgkmcnt(0)
	v_add_co_u32 v3, vcc_lo, v5, v3
	v_add_co_ci_u32_e32 v4, vcc_lo, v6, v4, vcc_lo
.LBB36_18:
	s_or_b32 exec_lo, exec_lo, s0
	s_mov_b32 s5, 0
	global_store_b64 v[1:2], v[3:4], off
	s_mov_b32 s0, exec_lo
	v_cmpx_eq_u32_e32 0, v0
	s_cbranch_execz .LBB36_20
; %bb.19:
	v_mov_b32_e32 v2, 0
	s_lshl_b64 s[0:1], s[4:5], 3
	s_delay_alu instid0(SALU_CYCLE_1)
	s_add_u32 s0, s2, s0
	s_addc_u32 s1, s3, s1
	ds_load_b64 v[0:1], v2 offset:8
	s_waitcnt lgkmcnt(0)
	global_store_b64 v2, v[0:1], s[0:1]
.LBB36_20:
	s_nop 0
	s_sendmsg sendmsg(MSG_DEALLOC_VGPRS)
	s_endpgm
	.section	.rodata,"a",@progbits
	.p2align	6, 0x0
	.amdhsa_kernel _Z28inclusive_scan_reduce_kernelILj64ELN6hipcub18BlockScanAlgorithmE0ElEvPT1_S3_
		.amdhsa_group_segment_fixed_size 16
		.amdhsa_private_segment_fixed_size 0
		.amdhsa_kernarg_size 16
		.amdhsa_user_sgpr_count 15
		.amdhsa_user_sgpr_dispatch_ptr 0
		.amdhsa_user_sgpr_queue_ptr 0
		.amdhsa_user_sgpr_kernarg_segment_ptr 1
		.amdhsa_user_sgpr_dispatch_id 0
		.amdhsa_user_sgpr_private_segment_size 0
		.amdhsa_wavefront_size32 1
		.amdhsa_uses_dynamic_stack 0
		.amdhsa_enable_private_segment 0
		.amdhsa_system_sgpr_workgroup_id_x 1
		.amdhsa_system_sgpr_workgroup_id_y 0
		.amdhsa_system_sgpr_workgroup_id_z 0
		.amdhsa_system_sgpr_workgroup_info 0
		.amdhsa_system_vgpr_workitem_id 0
		.amdhsa_next_free_vgpr 12
		.amdhsa_next_free_sgpr 16
		.amdhsa_reserve_vcc 1
		.amdhsa_float_round_mode_32 0
		.amdhsa_float_round_mode_16_64 0
		.amdhsa_float_denorm_mode_32 3
		.amdhsa_float_denorm_mode_16_64 3
		.amdhsa_dx10_clamp 1
		.amdhsa_ieee_mode 1
		.amdhsa_fp16_overflow 0
		.amdhsa_workgroup_processor_mode 1
		.amdhsa_memory_ordered 1
		.amdhsa_forward_progress 0
		.amdhsa_shared_vgpr_count 0
		.amdhsa_exception_fp_ieee_invalid_op 0
		.amdhsa_exception_fp_denorm_src 0
		.amdhsa_exception_fp_ieee_div_zero 0
		.amdhsa_exception_fp_ieee_overflow 0
		.amdhsa_exception_fp_ieee_underflow 0
		.amdhsa_exception_fp_ieee_inexact 0
		.amdhsa_exception_int_div_zero 0
	.end_amdhsa_kernel
	.section	.text._Z28inclusive_scan_reduce_kernelILj64ELN6hipcub18BlockScanAlgorithmE0ElEvPT1_S3_,"axG",@progbits,_Z28inclusive_scan_reduce_kernelILj64ELN6hipcub18BlockScanAlgorithmE0ElEvPT1_S3_,comdat
.Lfunc_end36:
	.size	_Z28inclusive_scan_reduce_kernelILj64ELN6hipcub18BlockScanAlgorithmE0ElEvPT1_S3_, .Lfunc_end36-_Z28inclusive_scan_reduce_kernelILj64ELN6hipcub18BlockScanAlgorithmE0ElEvPT1_S3_
                                        ; -- End function
	.section	.AMDGPU.csdata,"",@progbits
; Kernel info:
; codeLenInByte = 732
; NumSgprs: 18
; NumVgprs: 12
; ScratchSize: 0
; MemoryBound: 0
; FloatMode: 240
; IeeeMode: 1
; LDSByteSize: 16 bytes/workgroup (compile time only)
; SGPRBlocks: 2
; VGPRBlocks: 1
; NumSGPRsForWavesPerEU: 18
; NumVGPRsForWavesPerEU: 12
; Occupancy: 16
; WaveLimiterHint : 0
; COMPUTE_PGM_RSRC2:SCRATCH_EN: 0
; COMPUTE_PGM_RSRC2:USER_SGPR: 15
; COMPUTE_PGM_RSRC2:TRAP_HANDLER: 0
; COMPUTE_PGM_RSRC2:TGID_X_EN: 1
; COMPUTE_PGM_RSRC2:TGID_Y_EN: 0
; COMPUTE_PGM_RSRC2:TGID_Z_EN: 0
; COMPUTE_PGM_RSRC2:TIDIG_COMP_CNT: 0
	.section	.text._Z28inclusive_scan_reduce_kernelILj377ELN6hipcub18BlockScanAlgorithmE0EjEvPT1_S3_,"axG",@progbits,_Z28inclusive_scan_reduce_kernelILj377ELN6hipcub18BlockScanAlgorithmE0EjEvPT1_S3_,comdat
	.protected	_Z28inclusive_scan_reduce_kernelILj377ELN6hipcub18BlockScanAlgorithmE0EjEvPT1_S3_ ; -- Begin function _Z28inclusive_scan_reduce_kernelILj377ELN6hipcub18BlockScanAlgorithmE0EjEvPT1_S3_
	.globl	_Z28inclusive_scan_reduce_kernelILj377ELN6hipcub18BlockScanAlgorithmE0EjEvPT1_S3_
	.p2align	8
	.type	_Z28inclusive_scan_reduce_kernelILj377ELN6hipcub18BlockScanAlgorithmE0EjEvPT1_S3_,@function
_Z28inclusive_scan_reduce_kernelILj377ELN6hipcub18BlockScanAlgorithmE0EjEvPT1_S3_: ; @_Z28inclusive_scan_reduce_kernelILj377ELN6hipcub18BlockScanAlgorithmE0EjEvPT1_S3_
; %bb.0:
	s_load_b128 s[4:7], s[0:1], 0x0
	s_mov_b32 s8, s15
	v_mbcnt_lo_u32_b32 v4, -1, 0
	v_mad_u64_u32 v[1:2], null, 0x179, s8, v[0:1]
	s_delay_alu instid0(VALU_DEP_2) | instskip(SKIP_1) | instid1(VALU_DEP_2)
	v_dual_mov_b32 v2, 0 :: v_dual_and_b32 v5, 15, v4
	v_bfe_i32 v4, v4, 4, 1
	v_lshlrev_b64 v[1:2], 2, v[1:2]
	s_delay_alu instid0(VALU_DEP_3) | instskip(SKIP_3) | instid1(VALU_DEP_4)
	v_cmp_lt_u32_e64 s0, 1, v5
	v_cmp_lt_u32_e64 s1, 3, v5
	;; [unrolled: 1-line block ×3, first 2 shown]
	s_waitcnt lgkmcnt(0)
	v_add_co_u32 v1, vcc_lo, s4, v1
	v_add_co_ci_u32_e32 v2, vcc_lo, s5, v2, vcc_lo
	v_cmp_eq_u32_e32 vcc_lo, 0, v5
	s_mov_b32 s4, exec_lo
	global_load_b32 v3, v[1:2], off
	s_waitcnt vmcnt(0)
	v_mov_b32_dpp v6, v3 row_shr:1 row_mask:0xf bank_mask:0xf
	s_delay_alu instid0(VALU_DEP_1) | instskip(NEXT) | instid1(VALU_DEP_1)
	v_cndmask_b32_e64 v6, v6, 0, vcc_lo
	v_add_nc_u32_e32 v3, v6, v3
	s_delay_alu instid0(VALU_DEP_1) | instskip(NEXT) | instid1(VALU_DEP_1)
	v_mov_b32_dpp v6, v3 row_shr:2 row_mask:0xf bank_mask:0xf
	v_cndmask_b32_e64 v6, 0, v6, s0
	s_delay_alu instid0(VALU_DEP_1) | instskip(NEXT) | instid1(VALU_DEP_1)
	v_add_nc_u32_e32 v3, v3, v6
	v_mov_b32_dpp v6, v3 row_shr:4 row_mask:0xf bank_mask:0xf
	s_delay_alu instid0(VALU_DEP_1) | instskip(NEXT) | instid1(VALU_DEP_1)
	v_cndmask_b32_e64 v6, 0, v6, s1
	v_add_nc_u32_e32 v3, v3, v6
	s_delay_alu instid0(VALU_DEP_1) | instskip(NEXT) | instid1(VALU_DEP_1)
	v_mov_b32_dpp v6, v3 row_shr:8 row_mask:0xf bank_mask:0xf
	v_cndmask_b32_e64 v5, 0, v6, s2
	v_and_b32_e32 v6, 0x1e0, v0
	s_delay_alu instid0(VALU_DEP_2) | instskip(NEXT) | instid1(VALU_DEP_2)
	v_add_nc_u32_e32 v3, v3, v5
	v_min_u32_e32 v6, 0x159, v6
	ds_swizzle_b32 v5, v3 offset:swizzle(BROADCAST,32,15)
	v_add_nc_u32_e32 v6, 31, v6
	s_waitcnt lgkmcnt(0)
	v_and_b32_e32 v5, v4, v5
	v_lshrrev_b32_e32 v4, 5, v0
	s_delay_alu instid0(VALU_DEP_2)
	v_add_nc_u32_e32 v3, v3, v5
	v_cmpx_eq_u32_e64 v6, v0
	s_cbranch_execz .LBB37_2
; %bb.1:
	s_delay_alu instid0(VALU_DEP_3)
	v_lshlrev_b32_e32 v5, 2, v4
	ds_store_b32 v5, v3
.LBB37_2:
	s_or_b32 exec_lo, exec_lo, s4
	s_delay_alu instid0(SALU_CYCLE_1)
	s_mov_b32 s4, exec_lo
	s_waitcnt lgkmcnt(0)
	s_barrier
	buffer_gl0_inv
	v_cmpx_gt_u32_e32 12, v0
	s_cbranch_execz .LBB37_4
; %bb.3:
	v_lshlrev_b32_e32 v5, 2, v0
	ds_load_b32 v6, v5
	s_waitcnt lgkmcnt(0)
	v_mov_b32_dpp v7, v6 row_shr:1 row_mask:0xf bank_mask:0xf
	s_delay_alu instid0(VALU_DEP_1) | instskip(NEXT) | instid1(VALU_DEP_1)
	v_cndmask_b32_e64 v7, v7, 0, vcc_lo
	v_add_nc_u32_e32 v6, v7, v6
	s_delay_alu instid0(VALU_DEP_1) | instskip(NEXT) | instid1(VALU_DEP_1)
	v_mov_b32_dpp v7, v6 row_shr:2 row_mask:0xf bank_mask:0xf
	v_cndmask_b32_e64 v7, 0, v7, s0
	s_delay_alu instid0(VALU_DEP_1) | instskip(NEXT) | instid1(VALU_DEP_1)
	v_add_nc_u32_e32 v6, v6, v7
	v_mov_b32_dpp v7, v6 row_shr:4 row_mask:0xf bank_mask:0xf
	s_delay_alu instid0(VALU_DEP_1) | instskip(NEXT) | instid1(VALU_DEP_1)
	v_cndmask_b32_e64 v7, 0, v7, s1
	v_add_nc_u32_e32 v6, v6, v7
	s_delay_alu instid0(VALU_DEP_1) | instskip(NEXT) | instid1(VALU_DEP_1)
	v_mov_b32_dpp v7, v6 row_shr:8 row_mask:0xf bank_mask:0xf
	v_cndmask_b32_e64 v7, 0, v7, s2
	s_delay_alu instid0(VALU_DEP_1)
	v_add_nc_u32_e32 v6, v6, v7
	ds_store_b32 v5, v6
.LBB37_4:
	s_or_b32 exec_lo, exec_lo, s4
	s_delay_alu instid0(SALU_CYCLE_1)
	s_mov_b32 s0, exec_lo
	s_waitcnt lgkmcnt(0)
	s_barrier
	buffer_gl0_inv
	v_cmpx_lt_u32_e32 31, v0
	s_cbranch_execz .LBB37_6
; %bb.5:
	v_lshl_add_u32 v4, v4, 2, -4
	ds_load_b32 v4, v4
	s_waitcnt lgkmcnt(0)
	v_add_nc_u32_e32 v3, v4, v3
.LBB37_6:
	s_or_b32 exec_lo, exec_lo, s0
	s_mov_b32 s9, 0
	global_store_b32 v[1:2], v3, off
	s_mov_b32 s0, exec_lo
	v_cmpx_eq_u32_e32 0, v0
	s_cbranch_execz .LBB37_8
; %bb.7:
	v_mov_b32_e32 v0, 0
	s_lshl_b64 s[0:1], s[8:9], 2
	s_delay_alu instid0(SALU_CYCLE_1)
	s_add_u32 s0, s6, s0
	s_addc_u32 s1, s7, s1
	ds_load_b32 v1, v0 offset:44
	s_waitcnt lgkmcnt(0)
	global_store_b32 v0, v1, s[0:1]
.LBB37_8:
	s_nop 0
	s_sendmsg sendmsg(MSG_DEALLOC_VGPRS)
	s_endpgm
	.section	.rodata,"a",@progbits
	.p2align	6, 0x0
	.amdhsa_kernel _Z28inclusive_scan_reduce_kernelILj377ELN6hipcub18BlockScanAlgorithmE0EjEvPT1_S3_
		.amdhsa_group_segment_fixed_size 48
		.amdhsa_private_segment_fixed_size 0
		.amdhsa_kernarg_size 16
		.amdhsa_user_sgpr_count 15
		.amdhsa_user_sgpr_dispatch_ptr 0
		.amdhsa_user_sgpr_queue_ptr 0
		.amdhsa_user_sgpr_kernarg_segment_ptr 1
		.amdhsa_user_sgpr_dispatch_id 0
		.amdhsa_user_sgpr_private_segment_size 0
		.amdhsa_wavefront_size32 1
		.amdhsa_uses_dynamic_stack 0
		.amdhsa_enable_private_segment 0
		.amdhsa_system_sgpr_workgroup_id_x 1
		.amdhsa_system_sgpr_workgroup_id_y 0
		.amdhsa_system_sgpr_workgroup_id_z 0
		.amdhsa_system_sgpr_workgroup_info 0
		.amdhsa_system_vgpr_workitem_id 0
		.amdhsa_next_free_vgpr 8
		.amdhsa_next_free_sgpr 16
		.amdhsa_reserve_vcc 1
		.amdhsa_float_round_mode_32 0
		.amdhsa_float_round_mode_16_64 0
		.amdhsa_float_denorm_mode_32 3
		.amdhsa_float_denorm_mode_16_64 3
		.amdhsa_dx10_clamp 1
		.amdhsa_ieee_mode 1
		.amdhsa_fp16_overflow 0
		.amdhsa_workgroup_processor_mode 1
		.amdhsa_memory_ordered 1
		.amdhsa_forward_progress 0
		.amdhsa_shared_vgpr_count 0
		.amdhsa_exception_fp_ieee_invalid_op 0
		.amdhsa_exception_fp_denorm_src 0
		.amdhsa_exception_fp_ieee_div_zero 0
		.amdhsa_exception_fp_ieee_overflow 0
		.amdhsa_exception_fp_ieee_underflow 0
		.amdhsa_exception_fp_ieee_inexact 0
		.amdhsa_exception_int_div_zero 0
	.end_amdhsa_kernel
	.section	.text._Z28inclusive_scan_reduce_kernelILj377ELN6hipcub18BlockScanAlgorithmE0EjEvPT1_S3_,"axG",@progbits,_Z28inclusive_scan_reduce_kernelILj377ELN6hipcub18BlockScanAlgorithmE0EjEvPT1_S3_,comdat
.Lfunc_end37:
	.size	_Z28inclusive_scan_reduce_kernelILj377ELN6hipcub18BlockScanAlgorithmE0EjEvPT1_S3_, .Lfunc_end37-_Z28inclusive_scan_reduce_kernelILj377ELN6hipcub18BlockScanAlgorithmE0EjEvPT1_S3_
                                        ; -- End function
	.section	.AMDGPU.csdata,"",@progbits
; Kernel info:
; codeLenInByte = 608
; NumSgprs: 18
; NumVgprs: 8
; ScratchSize: 0
; MemoryBound: 0
; FloatMode: 240
; IeeeMode: 1
; LDSByteSize: 48 bytes/workgroup (compile time only)
; SGPRBlocks: 2
; VGPRBlocks: 0
; NumSGPRsForWavesPerEU: 18
; NumVGPRsForWavesPerEU: 8
; Occupancy: 15
; WaveLimiterHint : 0
; COMPUTE_PGM_RSRC2:SCRATCH_EN: 0
; COMPUTE_PGM_RSRC2:USER_SGPR: 15
; COMPUTE_PGM_RSRC2:TRAP_HANDLER: 0
; COMPUTE_PGM_RSRC2:TGID_X_EN: 1
; COMPUTE_PGM_RSRC2:TGID_Y_EN: 0
; COMPUTE_PGM_RSRC2:TGID_Z_EN: 0
; COMPUTE_PGM_RSRC2:TIDIG_COMP_CNT: 0
	.section	.text._Z28inclusive_scan_reduce_kernelILj256ELN6hipcub18BlockScanAlgorithmE0EjEvPT1_S3_,"axG",@progbits,_Z28inclusive_scan_reduce_kernelILj256ELN6hipcub18BlockScanAlgorithmE0EjEvPT1_S3_,comdat
	.protected	_Z28inclusive_scan_reduce_kernelILj256ELN6hipcub18BlockScanAlgorithmE0EjEvPT1_S3_ ; -- Begin function _Z28inclusive_scan_reduce_kernelILj256ELN6hipcub18BlockScanAlgorithmE0EjEvPT1_S3_
	.globl	_Z28inclusive_scan_reduce_kernelILj256ELN6hipcub18BlockScanAlgorithmE0EjEvPT1_S3_
	.p2align	8
	.type	_Z28inclusive_scan_reduce_kernelILj256ELN6hipcub18BlockScanAlgorithmE0EjEvPT1_S3_,@function
_Z28inclusive_scan_reduce_kernelILj256ELN6hipcub18BlockScanAlgorithmE0EjEvPT1_S3_: ; @_Z28inclusive_scan_reduce_kernelILj256ELN6hipcub18BlockScanAlgorithmE0EjEvPT1_S3_
; %bb.0:
	s_load_b128 s[0:3], s[0:1], 0x0
	s_mov_b32 s4, s15
	v_mov_b32_e32 v2, 0
	v_lshl_or_b32 v1, s4, 8, v0
	v_mbcnt_lo_u32_b32 v5, -1, 0
	v_or_b32_e32 v7, 31, v0
	s_delay_alu instid0(VALU_DEP_3) | instskip(NEXT) | instid1(VALU_DEP_3)
	v_lshlrev_b64 v[1:2], 2, v[1:2]
	v_and_b32_e32 v4, 15, v5
	s_waitcnt lgkmcnt(0)
	s_delay_alu instid0(VALU_DEP_2) | instskip(NEXT) | instid1(VALU_DEP_3)
	v_add_co_u32 v1, vcc_lo, s0, v1
	v_add_co_ci_u32_e32 v2, vcc_lo, s1, v2, vcc_lo
	s_delay_alu instid0(VALU_DEP_3) | instskip(SKIP_4) | instid1(VALU_DEP_1)
	v_cmp_ne_u32_e32 vcc_lo, 0, v4
	s_mov_b32 s0, exec_lo
	global_load_b32 v3, v[1:2], off
	s_waitcnt vmcnt(0)
	v_mov_b32_dpp v6, v3 row_shr:1 row_mask:0xf bank_mask:0xf
	v_cndmask_b32_e32 v6, 0, v6, vcc_lo
	v_cmp_lt_u32_e32 vcc_lo, 1, v4
	s_delay_alu instid0(VALU_DEP_2) | instskip(NEXT) | instid1(VALU_DEP_1)
	v_add_nc_u32_e32 v3, v6, v3
	v_mov_b32_dpp v6, v3 row_shr:2 row_mask:0xf bank_mask:0xf
	s_delay_alu instid0(VALU_DEP_1) | instskip(SKIP_1) | instid1(VALU_DEP_2)
	v_cndmask_b32_e32 v6, 0, v6, vcc_lo
	v_cmp_lt_u32_e32 vcc_lo, 3, v4
	v_add_nc_u32_e32 v3, v3, v6
	s_delay_alu instid0(VALU_DEP_1) | instskip(NEXT) | instid1(VALU_DEP_1)
	v_mov_b32_dpp v6, v3 row_shr:4 row_mask:0xf bank_mask:0xf
	v_cndmask_b32_e32 v6, 0, v6, vcc_lo
	v_cmp_lt_u32_e32 vcc_lo, 7, v4
	s_delay_alu instid0(VALU_DEP_2) | instskip(NEXT) | instid1(VALU_DEP_1)
	v_add_nc_u32_e32 v3, v3, v6
	v_mov_b32_dpp v6, v3 row_shr:8 row_mask:0xf bank_mask:0xf
	s_delay_alu instid0(VALU_DEP_1) | instskip(SKIP_1) | instid1(VALU_DEP_2)
	v_cndmask_b32_e32 v4, 0, v6, vcc_lo
	v_bfe_i32 v6, v5, 4, 1
	v_add_nc_u32_e32 v3, v3, v4
	ds_swizzle_b32 v4, v3 offset:swizzle(BROADCAST,32,15)
	s_waitcnt lgkmcnt(0)
	v_and_b32_e32 v6, v6, v4
	v_lshrrev_b32_e32 v4, 5, v0
	s_delay_alu instid0(VALU_DEP_2)
	v_add_nc_u32_e32 v3, v3, v6
	v_cmpx_eq_u32_e64 v7, v0
	s_cbranch_execz .LBB38_2
; %bb.1:
	s_delay_alu instid0(VALU_DEP_3)
	v_lshlrev_b32_e32 v6, 2, v4
	ds_store_b32 v6, v3
.LBB38_2:
	s_or_b32 exec_lo, exec_lo, s0
	s_delay_alu instid0(SALU_CYCLE_1)
	s_mov_b32 s0, exec_lo
	s_waitcnt lgkmcnt(0)
	s_barrier
	buffer_gl0_inv
	v_cmpx_gt_u32_e32 8, v0
	s_cbranch_execz .LBB38_4
; %bb.3:
	v_lshlrev_b32_e32 v6, 2, v0
	ds_load_b32 v7, v6
	s_waitcnt lgkmcnt(0)
	v_mov_b32_dpp v8, v7 row_shr:1 row_mask:0xf bank_mask:0xf
	v_and_b32_e32 v5, 7, v5
	s_delay_alu instid0(VALU_DEP_1) | instskip(NEXT) | instid1(VALU_DEP_3)
	v_cmp_ne_u32_e32 vcc_lo, 0, v5
	v_cndmask_b32_e32 v8, 0, v8, vcc_lo
	v_cmp_lt_u32_e32 vcc_lo, 1, v5
	s_delay_alu instid0(VALU_DEP_2) | instskip(NEXT) | instid1(VALU_DEP_1)
	v_add_nc_u32_e32 v7, v8, v7
	v_mov_b32_dpp v8, v7 row_shr:2 row_mask:0xf bank_mask:0xf
	s_delay_alu instid0(VALU_DEP_1) | instskip(SKIP_1) | instid1(VALU_DEP_2)
	v_cndmask_b32_e32 v8, 0, v8, vcc_lo
	v_cmp_lt_u32_e32 vcc_lo, 3, v5
	v_add_nc_u32_e32 v7, v7, v8
	s_delay_alu instid0(VALU_DEP_1) | instskip(NEXT) | instid1(VALU_DEP_1)
	v_mov_b32_dpp v8, v7 row_shr:4 row_mask:0xf bank_mask:0xf
	v_cndmask_b32_e32 v5, 0, v8, vcc_lo
	s_delay_alu instid0(VALU_DEP_1)
	v_add_nc_u32_e32 v5, v7, v5
	ds_store_b32 v6, v5
.LBB38_4:
	s_or_b32 exec_lo, exec_lo, s0
	s_delay_alu instid0(SALU_CYCLE_1)
	s_mov_b32 s0, exec_lo
	s_waitcnt lgkmcnt(0)
	s_barrier
	buffer_gl0_inv
	v_cmpx_lt_u32_e32 31, v0
	s_cbranch_execz .LBB38_6
; %bb.5:
	v_lshl_add_u32 v4, v4, 2, -4
	ds_load_b32 v4, v4
	s_waitcnt lgkmcnt(0)
	v_add_nc_u32_e32 v3, v4, v3
.LBB38_6:
	s_or_b32 exec_lo, exec_lo, s0
	s_mov_b32 s5, 0
	global_store_b32 v[1:2], v3, off
	s_mov_b32 s0, exec_lo
	v_cmpx_eq_u32_e32 0, v0
	s_cbranch_execz .LBB38_8
; %bb.7:
	v_mov_b32_e32 v0, 0
	s_lshl_b64 s[0:1], s[4:5], 2
	s_delay_alu instid0(SALU_CYCLE_1)
	s_add_u32 s0, s2, s0
	s_addc_u32 s1, s3, s1
	ds_load_b32 v1, v0 offset:28
	s_waitcnt lgkmcnt(0)
	global_store_b32 v0, v1, s[0:1]
.LBB38_8:
	s_nop 0
	s_sendmsg sendmsg(MSG_DEALLOC_VGPRS)
	s_endpgm
	.section	.rodata,"a",@progbits
	.p2align	6, 0x0
	.amdhsa_kernel _Z28inclusive_scan_reduce_kernelILj256ELN6hipcub18BlockScanAlgorithmE0EjEvPT1_S3_
		.amdhsa_group_segment_fixed_size 32
		.amdhsa_private_segment_fixed_size 0
		.amdhsa_kernarg_size 16
		.amdhsa_user_sgpr_count 15
		.amdhsa_user_sgpr_dispatch_ptr 0
		.amdhsa_user_sgpr_queue_ptr 0
		.amdhsa_user_sgpr_kernarg_segment_ptr 1
		.amdhsa_user_sgpr_dispatch_id 0
		.amdhsa_user_sgpr_private_segment_size 0
		.amdhsa_wavefront_size32 1
		.amdhsa_uses_dynamic_stack 0
		.amdhsa_enable_private_segment 0
		.amdhsa_system_sgpr_workgroup_id_x 1
		.amdhsa_system_sgpr_workgroup_id_y 0
		.amdhsa_system_sgpr_workgroup_id_z 0
		.amdhsa_system_sgpr_workgroup_info 0
		.amdhsa_system_vgpr_workitem_id 0
		.amdhsa_next_free_vgpr 9
		.amdhsa_next_free_sgpr 16
		.amdhsa_reserve_vcc 1
		.amdhsa_float_round_mode_32 0
		.amdhsa_float_round_mode_16_64 0
		.amdhsa_float_denorm_mode_32 3
		.amdhsa_float_denorm_mode_16_64 3
		.amdhsa_dx10_clamp 1
		.amdhsa_ieee_mode 1
		.amdhsa_fp16_overflow 0
		.amdhsa_workgroup_processor_mode 1
		.amdhsa_memory_ordered 1
		.amdhsa_forward_progress 0
		.amdhsa_shared_vgpr_count 0
		.amdhsa_exception_fp_ieee_invalid_op 0
		.amdhsa_exception_fp_denorm_src 0
		.amdhsa_exception_fp_ieee_div_zero 0
		.amdhsa_exception_fp_ieee_overflow 0
		.amdhsa_exception_fp_ieee_underflow 0
		.amdhsa_exception_fp_ieee_inexact 0
		.amdhsa_exception_int_div_zero 0
	.end_amdhsa_kernel
	.section	.text._Z28inclusive_scan_reduce_kernelILj256ELN6hipcub18BlockScanAlgorithmE0EjEvPT1_S3_,"axG",@progbits,_Z28inclusive_scan_reduce_kernelILj256ELN6hipcub18BlockScanAlgorithmE0EjEvPT1_S3_,comdat
.Lfunc_end38:
	.size	_Z28inclusive_scan_reduce_kernelILj256ELN6hipcub18BlockScanAlgorithmE0EjEvPT1_S3_, .Lfunc_end38-_Z28inclusive_scan_reduce_kernelILj256ELN6hipcub18BlockScanAlgorithmE0EjEvPT1_S3_
                                        ; -- End function
	.section	.AMDGPU.csdata,"",@progbits
; Kernel info:
; codeLenInByte = 540
; NumSgprs: 18
; NumVgprs: 9
; ScratchSize: 0
; MemoryBound: 0
; FloatMode: 240
; IeeeMode: 1
; LDSByteSize: 32 bytes/workgroup (compile time only)
; SGPRBlocks: 2
; VGPRBlocks: 1
; NumSGPRsForWavesPerEU: 18
; NumVGPRsForWavesPerEU: 9
; Occupancy: 16
; WaveLimiterHint : 0
; COMPUTE_PGM_RSRC2:SCRATCH_EN: 0
; COMPUTE_PGM_RSRC2:USER_SGPR: 15
; COMPUTE_PGM_RSRC2:TRAP_HANDLER: 0
; COMPUTE_PGM_RSRC2:TGID_X_EN: 1
; COMPUTE_PGM_RSRC2:TGID_Y_EN: 0
; COMPUTE_PGM_RSRC2:TGID_Z_EN: 0
; COMPUTE_PGM_RSRC2:TIDIG_COMP_CNT: 0
	.section	.text._Z28inclusive_scan_reduce_kernelILj64ELN6hipcub18BlockScanAlgorithmE0EjEvPT1_S3_,"axG",@progbits,_Z28inclusive_scan_reduce_kernelILj64ELN6hipcub18BlockScanAlgorithmE0EjEvPT1_S3_,comdat
	.protected	_Z28inclusive_scan_reduce_kernelILj64ELN6hipcub18BlockScanAlgorithmE0EjEvPT1_S3_ ; -- Begin function _Z28inclusive_scan_reduce_kernelILj64ELN6hipcub18BlockScanAlgorithmE0EjEvPT1_S3_
	.globl	_Z28inclusive_scan_reduce_kernelILj64ELN6hipcub18BlockScanAlgorithmE0EjEvPT1_S3_
	.p2align	8
	.type	_Z28inclusive_scan_reduce_kernelILj64ELN6hipcub18BlockScanAlgorithmE0EjEvPT1_S3_,@function
_Z28inclusive_scan_reduce_kernelILj64ELN6hipcub18BlockScanAlgorithmE0EjEvPT1_S3_: ; @_Z28inclusive_scan_reduce_kernelILj64ELN6hipcub18BlockScanAlgorithmE0EjEvPT1_S3_
; %bb.0:
	s_load_b128 s[0:3], s[0:1], 0x0
	s_mov_b32 s4, s15
	v_mbcnt_lo_u32_b32 v4, -1, 0
	v_mov_b32_e32 v2, 0
	v_lshl_or_b32 v1, s4, 6, v0
	v_or_b32_e32 v7, 31, v0
	s_delay_alu instid0(VALU_DEP_4) | instskip(NEXT) | instid1(VALU_DEP_3)
	v_and_b32_e32 v5, 15, v4
	v_lshlrev_b64 v[1:2], 2, v[1:2]
	s_waitcnt lgkmcnt(0)
	s_delay_alu instid0(VALU_DEP_1) | instskip(NEXT) | instid1(VALU_DEP_2)
	v_add_co_u32 v1, vcc_lo, s0, v1
	v_add_co_ci_u32_e32 v2, vcc_lo, s1, v2, vcc_lo
	v_cmp_ne_u32_e32 vcc_lo, 0, v5
	s_mov_b32 s0, exec_lo
	global_load_b32 v3, v[1:2], off
	s_waitcnt vmcnt(0)
	v_mov_b32_dpp v6, v3 row_shr:1 row_mask:0xf bank_mask:0xf
	s_delay_alu instid0(VALU_DEP_1) | instskip(SKIP_1) | instid1(VALU_DEP_2)
	v_cndmask_b32_e32 v6, 0, v6, vcc_lo
	v_cmp_lt_u32_e32 vcc_lo, 1, v5
	v_add_nc_u32_e32 v3, v6, v3
	s_delay_alu instid0(VALU_DEP_1) | instskip(NEXT) | instid1(VALU_DEP_1)
	v_mov_b32_dpp v6, v3 row_shr:2 row_mask:0xf bank_mask:0xf
	v_cndmask_b32_e32 v6, 0, v6, vcc_lo
	v_cmp_lt_u32_e32 vcc_lo, 3, v5
	s_delay_alu instid0(VALU_DEP_2) | instskip(NEXT) | instid1(VALU_DEP_1)
	v_add_nc_u32_e32 v3, v3, v6
	v_mov_b32_dpp v6, v3 row_shr:4 row_mask:0xf bank_mask:0xf
	s_delay_alu instid0(VALU_DEP_1) | instskip(SKIP_1) | instid1(VALU_DEP_2)
	v_cndmask_b32_e32 v6, 0, v6, vcc_lo
	v_cmp_lt_u32_e32 vcc_lo, 7, v5
	v_add_nc_u32_e32 v3, v3, v6
	s_delay_alu instid0(VALU_DEP_1) | instskip(NEXT) | instid1(VALU_DEP_1)
	v_mov_b32_dpp v6, v3 row_shr:8 row_mask:0xf bank_mask:0xf
	v_cndmask_b32_e32 v5, 0, v6, vcc_lo
	v_bfe_i32 v6, v4, 4, 1
	s_delay_alu instid0(VALU_DEP_2) | instskip(SKIP_4) | instid1(VALU_DEP_2)
	v_add_nc_u32_e32 v3, v3, v5
	ds_swizzle_b32 v5, v3 offset:swizzle(BROADCAST,32,15)
	s_waitcnt lgkmcnt(0)
	v_and_b32_e32 v6, v6, v5
	v_lshrrev_b32_e32 v5, 5, v0
	v_add_nc_u32_e32 v3, v3, v6
	v_cmpx_eq_u32_e64 v7, v0
	s_cbranch_execz .LBB39_2
; %bb.1:
	s_delay_alu instid0(VALU_DEP_3)
	v_lshlrev_b32_e32 v6, 2, v5
	ds_store_b32 v6, v3
.LBB39_2:
	s_or_b32 exec_lo, exec_lo, s0
	s_delay_alu instid0(SALU_CYCLE_1)
	s_mov_b32 s0, exec_lo
	s_waitcnt lgkmcnt(0)
	s_barrier
	buffer_gl0_inv
	v_cmpx_gt_u32_e32 2, v0
	s_cbranch_execz .LBB39_4
; %bb.3:
	v_lshlrev_b32_e32 v6, 2, v0
	v_bfe_i32 v4, v4, 0, 1
	ds_load_b32 v7, v6
	s_waitcnt lgkmcnt(0)
	v_mov_b32_dpp v8, v7 row_shr:1 row_mask:0xf bank_mask:0xf
	s_delay_alu instid0(VALU_DEP_1) | instskip(NEXT) | instid1(VALU_DEP_1)
	v_and_b32_e32 v4, v4, v8
	v_add_nc_u32_e32 v4, v4, v7
	ds_store_b32 v6, v4
.LBB39_4:
	s_or_b32 exec_lo, exec_lo, s0
	s_delay_alu instid0(SALU_CYCLE_1)
	s_mov_b32 s0, exec_lo
	s_waitcnt lgkmcnt(0)
	s_barrier
	buffer_gl0_inv
	v_cmpx_lt_u32_e32 31, v0
	s_cbranch_execz .LBB39_6
; %bb.5:
	v_lshl_add_u32 v4, v5, 2, -4
	ds_load_b32 v4, v4
	s_waitcnt lgkmcnt(0)
	v_add_nc_u32_e32 v3, v4, v3
.LBB39_6:
	s_or_b32 exec_lo, exec_lo, s0
	s_mov_b32 s5, 0
	global_store_b32 v[1:2], v3, off
	s_mov_b32 s0, exec_lo
	v_cmpx_eq_u32_e32 0, v0
	s_cbranch_execz .LBB39_8
; %bb.7:
	v_mov_b32_e32 v0, 0
	s_lshl_b64 s[0:1], s[4:5], 2
	s_delay_alu instid0(SALU_CYCLE_1)
	s_add_u32 s0, s2, s0
	s_addc_u32 s1, s3, s1
	ds_load_b32 v1, v0 offset:4
	s_waitcnt lgkmcnt(0)
	global_store_b32 v0, v1, s[0:1]
.LBB39_8:
	s_nop 0
	s_sendmsg sendmsg(MSG_DEALLOC_VGPRS)
	s_endpgm
	.section	.rodata,"a",@progbits
	.p2align	6, 0x0
	.amdhsa_kernel _Z28inclusive_scan_reduce_kernelILj64ELN6hipcub18BlockScanAlgorithmE0EjEvPT1_S3_
		.amdhsa_group_segment_fixed_size 8
		.amdhsa_private_segment_fixed_size 0
		.amdhsa_kernarg_size 16
		.amdhsa_user_sgpr_count 15
		.amdhsa_user_sgpr_dispatch_ptr 0
		.amdhsa_user_sgpr_queue_ptr 0
		.amdhsa_user_sgpr_kernarg_segment_ptr 1
		.amdhsa_user_sgpr_dispatch_id 0
		.amdhsa_user_sgpr_private_segment_size 0
		.amdhsa_wavefront_size32 1
		.amdhsa_uses_dynamic_stack 0
		.amdhsa_enable_private_segment 0
		.amdhsa_system_sgpr_workgroup_id_x 1
		.amdhsa_system_sgpr_workgroup_id_y 0
		.amdhsa_system_sgpr_workgroup_id_z 0
		.amdhsa_system_sgpr_workgroup_info 0
		.amdhsa_system_vgpr_workitem_id 0
		.amdhsa_next_free_vgpr 9
		.amdhsa_next_free_sgpr 16
		.amdhsa_reserve_vcc 1
		.amdhsa_float_round_mode_32 0
		.amdhsa_float_round_mode_16_64 0
		.amdhsa_float_denorm_mode_32 3
		.amdhsa_float_denorm_mode_16_64 3
		.amdhsa_dx10_clamp 1
		.amdhsa_ieee_mode 1
		.amdhsa_fp16_overflow 0
		.amdhsa_workgroup_processor_mode 1
		.amdhsa_memory_ordered 1
		.amdhsa_forward_progress 0
		.amdhsa_shared_vgpr_count 0
		.amdhsa_exception_fp_ieee_invalid_op 0
		.amdhsa_exception_fp_denorm_src 0
		.amdhsa_exception_fp_ieee_div_zero 0
		.amdhsa_exception_fp_ieee_overflow 0
		.amdhsa_exception_fp_ieee_underflow 0
		.amdhsa_exception_fp_ieee_inexact 0
		.amdhsa_exception_int_div_zero 0
	.end_amdhsa_kernel
	.section	.text._Z28inclusive_scan_reduce_kernelILj64ELN6hipcub18BlockScanAlgorithmE0EjEvPT1_S3_,"axG",@progbits,_Z28inclusive_scan_reduce_kernelILj64ELN6hipcub18BlockScanAlgorithmE0EjEvPT1_S3_,comdat
.Lfunc_end39:
	.size	_Z28inclusive_scan_reduce_kernelILj64ELN6hipcub18BlockScanAlgorithmE0EjEvPT1_S3_, .Lfunc_end39-_Z28inclusive_scan_reduce_kernelILj64ELN6hipcub18BlockScanAlgorithmE0EjEvPT1_S3_
                                        ; -- End function
	.section	.AMDGPU.csdata,"",@progbits
; Kernel info:
; codeLenInByte = 480
; NumSgprs: 18
; NumVgprs: 9
; ScratchSize: 0
; MemoryBound: 0
; FloatMode: 240
; IeeeMode: 1
; LDSByteSize: 8 bytes/workgroup (compile time only)
; SGPRBlocks: 2
; VGPRBlocks: 1
; NumSGPRsForWavesPerEU: 18
; NumVGPRsForWavesPerEU: 9
; Occupancy: 16
; WaveLimiterHint : 0
; COMPUTE_PGM_RSRC2:SCRATCH_EN: 0
; COMPUTE_PGM_RSRC2:USER_SGPR: 15
; COMPUTE_PGM_RSRC2:TRAP_HANDLER: 0
; COMPUTE_PGM_RSRC2:TGID_X_EN: 1
; COMPUTE_PGM_RSRC2:TGID_Y_EN: 0
; COMPUTE_PGM_RSRC2:TGID_Z_EN: 0
; COMPUTE_PGM_RSRC2:TIDIG_COMP_CNT: 0
	.section	.text._Z28inclusive_scan_reduce_kernelILj255ELN6hipcub18BlockScanAlgorithmE0EiEvPT1_S3_,"axG",@progbits,_Z28inclusive_scan_reduce_kernelILj255ELN6hipcub18BlockScanAlgorithmE0EiEvPT1_S3_,comdat
	.protected	_Z28inclusive_scan_reduce_kernelILj255ELN6hipcub18BlockScanAlgorithmE0EiEvPT1_S3_ ; -- Begin function _Z28inclusive_scan_reduce_kernelILj255ELN6hipcub18BlockScanAlgorithmE0EiEvPT1_S3_
	.globl	_Z28inclusive_scan_reduce_kernelILj255ELN6hipcub18BlockScanAlgorithmE0EiEvPT1_S3_
	.p2align	8
	.type	_Z28inclusive_scan_reduce_kernelILj255ELN6hipcub18BlockScanAlgorithmE0EiEvPT1_S3_,@function
_Z28inclusive_scan_reduce_kernelILj255ELN6hipcub18BlockScanAlgorithmE0EiEvPT1_S3_: ; @_Z28inclusive_scan_reduce_kernelILj255ELN6hipcub18BlockScanAlgorithmE0EiEvPT1_S3_
; %bb.0:
	s_load_b128 s[0:3], s[0:1], 0x0
	s_mov_b32 s4, s15
	v_mbcnt_lo_u32_b32 v5, -1, 0
	v_mad_u64_u32 v[1:2], null, 0xff, s4, v[0:1]
	v_mov_b32_e32 v2, 0
	s_delay_alu instid0(VALU_DEP_3) | instskip(SKIP_1) | instid1(VALU_DEP_3)
	v_and_b32_e32 v4, 15, v5
	v_bfe_i32 v7, v5, 4, 1
	v_lshlrev_b64 v[1:2], 2, v[1:2]
	s_waitcnt lgkmcnt(0)
	s_delay_alu instid0(VALU_DEP_1) | instskip(NEXT) | instid1(VALU_DEP_2)
	v_add_co_u32 v1, vcc_lo, s0, v1
	v_add_co_ci_u32_e32 v2, vcc_lo, s1, v2, vcc_lo
	v_cmp_ne_u32_e32 vcc_lo, 0, v4
	s_mov_b32 s0, exec_lo
	global_load_b32 v3, v[1:2], off
	s_waitcnt vmcnt(0)
	v_mov_b32_dpp v6, v3 row_shr:1 row_mask:0xf bank_mask:0xf
	s_delay_alu instid0(VALU_DEP_1) | instskip(SKIP_1) | instid1(VALU_DEP_2)
	v_cndmask_b32_e32 v6, 0, v6, vcc_lo
	v_cmp_lt_u32_e32 vcc_lo, 1, v4
	v_add_nc_u32_e32 v3, v6, v3
	s_delay_alu instid0(VALU_DEP_1) | instskip(NEXT) | instid1(VALU_DEP_1)
	v_mov_b32_dpp v6, v3 row_shr:2 row_mask:0xf bank_mask:0xf
	v_cndmask_b32_e32 v6, 0, v6, vcc_lo
	v_cmp_lt_u32_e32 vcc_lo, 3, v4
	s_delay_alu instid0(VALU_DEP_2) | instskip(NEXT) | instid1(VALU_DEP_1)
	v_add_nc_u32_e32 v3, v3, v6
	v_mov_b32_dpp v6, v3 row_shr:4 row_mask:0xf bank_mask:0xf
	s_delay_alu instid0(VALU_DEP_1) | instskip(SKIP_1) | instid1(VALU_DEP_2)
	v_cndmask_b32_e32 v6, 0, v6, vcc_lo
	v_cmp_lt_u32_e32 vcc_lo, 7, v4
	v_add_nc_u32_e32 v3, v3, v6
	s_delay_alu instid0(VALU_DEP_1) | instskip(NEXT) | instid1(VALU_DEP_1)
	v_mov_b32_dpp v6, v3 row_shr:8 row_mask:0xf bank_mask:0xf
	v_cndmask_b32_e32 v4, 0, v6, vcc_lo
	v_and_b32_e32 v6, 0xe0, v0
	s_delay_alu instid0(VALU_DEP_2) | instskip(NEXT) | instid1(VALU_DEP_2)
	v_add_nc_u32_e32 v3, v3, v4
	v_min_u32_e32 v6, 0xdf, v6
	ds_swizzle_b32 v4, v3 offset:swizzle(BROADCAST,32,15)
	v_add_nc_u32_e32 v6, 31, v6
	s_waitcnt lgkmcnt(0)
	v_and_b32_e32 v7, v7, v4
	v_lshrrev_b32_e32 v4, 5, v0
	s_delay_alu instid0(VALU_DEP_2)
	v_add_nc_u32_e32 v3, v3, v7
	v_cmpx_eq_u32_e64 v6, v0
	s_cbranch_execz .LBB40_2
; %bb.1:
	s_delay_alu instid0(VALU_DEP_3)
	v_lshlrev_b32_e32 v6, 2, v4
	ds_store_b32 v6, v3
.LBB40_2:
	s_or_b32 exec_lo, exec_lo, s0
	s_delay_alu instid0(SALU_CYCLE_1)
	s_mov_b32 s0, exec_lo
	s_waitcnt lgkmcnt(0)
	s_barrier
	buffer_gl0_inv
	v_cmpx_gt_u32_e32 8, v0
	s_cbranch_execz .LBB40_4
; %bb.3:
	v_lshlrev_b32_e32 v6, 2, v0
	ds_load_b32 v7, v6
	s_waitcnt lgkmcnt(0)
	v_mov_b32_dpp v8, v7 row_shr:1 row_mask:0xf bank_mask:0xf
	v_and_b32_e32 v5, 7, v5
	s_delay_alu instid0(VALU_DEP_1) | instskip(NEXT) | instid1(VALU_DEP_3)
	v_cmp_ne_u32_e32 vcc_lo, 0, v5
	v_cndmask_b32_e32 v8, 0, v8, vcc_lo
	v_cmp_lt_u32_e32 vcc_lo, 1, v5
	s_delay_alu instid0(VALU_DEP_2) | instskip(NEXT) | instid1(VALU_DEP_1)
	v_add_nc_u32_e32 v7, v8, v7
	v_mov_b32_dpp v8, v7 row_shr:2 row_mask:0xf bank_mask:0xf
	s_delay_alu instid0(VALU_DEP_1) | instskip(SKIP_1) | instid1(VALU_DEP_2)
	v_cndmask_b32_e32 v8, 0, v8, vcc_lo
	v_cmp_lt_u32_e32 vcc_lo, 3, v5
	v_add_nc_u32_e32 v7, v7, v8
	s_delay_alu instid0(VALU_DEP_1) | instskip(NEXT) | instid1(VALU_DEP_1)
	v_mov_b32_dpp v8, v7 row_shr:4 row_mask:0xf bank_mask:0xf
	v_cndmask_b32_e32 v5, 0, v8, vcc_lo
	s_delay_alu instid0(VALU_DEP_1)
	v_add_nc_u32_e32 v5, v7, v5
	ds_store_b32 v6, v5
.LBB40_4:
	s_or_b32 exec_lo, exec_lo, s0
	s_delay_alu instid0(SALU_CYCLE_1)
	s_mov_b32 s0, exec_lo
	s_waitcnt lgkmcnt(0)
	s_barrier
	buffer_gl0_inv
	v_cmpx_lt_u32_e32 31, v0
	s_cbranch_execz .LBB40_6
; %bb.5:
	v_lshl_add_u32 v4, v4, 2, -4
	ds_load_b32 v4, v4
	s_waitcnt lgkmcnt(0)
	v_add_nc_u32_e32 v3, v4, v3
.LBB40_6:
	s_or_b32 exec_lo, exec_lo, s0
	s_mov_b32 s5, 0
	global_store_b32 v[1:2], v3, off
	s_mov_b32 s0, exec_lo
	v_cmpx_eq_u32_e32 0, v0
	s_cbranch_execz .LBB40_8
; %bb.7:
	v_mov_b32_e32 v0, 0
	s_lshl_b64 s[0:1], s[4:5], 2
	s_delay_alu instid0(SALU_CYCLE_1)
	s_add_u32 s0, s2, s0
	s_addc_u32 s1, s3, s1
	ds_load_b32 v1, v0 offset:28
	s_waitcnt lgkmcnt(0)
	global_store_b32 v0, v1, s[0:1]
.LBB40_8:
	s_nop 0
	s_sendmsg sendmsg(MSG_DEALLOC_VGPRS)
	s_endpgm
	.section	.rodata,"a",@progbits
	.p2align	6, 0x0
	.amdhsa_kernel _Z28inclusive_scan_reduce_kernelILj255ELN6hipcub18BlockScanAlgorithmE0EiEvPT1_S3_
		.amdhsa_group_segment_fixed_size 32
		.amdhsa_private_segment_fixed_size 0
		.amdhsa_kernarg_size 16
		.amdhsa_user_sgpr_count 15
		.amdhsa_user_sgpr_dispatch_ptr 0
		.amdhsa_user_sgpr_queue_ptr 0
		.amdhsa_user_sgpr_kernarg_segment_ptr 1
		.amdhsa_user_sgpr_dispatch_id 0
		.amdhsa_user_sgpr_private_segment_size 0
		.amdhsa_wavefront_size32 1
		.amdhsa_uses_dynamic_stack 0
		.amdhsa_enable_private_segment 0
		.amdhsa_system_sgpr_workgroup_id_x 1
		.amdhsa_system_sgpr_workgroup_id_y 0
		.amdhsa_system_sgpr_workgroup_id_z 0
		.amdhsa_system_sgpr_workgroup_info 0
		.amdhsa_system_vgpr_workitem_id 0
		.amdhsa_next_free_vgpr 9
		.amdhsa_next_free_sgpr 16
		.amdhsa_reserve_vcc 1
		.amdhsa_float_round_mode_32 0
		.amdhsa_float_round_mode_16_64 0
		.amdhsa_float_denorm_mode_32 3
		.amdhsa_float_denorm_mode_16_64 3
		.amdhsa_dx10_clamp 1
		.amdhsa_ieee_mode 1
		.amdhsa_fp16_overflow 0
		.amdhsa_workgroup_processor_mode 1
		.amdhsa_memory_ordered 1
		.amdhsa_forward_progress 0
		.amdhsa_shared_vgpr_count 0
		.amdhsa_exception_fp_ieee_invalid_op 0
		.amdhsa_exception_fp_denorm_src 0
		.amdhsa_exception_fp_ieee_div_zero 0
		.amdhsa_exception_fp_ieee_overflow 0
		.amdhsa_exception_fp_ieee_underflow 0
		.amdhsa_exception_fp_ieee_inexact 0
		.amdhsa_exception_int_div_zero 0
	.end_amdhsa_kernel
	.section	.text._Z28inclusive_scan_reduce_kernelILj255ELN6hipcub18BlockScanAlgorithmE0EiEvPT1_S3_,"axG",@progbits,_Z28inclusive_scan_reduce_kernelILj255ELN6hipcub18BlockScanAlgorithmE0EiEvPT1_S3_,comdat
.Lfunc_end40:
	.size	_Z28inclusive_scan_reduce_kernelILj255ELN6hipcub18BlockScanAlgorithmE0EiEvPT1_S3_, .Lfunc_end40-_Z28inclusive_scan_reduce_kernelILj255ELN6hipcub18BlockScanAlgorithmE0EiEvPT1_S3_
                                        ; -- End function
	.section	.AMDGPU.csdata,"",@progbits
; Kernel info:
; codeLenInByte = 560
; NumSgprs: 18
; NumVgprs: 9
; ScratchSize: 0
; MemoryBound: 0
; FloatMode: 240
; IeeeMode: 1
; LDSByteSize: 32 bytes/workgroup (compile time only)
; SGPRBlocks: 2
; VGPRBlocks: 1
; NumSGPRsForWavesPerEU: 18
; NumVGPRsForWavesPerEU: 9
; Occupancy: 16
; WaveLimiterHint : 0
; COMPUTE_PGM_RSRC2:SCRATCH_EN: 0
; COMPUTE_PGM_RSRC2:USER_SGPR: 15
; COMPUTE_PGM_RSRC2:TRAP_HANDLER: 0
; COMPUTE_PGM_RSRC2:TGID_X_EN: 1
; COMPUTE_PGM_RSRC2:TGID_Y_EN: 0
; COMPUTE_PGM_RSRC2:TGID_Z_EN: 0
; COMPUTE_PGM_RSRC2:TIDIG_COMP_CNT: 0
	.section	.text._Z28inclusive_scan_reduce_kernelILj162ELN6hipcub18BlockScanAlgorithmE0EiEvPT1_S3_,"axG",@progbits,_Z28inclusive_scan_reduce_kernelILj162ELN6hipcub18BlockScanAlgorithmE0EiEvPT1_S3_,comdat
	.protected	_Z28inclusive_scan_reduce_kernelILj162ELN6hipcub18BlockScanAlgorithmE0EiEvPT1_S3_ ; -- Begin function _Z28inclusive_scan_reduce_kernelILj162ELN6hipcub18BlockScanAlgorithmE0EiEvPT1_S3_
	.globl	_Z28inclusive_scan_reduce_kernelILj162ELN6hipcub18BlockScanAlgorithmE0EiEvPT1_S3_
	.p2align	8
	.type	_Z28inclusive_scan_reduce_kernelILj162ELN6hipcub18BlockScanAlgorithmE0EiEvPT1_S3_,@function
_Z28inclusive_scan_reduce_kernelILj162ELN6hipcub18BlockScanAlgorithmE0EiEvPT1_S3_: ; @_Z28inclusive_scan_reduce_kernelILj162ELN6hipcub18BlockScanAlgorithmE0EiEvPT1_S3_
; %bb.0:
	s_load_b128 s[0:3], s[0:1], 0x0
	s_mov_b32 s4, s15
	v_mbcnt_lo_u32_b32 v5, -1, 0
	v_mad_u64_u32 v[1:2], null, 0xa2, s4, v[0:1]
	v_mov_b32_e32 v2, 0
	s_delay_alu instid0(VALU_DEP_3) | instskip(SKIP_1) | instid1(VALU_DEP_3)
	v_and_b32_e32 v4, 15, v5
	v_bfe_i32 v7, v5, 4, 1
	v_lshlrev_b64 v[1:2], 2, v[1:2]
	s_waitcnt lgkmcnt(0)
	s_delay_alu instid0(VALU_DEP_1) | instskip(NEXT) | instid1(VALU_DEP_2)
	v_add_co_u32 v1, vcc_lo, s0, v1
	v_add_co_ci_u32_e32 v2, vcc_lo, s1, v2, vcc_lo
	v_cmp_ne_u32_e32 vcc_lo, 0, v4
	s_mov_b32 s0, exec_lo
	global_load_b32 v3, v[1:2], off
	s_waitcnt vmcnt(0)
	v_mov_b32_dpp v6, v3 row_shr:1 row_mask:0xf bank_mask:0xf
	s_delay_alu instid0(VALU_DEP_1) | instskip(SKIP_1) | instid1(VALU_DEP_2)
	v_cndmask_b32_e32 v6, 0, v6, vcc_lo
	v_cmp_lt_u32_e32 vcc_lo, 1, v4
	v_add_nc_u32_e32 v3, v6, v3
	s_delay_alu instid0(VALU_DEP_1) | instskip(NEXT) | instid1(VALU_DEP_1)
	v_mov_b32_dpp v6, v3 row_shr:2 row_mask:0xf bank_mask:0xf
	v_cndmask_b32_e32 v6, 0, v6, vcc_lo
	v_cmp_lt_u32_e32 vcc_lo, 3, v4
	s_delay_alu instid0(VALU_DEP_2) | instskip(NEXT) | instid1(VALU_DEP_1)
	v_add_nc_u32_e32 v3, v3, v6
	v_mov_b32_dpp v6, v3 row_shr:4 row_mask:0xf bank_mask:0xf
	s_delay_alu instid0(VALU_DEP_1) | instskip(SKIP_1) | instid1(VALU_DEP_2)
	v_cndmask_b32_e32 v6, 0, v6, vcc_lo
	v_cmp_lt_u32_e32 vcc_lo, 7, v4
	v_add_nc_u32_e32 v3, v3, v6
	s_delay_alu instid0(VALU_DEP_1) | instskip(NEXT) | instid1(VALU_DEP_1)
	v_mov_b32_dpp v6, v3 row_shr:8 row_mask:0xf bank_mask:0xf
	v_cndmask_b32_e32 v4, 0, v6, vcc_lo
	v_and_b32_e32 v6, 0xe0, v0
	s_delay_alu instid0(VALU_DEP_2) | instskip(NEXT) | instid1(VALU_DEP_2)
	v_add_nc_u32_e32 v3, v3, v4
	v_min_u32_e32 v6, 0x82, v6
	ds_swizzle_b32 v4, v3 offset:swizzle(BROADCAST,32,15)
	v_add_nc_u32_e32 v6, 31, v6
	s_waitcnt lgkmcnt(0)
	v_and_b32_e32 v7, v7, v4
	v_lshrrev_b32_e32 v4, 5, v0
	s_delay_alu instid0(VALU_DEP_2)
	v_add_nc_u32_e32 v3, v3, v7
	v_cmpx_eq_u32_e64 v6, v0
	s_cbranch_execz .LBB41_2
; %bb.1:
	s_delay_alu instid0(VALU_DEP_3)
	v_lshlrev_b32_e32 v6, 2, v4
	ds_store_b32 v6, v3
.LBB41_2:
	s_or_b32 exec_lo, exec_lo, s0
	s_delay_alu instid0(SALU_CYCLE_1)
	s_mov_b32 s0, exec_lo
	s_waitcnt lgkmcnt(0)
	s_barrier
	buffer_gl0_inv
	v_cmpx_gt_u32_e32 6, v0
	s_cbranch_execz .LBB41_4
; %bb.3:
	v_lshlrev_b32_e32 v6, 2, v0
	ds_load_b32 v7, v6
	s_waitcnt lgkmcnt(0)
	v_mov_b32_dpp v8, v7 row_shr:1 row_mask:0xf bank_mask:0xf
	v_and_b32_e32 v5, 7, v5
	s_delay_alu instid0(VALU_DEP_1) | instskip(NEXT) | instid1(VALU_DEP_3)
	v_cmp_ne_u32_e32 vcc_lo, 0, v5
	v_cndmask_b32_e32 v8, 0, v8, vcc_lo
	v_cmp_lt_u32_e32 vcc_lo, 1, v5
	s_delay_alu instid0(VALU_DEP_2) | instskip(NEXT) | instid1(VALU_DEP_1)
	v_add_nc_u32_e32 v7, v8, v7
	v_mov_b32_dpp v8, v7 row_shr:2 row_mask:0xf bank_mask:0xf
	s_delay_alu instid0(VALU_DEP_1) | instskip(SKIP_1) | instid1(VALU_DEP_2)
	v_cndmask_b32_e32 v8, 0, v8, vcc_lo
	v_cmp_lt_u32_e32 vcc_lo, 3, v5
	v_add_nc_u32_e32 v7, v7, v8
	s_delay_alu instid0(VALU_DEP_1) | instskip(NEXT) | instid1(VALU_DEP_1)
	v_mov_b32_dpp v8, v7 row_shr:4 row_mask:0xf bank_mask:0xf
	v_cndmask_b32_e32 v5, 0, v8, vcc_lo
	s_delay_alu instid0(VALU_DEP_1)
	v_add_nc_u32_e32 v5, v7, v5
	ds_store_b32 v6, v5
.LBB41_4:
	s_or_b32 exec_lo, exec_lo, s0
	s_delay_alu instid0(SALU_CYCLE_1)
	s_mov_b32 s0, exec_lo
	s_waitcnt lgkmcnt(0)
	s_barrier
	buffer_gl0_inv
	v_cmpx_lt_u32_e32 31, v0
	s_cbranch_execz .LBB41_6
; %bb.5:
	v_lshl_add_u32 v4, v4, 2, -4
	ds_load_b32 v4, v4
	s_waitcnt lgkmcnt(0)
	v_add_nc_u32_e32 v3, v4, v3
.LBB41_6:
	s_or_b32 exec_lo, exec_lo, s0
	s_mov_b32 s5, 0
	global_store_b32 v[1:2], v3, off
	s_mov_b32 s0, exec_lo
	v_cmpx_eq_u32_e32 0, v0
	s_cbranch_execz .LBB41_8
; %bb.7:
	v_mov_b32_e32 v0, 0
	s_lshl_b64 s[0:1], s[4:5], 2
	s_delay_alu instid0(SALU_CYCLE_1)
	s_add_u32 s0, s2, s0
	s_addc_u32 s1, s3, s1
	ds_load_b32 v1, v0 offset:20
	s_waitcnt lgkmcnt(0)
	global_store_b32 v0, v1, s[0:1]
.LBB41_8:
	s_nop 0
	s_sendmsg sendmsg(MSG_DEALLOC_VGPRS)
	s_endpgm
	.section	.rodata,"a",@progbits
	.p2align	6, 0x0
	.amdhsa_kernel _Z28inclusive_scan_reduce_kernelILj162ELN6hipcub18BlockScanAlgorithmE0EiEvPT1_S3_
		.amdhsa_group_segment_fixed_size 24
		.amdhsa_private_segment_fixed_size 0
		.amdhsa_kernarg_size 16
		.amdhsa_user_sgpr_count 15
		.amdhsa_user_sgpr_dispatch_ptr 0
		.amdhsa_user_sgpr_queue_ptr 0
		.amdhsa_user_sgpr_kernarg_segment_ptr 1
		.amdhsa_user_sgpr_dispatch_id 0
		.amdhsa_user_sgpr_private_segment_size 0
		.amdhsa_wavefront_size32 1
		.amdhsa_uses_dynamic_stack 0
		.amdhsa_enable_private_segment 0
		.amdhsa_system_sgpr_workgroup_id_x 1
		.amdhsa_system_sgpr_workgroup_id_y 0
		.amdhsa_system_sgpr_workgroup_id_z 0
		.amdhsa_system_sgpr_workgroup_info 0
		.amdhsa_system_vgpr_workitem_id 0
		.amdhsa_next_free_vgpr 9
		.amdhsa_next_free_sgpr 16
		.amdhsa_reserve_vcc 1
		.amdhsa_float_round_mode_32 0
		.amdhsa_float_round_mode_16_64 0
		.amdhsa_float_denorm_mode_32 3
		.amdhsa_float_denorm_mode_16_64 3
		.amdhsa_dx10_clamp 1
		.amdhsa_ieee_mode 1
		.amdhsa_fp16_overflow 0
		.amdhsa_workgroup_processor_mode 1
		.amdhsa_memory_ordered 1
		.amdhsa_forward_progress 0
		.amdhsa_shared_vgpr_count 0
		.amdhsa_exception_fp_ieee_invalid_op 0
		.amdhsa_exception_fp_denorm_src 0
		.amdhsa_exception_fp_ieee_div_zero 0
		.amdhsa_exception_fp_ieee_overflow 0
		.amdhsa_exception_fp_ieee_underflow 0
		.amdhsa_exception_fp_ieee_inexact 0
		.amdhsa_exception_int_div_zero 0
	.end_amdhsa_kernel
	.section	.text._Z28inclusive_scan_reduce_kernelILj162ELN6hipcub18BlockScanAlgorithmE0EiEvPT1_S3_,"axG",@progbits,_Z28inclusive_scan_reduce_kernelILj162ELN6hipcub18BlockScanAlgorithmE0EiEvPT1_S3_,comdat
.Lfunc_end41:
	.size	_Z28inclusive_scan_reduce_kernelILj162ELN6hipcub18BlockScanAlgorithmE0EiEvPT1_S3_, .Lfunc_end41-_Z28inclusive_scan_reduce_kernelILj162ELN6hipcub18BlockScanAlgorithmE0EiEvPT1_S3_
                                        ; -- End function
	.section	.AMDGPU.csdata,"",@progbits
; Kernel info:
; codeLenInByte = 560
; NumSgprs: 18
; NumVgprs: 9
; ScratchSize: 0
; MemoryBound: 0
; FloatMode: 240
; IeeeMode: 1
; LDSByteSize: 24 bytes/workgroup (compile time only)
; SGPRBlocks: 2
; VGPRBlocks: 1
; NumSGPRsForWavesPerEU: 18
; NumVGPRsForWavesPerEU: 9
; Occupancy: 15
; WaveLimiterHint : 0
; COMPUTE_PGM_RSRC2:SCRATCH_EN: 0
; COMPUTE_PGM_RSRC2:USER_SGPR: 15
; COMPUTE_PGM_RSRC2:TRAP_HANDLER: 0
; COMPUTE_PGM_RSRC2:TGID_X_EN: 1
; COMPUTE_PGM_RSRC2:TGID_Y_EN: 0
; COMPUTE_PGM_RSRC2:TGID_Z_EN: 0
; COMPUTE_PGM_RSRC2:TIDIG_COMP_CNT: 0
	.section	.text._Z28inclusive_scan_reduce_kernelILj37ELN6hipcub18BlockScanAlgorithmE0EiEvPT1_S3_,"axG",@progbits,_Z28inclusive_scan_reduce_kernelILj37ELN6hipcub18BlockScanAlgorithmE0EiEvPT1_S3_,comdat
	.protected	_Z28inclusive_scan_reduce_kernelILj37ELN6hipcub18BlockScanAlgorithmE0EiEvPT1_S3_ ; -- Begin function _Z28inclusive_scan_reduce_kernelILj37ELN6hipcub18BlockScanAlgorithmE0EiEvPT1_S3_
	.globl	_Z28inclusive_scan_reduce_kernelILj37ELN6hipcub18BlockScanAlgorithmE0EiEvPT1_S3_
	.p2align	8
	.type	_Z28inclusive_scan_reduce_kernelILj37ELN6hipcub18BlockScanAlgorithmE0EiEvPT1_S3_,@function
_Z28inclusive_scan_reduce_kernelILj37ELN6hipcub18BlockScanAlgorithmE0EiEvPT1_S3_: ; @_Z28inclusive_scan_reduce_kernelILj37ELN6hipcub18BlockScanAlgorithmE0EiEvPT1_S3_
; %bb.0:
	s_load_b128 s[0:3], s[0:1], 0x0
	s_mov_b32 s4, s15
	v_mbcnt_lo_u32_b32 v4, -1, 0
	v_mad_u64_u32 v[1:2], null, s4, 37, v[0:1]
	s_delay_alu instid0(VALU_DEP_2) | instskip(SKIP_1) | instid1(VALU_DEP_2)
	v_dual_mov_b32 v2, 0 :: v_dual_and_b32 v5, 15, v4
	v_bfe_i32 v7, v4, 4, 1
	v_lshlrev_b64 v[1:2], 2, v[1:2]
	s_waitcnt lgkmcnt(0)
	s_delay_alu instid0(VALU_DEP_1) | instskip(NEXT) | instid1(VALU_DEP_2)
	v_add_co_u32 v1, vcc_lo, s0, v1
	v_add_co_ci_u32_e32 v2, vcc_lo, s1, v2, vcc_lo
	v_cmp_ne_u32_e32 vcc_lo, 0, v5
	s_mov_b32 s0, exec_lo
	global_load_b32 v3, v[1:2], off
	s_waitcnt vmcnt(0)
	v_mov_b32_dpp v6, v3 row_shr:1 row_mask:0xf bank_mask:0xf
	s_delay_alu instid0(VALU_DEP_1) | instskip(SKIP_1) | instid1(VALU_DEP_2)
	v_cndmask_b32_e32 v6, 0, v6, vcc_lo
	v_cmp_lt_u32_e32 vcc_lo, 1, v5
	v_add_nc_u32_e32 v3, v6, v3
	s_delay_alu instid0(VALU_DEP_1) | instskip(NEXT) | instid1(VALU_DEP_1)
	v_mov_b32_dpp v6, v3 row_shr:2 row_mask:0xf bank_mask:0xf
	v_cndmask_b32_e32 v6, 0, v6, vcc_lo
	v_cmp_lt_u32_e32 vcc_lo, 3, v5
	s_delay_alu instid0(VALU_DEP_2) | instskip(NEXT) | instid1(VALU_DEP_1)
	v_add_nc_u32_e32 v3, v3, v6
	v_mov_b32_dpp v6, v3 row_shr:4 row_mask:0xf bank_mask:0xf
	s_delay_alu instid0(VALU_DEP_1) | instskip(SKIP_1) | instid1(VALU_DEP_2)
	v_cndmask_b32_e32 v6, 0, v6, vcc_lo
	v_cmp_lt_u32_e32 vcc_lo, 7, v5
	v_add_nc_u32_e32 v3, v3, v6
	s_delay_alu instid0(VALU_DEP_1) | instskip(NEXT) | instid1(VALU_DEP_1)
	v_mov_b32_dpp v6, v3 row_shr:8 row_mask:0xf bank_mask:0xf
	v_dual_cndmask_b32 v5, 0, v6 :: v_dual_and_b32 v6, 32, v0
	s_delay_alu instid0(VALU_DEP_1) | instskip(NEXT) | instid1(VALU_DEP_2)
	v_add_nc_u32_e32 v3, v3, v5
	v_min_u32_e32 v6, 5, v6
	ds_swizzle_b32 v5, v3 offset:swizzle(BROADCAST,32,15)
	v_add_nc_u32_e32 v6, 31, v6
	s_waitcnt lgkmcnt(0)
	v_and_b32_e32 v7, v7, v5
	v_lshrrev_b32_e32 v5, 5, v0
	s_delay_alu instid0(VALU_DEP_2)
	v_add_nc_u32_e32 v3, v3, v7
	v_cmpx_eq_u32_e64 v6, v0
	s_cbranch_execz .LBB42_2
; %bb.1:
	s_delay_alu instid0(VALU_DEP_3)
	v_lshlrev_b32_e32 v6, 2, v5
	ds_store_b32 v6, v3
.LBB42_2:
	s_or_b32 exec_lo, exec_lo, s0
	s_delay_alu instid0(SALU_CYCLE_1)
	s_mov_b32 s0, exec_lo
	s_waitcnt lgkmcnt(0)
	s_barrier
	buffer_gl0_inv
	v_cmpx_gt_u32_e32 2, v0
	s_cbranch_execz .LBB42_4
; %bb.3:
	v_lshlrev_b32_e32 v6, 2, v0
	v_bfe_i32 v4, v4, 0, 1
	ds_load_b32 v7, v6
	s_waitcnt lgkmcnt(0)
	v_mov_b32_dpp v8, v7 row_shr:1 row_mask:0xf bank_mask:0xf
	s_delay_alu instid0(VALU_DEP_1) | instskip(NEXT) | instid1(VALU_DEP_1)
	v_and_b32_e32 v4, v4, v8
	v_add_nc_u32_e32 v4, v4, v7
	ds_store_b32 v6, v4
.LBB42_4:
	s_or_b32 exec_lo, exec_lo, s0
	s_delay_alu instid0(SALU_CYCLE_1)
	s_mov_b32 s0, exec_lo
	s_waitcnt lgkmcnt(0)
	s_barrier
	buffer_gl0_inv
	v_cmpx_lt_u32_e32 31, v0
	s_cbranch_execz .LBB42_6
; %bb.5:
	v_lshl_add_u32 v4, v5, 2, -4
	ds_load_b32 v4, v4
	s_waitcnt lgkmcnt(0)
	v_add_nc_u32_e32 v3, v4, v3
.LBB42_6:
	s_or_b32 exec_lo, exec_lo, s0
	s_mov_b32 s5, 0
	global_store_b32 v[1:2], v3, off
	s_mov_b32 s0, exec_lo
	v_cmpx_eq_u32_e32 0, v0
	s_cbranch_execz .LBB42_8
; %bb.7:
	v_mov_b32_e32 v0, 0
	s_lshl_b64 s[0:1], s[4:5], 2
	s_delay_alu instid0(SALU_CYCLE_1)
	s_add_u32 s0, s2, s0
	s_addc_u32 s1, s3, s1
	ds_load_b32 v1, v0 offset:4
	s_waitcnt lgkmcnt(0)
	global_store_b32 v0, v1, s[0:1]
.LBB42_8:
	s_nop 0
	s_sendmsg sendmsg(MSG_DEALLOC_VGPRS)
	s_endpgm
	.section	.rodata,"a",@progbits
	.p2align	6, 0x0
	.amdhsa_kernel _Z28inclusive_scan_reduce_kernelILj37ELN6hipcub18BlockScanAlgorithmE0EiEvPT1_S3_
		.amdhsa_group_segment_fixed_size 8
		.amdhsa_private_segment_fixed_size 0
		.amdhsa_kernarg_size 16
		.amdhsa_user_sgpr_count 15
		.amdhsa_user_sgpr_dispatch_ptr 0
		.amdhsa_user_sgpr_queue_ptr 0
		.amdhsa_user_sgpr_kernarg_segment_ptr 1
		.amdhsa_user_sgpr_dispatch_id 0
		.amdhsa_user_sgpr_private_segment_size 0
		.amdhsa_wavefront_size32 1
		.amdhsa_uses_dynamic_stack 0
		.amdhsa_enable_private_segment 0
		.amdhsa_system_sgpr_workgroup_id_x 1
		.amdhsa_system_sgpr_workgroup_id_y 0
		.amdhsa_system_sgpr_workgroup_id_z 0
		.amdhsa_system_sgpr_workgroup_info 0
		.amdhsa_system_vgpr_workitem_id 0
		.amdhsa_next_free_vgpr 9
		.amdhsa_next_free_sgpr 16
		.amdhsa_reserve_vcc 1
		.amdhsa_float_round_mode_32 0
		.amdhsa_float_round_mode_16_64 0
		.amdhsa_float_denorm_mode_32 3
		.amdhsa_float_denorm_mode_16_64 3
		.amdhsa_dx10_clamp 1
		.amdhsa_ieee_mode 1
		.amdhsa_fp16_overflow 0
		.amdhsa_workgroup_processor_mode 1
		.amdhsa_memory_ordered 1
		.amdhsa_forward_progress 0
		.amdhsa_shared_vgpr_count 0
		.amdhsa_exception_fp_ieee_invalid_op 0
		.amdhsa_exception_fp_denorm_src 0
		.amdhsa_exception_fp_ieee_div_zero 0
		.amdhsa_exception_fp_ieee_overflow 0
		.amdhsa_exception_fp_ieee_underflow 0
		.amdhsa_exception_fp_ieee_inexact 0
		.amdhsa_exception_int_div_zero 0
	.end_amdhsa_kernel
	.section	.text._Z28inclusive_scan_reduce_kernelILj37ELN6hipcub18BlockScanAlgorithmE0EiEvPT1_S3_,"axG",@progbits,_Z28inclusive_scan_reduce_kernelILj37ELN6hipcub18BlockScanAlgorithmE0EiEvPT1_S3_,comdat
.Lfunc_end42:
	.size	_Z28inclusive_scan_reduce_kernelILj37ELN6hipcub18BlockScanAlgorithmE0EiEvPT1_S3_, .Lfunc_end42-_Z28inclusive_scan_reduce_kernelILj37ELN6hipcub18BlockScanAlgorithmE0EiEvPT1_S3_
                                        ; -- End function
	.section	.AMDGPU.csdata,"",@progbits
; Kernel info:
; codeLenInByte = 492
; NumSgprs: 18
; NumVgprs: 9
; ScratchSize: 0
; MemoryBound: 0
; FloatMode: 240
; IeeeMode: 1
; LDSByteSize: 8 bytes/workgroup (compile time only)
; SGPRBlocks: 2
; VGPRBlocks: 1
; NumSGPRsForWavesPerEU: 18
; NumVGPRsForWavesPerEU: 9
; Occupancy: 16
; WaveLimiterHint : 0
; COMPUTE_PGM_RSRC2:SCRATCH_EN: 0
; COMPUTE_PGM_RSRC2:USER_SGPR: 15
; COMPUTE_PGM_RSRC2:TRAP_HANDLER: 0
; COMPUTE_PGM_RSRC2:TGID_X_EN: 1
; COMPUTE_PGM_RSRC2:TGID_Y_EN: 0
; COMPUTE_PGM_RSRC2:TGID_Z_EN: 0
; COMPUTE_PGM_RSRC2:TIDIG_COMP_CNT: 0
	.section	.text._Z28inclusive_scan_reduce_kernelILj65ELN6hipcub18BlockScanAlgorithmE0EiEvPT1_S3_,"axG",@progbits,_Z28inclusive_scan_reduce_kernelILj65ELN6hipcub18BlockScanAlgorithmE0EiEvPT1_S3_,comdat
	.protected	_Z28inclusive_scan_reduce_kernelILj65ELN6hipcub18BlockScanAlgorithmE0EiEvPT1_S3_ ; -- Begin function _Z28inclusive_scan_reduce_kernelILj65ELN6hipcub18BlockScanAlgorithmE0EiEvPT1_S3_
	.globl	_Z28inclusive_scan_reduce_kernelILj65ELN6hipcub18BlockScanAlgorithmE0EiEvPT1_S3_
	.p2align	8
	.type	_Z28inclusive_scan_reduce_kernelILj65ELN6hipcub18BlockScanAlgorithmE0EiEvPT1_S3_,@function
_Z28inclusive_scan_reduce_kernelILj65ELN6hipcub18BlockScanAlgorithmE0EiEvPT1_S3_: ; @_Z28inclusive_scan_reduce_kernelILj65ELN6hipcub18BlockScanAlgorithmE0EiEvPT1_S3_
; %bb.0:
	s_load_b128 s[0:3], s[0:1], 0x0
	s_mov_b32 s4, s15
	v_mbcnt_lo_u32_b32 v4, -1, 0
	v_mad_u64_u32 v[1:2], null, 0x41, s4, v[0:1]
	s_delay_alu instid0(VALU_DEP_2) | instskip(SKIP_1) | instid1(VALU_DEP_2)
	v_dual_mov_b32 v2, 0 :: v_dual_and_b32 v5, 15, v4
	v_bfe_i32 v7, v4, 4, 1
	v_lshlrev_b64 v[1:2], 2, v[1:2]
	s_waitcnt lgkmcnt(0)
	s_delay_alu instid0(VALU_DEP_1) | instskip(NEXT) | instid1(VALU_DEP_2)
	v_add_co_u32 v1, vcc_lo, s0, v1
	v_add_co_ci_u32_e32 v2, vcc_lo, s1, v2, vcc_lo
	v_cmp_ne_u32_e32 vcc_lo, 0, v5
	s_mov_b32 s0, exec_lo
	global_load_b32 v3, v[1:2], off
	s_waitcnt vmcnt(0)
	v_mov_b32_dpp v6, v3 row_shr:1 row_mask:0xf bank_mask:0xf
	s_delay_alu instid0(VALU_DEP_1) | instskip(SKIP_1) | instid1(VALU_DEP_2)
	v_cndmask_b32_e32 v6, 0, v6, vcc_lo
	v_cmp_lt_u32_e32 vcc_lo, 1, v5
	v_add_nc_u32_e32 v3, v6, v3
	s_delay_alu instid0(VALU_DEP_1) | instskip(NEXT) | instid1(VALU_DEP_1)
	v_mov_b32_dpp v6, v3 row_shr:2 row_mask:0xf bank_mask:0xf
	v_cndmask_b32_e32 v6, 0, v6, vcc_lo
	v_cmp_lt_u32_e32 vcc_lo, 3, v5
	s_delay_alu instid0(VALU_DEP_2) | instskip(NEXT) | instid1(VALU_DEP_1)
	v_add_nc_u32_e32 v3, v3, v6
	v_mov_b32_dpp v6, v3 row_shr:4 row_mask:0xf bank_mask:0xf
	s_delay_alu instid0(VALU_DEP_1) | instskip(SKIP_1) | instid1(VALU_DEP_2)
	v_cndmask_b32_e32 v6, 0, v6, vcc_lo
	v_cmp_lt_u32_e32 vcc_lo, 7, v5
	v_add_nc_u32_e32 v3, v3, v6
	s_delay_alu instid0(VALU_DEP_1) | instskip(NEXT) | instid1(VALU_DEP_1)
	v_mov_b32_dpp v6, v3 row_shr:8 row_mask:0xf bank_mask:0xf
	v_dual_cndmask_b32 v5, 0, v6 :: v_dual_and_b32 v6, 0x60, v0
	s_delay_alu instid0(VALU_DEP_1) | instskip(NEXT) | instid1(VALU_DEP_2)
	v_add_nc_u32_e32 v3, v3, v5
	v_min_u32_e32 v6, 33, v6
	ds_swizzle_b32 v5, v3 offset:swizzle(BROADCAST,32,15)
	v_add_nc_u32_e32 v6, 31, v6
	s_waitcnt lgkmcnt(0)
	v_and_b32_e32 v7, v7, v5
	v_lshrrev_b32_e32 v5, 5, v0
	s_delay_alu instid0(VALU_DEP_2)
	v_add_nc_u32_e32 v3, v3, v7
	v_cmpx_eq_u32_e64 v6, v0
	s_cbranch_execz .LBB43_2
; %bb.1:
	s_delay_alu instid0(VALU_DEP_3)
	v_lshlrev_b32_e32 v6, 2, v5
	ds_store_b32 v6, v3
.LBB43_2:
	s_or_b32 exec_lo, exec_lo, s0
	s_delay_alu instid0(SALU_CYCLE_1)
	s_mov_b32 s0, exec_lo
	s_waitcnt lgkmcnt(0)
	s_barrier
	buffer_gl0_inv
	v_cmpx_gt_u32_e32 3, v0
	s_cbranch_execz .LBB43_4
; %bb.3:
	v_lshlrev_b32_e32 v6, 2, v0
	v_and_b32_e32 v4, 3, v4
	ds_load_b32 v7, v6
	v_cmp_ne_u32_e32 vcc_lo, 0, v4
	s_waitcnt lgkmcnt(0)
	v_mov_b32_dpp v8, v7 row_shr:1 row_mask:0xf bank_mask:0xf
	s_delay_alu instid0(VALU_DEP_1) | instskip(SKIP_1) | instid1(VALU_DEP_2)
	v_cndmask_b32_e32 v8, 0, v8, vcc_lo
	v_cmp_lt_u32_e32 vcc_lo, 1, v4
	v_add_nc_u32_e32 v7, v8, v7
	s_delay_alu instid0(VALU_DEP_1) | instskip(NEXT) | instid1(VALU_DEP_1)
	v_mov_b32_dpp v8, v7 row_shr:2 row_mask:0xf bank_mask:0xf
	v_cndmask_b32_e32 v4, 0, v8, vcc_lo
	s_delay_alu instid0(VALU_DEP_1)
	v_add_nc_u32_e32 v4, v7, v4
	ds_store_b32 v6, v4
.LBB43_4:
	s_or_b32 exec_lo, exec_lo, s0
	s_delay_alu instid0(SALU_CYCLE_1)
	s_mov_b32 s0, exec_lo
	s_waitcnt lgkmcnt(0)
	s_barrier
	buffer_gl0_inv
	v_cmpx_lt_u32_e32 31, v0
	s_cbranch_execz .LBB43_6
; %bb.5:
	v_lshl_add_u32 v4, v5, 2, -4
	ds_load_b32 v4, v4
	s_waitcnt lgkmcnt(0)
	v_add_nc_u32_e32 v3, v4, v3
.LBB43_6:
	s_or_b32 exec_lo, exec_lo, s0
	s_mov_b32 s5, 0
	global_store_b32 v[1:2], v3, off
	s_mov_b32 s0, exec_lo
	v_cmpx_eq_u32_e32 0, v0
	s_cbranch_execz .LBB43_8
; %bb.7:
	v_mov_b32_e32 v0, 0
	s_lshl_b64 s[0:1], s[4:5], 2
	s_delay_alu instid0(SALU_CYCLE_1)
	s_add_u32 s0, s2, s0
	s_addc_u32 s1, s3, s1
	ds_load_b32 v1, v0 offset:8
	s_waitcnt lgkmcnt(0)
	global_store_b32 v0, v1, s[0:1]
.LBB43_8:
	s_nop 0
	s_sendmsg sendmsg(MSG_DEALLOC_VGPRS)
	s_endpgm
	.section	.rodata,"a",@progbits
	.p2align	6, 0x0
	.amdhsa_kernel _Z28inclusive_scan_reduce_kernelILj65ELN6hipcub18BlockScanAlgorithmE0EiEvPT1_S3_
		.amdhsa_group_segment_fixed_size 12
		.amdhsa_private_segment_fixed_size 0
		.amdhsa_kernarg_size 16
		.amdhsa_user_sgpr_count 15
		.amdhsa_user_sgpr_dispatch_ptr 0
		.amdhsa_user_sgpr_queue_ptr 0
		.amdhsa_user_sgpr_kernarg_segment_ptr 1
		.amdhsa_user_sgpr_dispatch_id 0
		.amdhsa_user_sgpr_private_segment_size 0
		.amdhsa_wavefront_size32 1
		.amdhsa_uses_dynamic_stack 0
		.amdhsa_enable_private_segment 0
		.amdhsa_system_sgpr_workgroup_id_x 1
		.amdhsa_system_sgpr_workgroup_id_y 0
		.amdhsa_system_sgpr_workgroup_id_z 0
		.amdhsa_system_sgpr_workgroup_info 0
		.amdhsa_system_vgpr_workitem_id 0
		.amdhsa_next_free_vgpr 9
		.amdhsa_next_free_sgpr 16
		.amdhsa_reserve_vcc 1
		.amdhsa_float_round_mode_32 0
		.amdhsa_float_round_mode_16_64 0
		.amdhsa_float_denorm_mode_32 3
		.amdhsa_float_denorm_mode_16_64 3
		.amdhsa_dx10_clamp 1
		.amdhsa_ieee_mode 1
		.amdhsa_fp16_overflow 0
		.amdhsa_workgroup_processor_mode 1
		.amdhsa_memory_ordered 1
		.amdhsa_forward_progress 0
		.amdhsa_shared_vgpr_count 0
		.amdhsa_exception_fp_ieee_invalid_op 0
		.amdhsa_exception_fp_denorm_src 0
		.amdhsa_exception_fp_ieee_div_zero 0
		.amdhsa_exception_fp_ieee_overflow 0
		.amdhsa_exception_fp_ieee_underflow 0
		.amdhsa_exception_fp_ieee_inexact 0
		.amdhsa_exception_int_div_zero 0
	.end_amdhsa_kernel
	.section	.text._Z28inclusive_scan_reduce_kernelILj65ELN6hipcub18BlockScanAlgorithmE0EiEvPT1_S3_,"axG",@progbits,_Z28inclusive_scan_reduce_kernelILj65ELN6hipcub18BlockScanAlgorithmE0EiEvPT1_S3_,comdat
.Lfunc_end43:
	.size	_Z28inclusive_scan_reduce_kernelILj65ELN6hipcub18BlockScanAlgorithmE0EiEvPT1_S3_, .Lfunc_end43-_Z28inclusive_scan_reduce_kernelILj65ELN6hipcub18BlockScanAlgorithmE0EiEvPT1_S3_
                                        ; -- End function
	.section	.AMDGPU.csdata,"",@progbits
; Kernel info:
; codeLenInByte = 528
; NumSgprs: 18
; NumVgprs: 9
; ScratchSize: 0
; MemoryBound: 0
; FloatMode: 240
; IeeeMode: 1
; LDSByteSize: 12 bytes/workgroup (compile time only)
; SGPRBlocks: 2
; VGPRBlocks: 1
; NumSGPRsForWavesPerEU: 18
; NumVGPRsForWavesPerEU: 9
; Occupancy: 16
; WaveLimiterHint : 0
; COMPUTE_PGM_RSRC2:SCRATCH_EN: 0
; COMPUTE_PGM_RSRC2:USER_SGPR: 15
; COMPUTE_PGM_RSRC2:TRAP_HANDLER: 0
; COMPUTE_PGM_RSRC2:TGID_X_EN: 1
; COMPUTE_PGM_RSRC2:TGID_Y_EN: 0
; COMPUTE_PGM_RSRC2:TGID_Z_EN: 0
; COMPUTE_PGM_RSRC2:TIDIG_COMP_CNT: 0
	.section	.text._Z28inclusive_scan_reduce_kernelILj512ELN6hipcub18BlockScanAlgorithmE0EiEvPT1_S3_,"axG",@progbits,_Z28inclusive_scan_reduce_kernelILj512ELN6hipcub18BlockScanAlgorithmE0EiEvPT1_S3_,comdat
	.protected	_Z28inclusive_scan_reduce_kernelILj512ELN6hipcub18BlockScanAlgorithmE0EiEvPT1_S3_ ; -- Begin function _Z28inclusive_scan_reduce_kernelILj512ELN6hipcub18BlockScanAlgorithmE0EiEvPT1_S3_
	.globl	_Z28inclusive_scan_reduce_kernelILj512ELN6hipcub18BlockScanAlgorithmE0EiEvPT1_S3_
	.p2align	8
	.type	_Z28inclusive_scan_reduce_kernelILj512ELN6hipcub18BlockScanAlgorithmE0EiEvPT1_S3_,@function
_Z28inclusive_scan_reduce_kernelILj512ELN6hipcub18BlockScanAlgorithmE0EiEvPT1_S3_: ; @_Z28inclusive_scan_reduce_kernelILj512ELN6hipcub18BlockScanAlgorithmE0EiEvPT1_S3_
; %bb.0:
	s_load_b128 s[4:7], s[0:1], 0x0
	s_mov_b32 s8, s15
	v_mbcnt_lo_u32_b32 v4, -1, 0
	v_mov_b32_e32 v2, 0
	v_lshl_or_b32 v1, s8, 9, v0
	s_delay_alu instid0(VALU_DEP_3) | instskip(SKIP_1) | instid1(VALU_DEP_3)
	v_and_b32_e32 v5, 15, v4
	v_bfe_i32 v4, v4, 4, 1
	v_lshlrev_b64 v[1:2], 2, v[1:2]
	s_delay_alu instid0(VALU_DEP_3) | instskip(SKIP_3) | instid1(VALU_DEP_4)
	v_cmp_lt_u32_e64 s0, 1, v5
	v_cmp_lt_u32_e64 s1, 3, v5
	;; [unrolled: 1-line block ×3, first 2 shown]
	s_waitcnt lgkmcnt(0)
	v_add_co_u32 v1, vcc_lo, s4, v1
	v_add_co_ci_u32_e32 v2, vcc_lo, s5, v2, vcc_lo
	v_cmp_eq_u32_e32 vcc_lo, 0, v5
	s_mov_b32 s4, exec_lo
	global_load_b32 v3, v[1:2], off
	s_waitcnt vmcnt(0)
	v_mov_b32_dpp v6, v3 row_shr:1 row_mask:0xf bank_mask:0xf
	s_delay_alu instid0(VALU_DEP_1) | instskip(NEXT) | instid1(VALU_DEP_1)
	v_cndmask_b32_e64 v6, v6, 0, vcc_lo
	v_add_nc_u32_e32 v3, v6, v3
	s_delay_alu instid0(VALU_DEP_1) | instskip(NEXT) | instid1(VALU_DEP_1)
	v_mov_b32_dpp v6, v3 row_shr:2 row_mask:0xf bank_mask:0xf
	v_cndmask_b32_e64 v6, 0, v6, s0
	s_delay_alu instid0(VALU_DEP_1) | instskip(NEXT) | instid1(VALU_DEP_1)
	v_add_nc_u32_e32 v3, v3, v6
	v_mov_b32_dpp v6, v3 row_shr:4 row_mask:0xf bank_mask:0xf
	s_delay_alu instid0(VALU_DEP_1) | instskip(NEXT) | instid1(VALU_DEP_1)
	v_cndmask_b32_e64 v6, 0, v6, s1
	v_add_nc_u32_e32 v3, v3, v6
	s_delay_alu instid0(VALU_DEP_1) | instskip(NEXT) | instid1(VALU_DEP_1)
	v_mov_b32_dpp v6, v3 row_shr:8 row_mask:0xf bank_mask:0xf
	v_cndmask_b32_e64 v5, 0, v6, s2
	v_or_b32_e32 v6, 31, v0
	s_delay_alu instid0(VALU_DEP_2) | instskip(SKIP_4) | instid1(VALU_DEP_2)
	v_add_nc_u32_e32 v3, v3, v5
	ds_swizzle_b32 v5, v3 offset:swizzle(BROADCAST,32,15)
	s_waitcnt lgkmcnt(0)
	v_and_b32_e32 v5, v4, v5
	v_lshrrev_b32_e32 v4, 5, v0
	v_add_nc_u32_e32 v3, v3, v5
	v_cmpx_eq_u32_e64 v6, v0
	s_cbranch_execz .LBB44_2
; %bb.1:
	s_delay_alu instid0(VALU_DEP_3)
	v_lshlrev_b32_e32 v5, 2, v4
	ds_store_b32 v5, v3
.LBB44_2:
	s_or_b32 exec_lo, exec_lo, s4
	s_delay_alu instid0(SALU_CYCLE_1)
	s_mov_b32 s4, exec_lo
	s_waitcnt lgkmcnt(0)
	s_barrier
	buffer_gl0_inv
	v_cmpx_gt_u32_e32 16, v0
	s_cbranch_execz .LBB44_4
; %bb.3:
	v_lshlrev_b32_e32 v5, 2, v0
	ds_load_b32 v6, v5
	s_waitcnt lgkmcnt(0)
	v_mov_b32_dpp v7, v6 row_shr:1 row_mask:0xf bank_mask:0xf
	s_delay_alu instid0(VALU_DEP_1) | instskip(NEXT) | instid1(VALU_DEP_1)
	v_cndmask_b32_e64 v7, v7, 0, vcc_lo
	v_add_nc_u32_e32 v6, v7, v6
	s_delay_alu instid0(VALU_DEP_1) | instskip(NEXT) | instid1(VALU_DEP_1)
	v_mov_b32_dpp v7, v6 row_shr:2 row_mask:0xf bank_mask:0xf
	v_cndmask_b32_e64 v7, 0, v7, s0
	s_delay_alu instid0(VALU_DEP_1) | instskip(NEXT) | instid1(VALU_DEP_1)
	v_add_nc_u32_e32 v6, v6, v7
	v_mov_b32_dpp v7, v6 row_shr:4 row_mask:0xf bank_mask:0xf
	s_delay_alu instid0(VALU_DEP_1) | instskip(NEXT) | instid1(VALU_DEP_1)
	v_cndmask_b32_e64 v7, 0, v7, s1
	v_add_nc_u32_e32 v6, v6, v7
	s_delay_alu instid0(VALU_DEP_1) | instskip(NEXT) | instid1(VALU_DEP_1)
	v_mov_b32_dpp v7, v6 row_shr:8 row_mask:0xf bank_mask:0xf
	v_cndmask_b32_e64 v7, 0, v7, s2
	s_delay_alu instid0(VALU_DEP_1)
	v_add_nc_u32_e32 v6, v6, v7
	ds_store_b32 v5, v6
.LBB44_4:
	s_or_b32 exec_lo, exec_lo, s4
	s_delay_alu instid0(SALU_CYCLE_1)
	s_mov_b32 s0, exec_lo
	s_waitcnt lgkmcnt(0)
	s_barrier
	buffer_gl0_inv
	v_cmpx_lt_u32_e32 31, v0
	s_cbranch_execz .LBB44_6
; %bb.5:
	v_lshl_add_u32 v4, v4, 2, -4
	ds_load_b32 v4, v4
	s_waitcnt lgkmcnt(0)
	v_add_nc_u32_e32 v3, v4, v3
.LBB44_6:
	s_or_b32 exec_lo, exec_lo, s0
	s_mov_b32 s9, 0
	global_store_b32 v[1:2], v3, off
	s_mov_b32 s0, exec_lo
	v_cmpx_eq_u32_e32 0, v0
	s_cbranch_execz .LBB44_8
; %bb.7:
	v_mov_b32_e32 v0, 0
	s_lshl_b64 s[0:1], s[8:9], 2
	s_delay_alu instid0(SALU_CYCLE_1)
	s_add_u32 s0, s6, s0
	s_addc_u32 s1, s7, s1
	ds_load_b32 v1, v0 offset:60
	s_waitcnt lgkmcnt(0)
	global_store_b32 v0, v1, s[0:1]
.LBB44_8:
	s_nop 0
	s_sendmsg sendmsg(MSG_DEALLOC_VGPRS)
	s_endpgm
	.section	.rodata,"a",@progbits
	.p2align	6, 0x0
	.amdhsa_kernel _Z28inclusive_scan_reduce_kernelILj512ELN6hipcub18BlockScanAlgorithmE0EiEvPT1_S3_
		.amdhsa_group_segment_fixed_size 64
		.amdhsa_private_segment_fixed_size 0
		.amdhsa_kernarg_size 16
		.amdhsa_user_sgpr_count 15
		.amdhsa_user_sgpr_dispatch_ptr 0
		.amdhsa_user_sgpr_queue_ptr 0
		.amdhsa_user_sgpr_kernarg_segment_ptr 1
		.amdhsa_user_sgpr_dispatch_id 0
		.amdhsa_user_sgpr_private_segment_size 0
		.amdhsa_wavefront_size32 1
		.amdhsa_uses_dynamic_stack 0
		.amdhsa_enable_private_segment 0
		.amdhsa_system_sgpr_workgroup_id_x 1
		.amdhsa_system_sgpr_workgroup_id_y 0
		.amdhsa_system_sgpr_workgroup_id_z 0
		.amdhsa_system_sgpr_workgroup_info 0
		.amdhsa_system_vgpr_workitem_id 0
		.amdhsa_next_free_vgpr 8
		.amdhsa_next_free_sgpr 16
		.amdhsa_reserve_vcc 1
		.amdhsa_float_round_mode_32 0
		.amdhsa_float_round_mode_16_64 0
		.amdhsa_float_denorm_mode_32 3
		.amdhsa_float_denorm_mode_16_64 3
		.amdhsa_dx10_clamp 1
		.amdhsa_ieee_mode 1
		.amdhsa_fp16_overflow 0
		.amdhsa_workgroup_processor_mode 1
		.amdhsa_memory_ordered 1
		.amdhsa_forward_progress 0
		.amdhsa_shared_vgpr_count 0
		.amdhsa_exception_fp_ieee_invalid_op 0
		.amdhsa_exception_fp_denorm_src 0
		.amdhsa_exception_fp_ieee_div_zero 0
		.amdhsa_exception_fp_ieee_overflow 0
		.amdhsa_exception_fp_ieee_underflow 0
		.amdhsa_exception_fp_ieee_inexact 0
		.amdhsa_exception_int_div_zero 0
	.end_amdhsa_kernel
	.section	.text._Z28inclusive_scan_reduce_kernelILj512ELN6hipcub18BlockScanAlgorithmE0EiEvPT1_S3_,"axG",@progbits,_Z28inclusive_scan_reduce_kernelILj512ELN6hipcub18BlockScanAlgorithmE0EiEvPT1_S3_,comdat
.Lfunc_end44:
	.size	_Z28inclusive_scan_reduce_kernelILj512ELN6hipcub18BlockScanAlgorithmE0EiEvPT1_S3_, .Lfunc_end44-_Z28inclusive_scan_reduce_kernelILj512ELN6hipcub18BlockScanAlgorithmE0EiEvPT1_S3_
                                        ; -- End function
	.section	.AMDGPU.csdata,"",@progbits
; Kernel info:
; codeLenInByte = 584
; NumSgprs: 18
; NumVgprs: 8
; ScratchSize: 0
; MemoryBound: 0
; FloatMode: 240
; IeeeMode: 1
; LDSByteSize: 64 bytes/workgroup (compile time only)
; SGPRBlocks: 2
; VGPRBlocks: 0
; NumSGPRsForWavesPerEU: 18
; NumVGPRsForWavesPerEU: 8
; Occupancy: 16
; WaveLimiterHint : 0
; COMPUTE_PGM_RSRC2:SCRATCH_EN: 0
; COMPUTE_PGM_RSRC2:USER_SGPR: 15
; COMPUTE_PGM_RSRC2:TRAP_HANDLER: 0
; COMPUTE_PGM_RSRC2:TGID_X_EN: 1
; COMPUTE_PGM_RSRC2:TGID_Y_EN: 0
; COMPUTE_PGM_RSRC2:TGID_Z_EN: 0
; COMPUTE_PGM_RSRC2:TIDIG_COMP_CNT: 0
	.section	.text._Z28inclusive_scan_reduce_kernelILj256ELN6hipcub18BlockScanAlgorithmE0EiEvPT1_S3_,"axG",@progbits,_Z28inclusive_scan_reduce_kernelILj256ELN6hipcub18BlockScanAlgorithmE0EiEvPT1_S3_,comdat
	.protected	_Z28inclusive_scan_reduce_kernelILj256ELN6hipcub18BlockScanAlgorithmE0EiEvPT1_S3_ ; -- Begin function _Z28inclusive_scan_reduce_kernelILj256ELN6hipcub18BlockScanAlgorithmE0EiEvPT1_S3_
	.globl	_Z28inclusive_scan_reduce_kernelILj256ELN6hipcub18BlockScanAlgorithmE0EiEvPT1_S3_
	.p2align	8
	.type	_Z28inclusive_scan_reduce_kernelILj256ELN6hipcub18BlockScanAlgorithmE0EiEvPT1_S3_,@function
_Z28inclusive_scan_reduce_kernelILj256ELN6hipcub18BlockScanAlgorithmE0EiEvPT1_S3_: ; @_Z28inclusive_scan_reduce_kernelILj256ELN6hipcub18BlockScanAlgorithmE0EiEvPT1_S3_
; %bb.0:
	s_load_b128 s[0:3], s[0:1], 0x0
	s_mov_b32 s4, s15
	v_mov_b32_e32 v2, 0
	v_lshl_or_b32 v1, s4, 8, v0
	v_mbcnt_lo_u32_b32 v5, -1, 0
	v_or_b32_e32 v7, 31, v0
	s_delay_alu instid0(VALU_DEP_3) | instskip(NEXT) | instid1(VALU_DEP_3)
	v_lshlrev_b64 v[1:2], 2, v[1:2]
	v_and_b32_e32 v4, 15, v5
	s_waitcnt lgkmcnt(0)
	s_delay_alu instid0(VALU_DEP_2) | instskip(NEXT) | instid1(VALU_DEP_3)
	v_add_co_u32 v1, vcc_lo, s0, v1
	v_add_co_ci_u32_e32 v2, vcc_lo, s1, v2, vcc_lo
	s_delay_alu instid0(VALU_DEP_3) | instskip(SKIP_4) | instid1(VALU_DEP_1)
	v_cmp_ne_u32_e32 vcc_lo, 0, v4
	s_mov_b32 s0, exec_lo
	global_load_b32 v3, v[1:2], off
	s_waitcnt vmcnt(0)
	v_mov_b32_dpp v6, v3 row_shr:1 row_mask:0xf bank_mask:0xf
	v_cndmask_b32_e32 v6, 0, v6, vcc_lo
	v_cmp_lt_u32_e32 vcc_lo, 1, v4
	s_delay_alu instid0(VALU_DEP_2) | instskip(NEXT) | instid1(VALU_DEP_1)
	v_add_nc_u32_e32 v3, v6, v3
	v_mov_b32_dpp v6, v3 row_shr:2 row_mask:0xf bank_mask:0xf
	s_delay_alu instid0(VALU_DEP_1) | instskip(SKIP_1) | instid1(VALU_DEP_2)
	v_cndmask_b32_e32 v6, 0, v6, vcc_lo
	v_cmp_lt_u32_e32 vcc_lo, 3, v4
	v_add_nc_u32_e32 v3, v3, v6
	s_delay_alu instid0(VALU_DEP_1) | instskip(NEXT) | instid1(VALU_DEP_1)
	v_mov_b32_dpp v6, v3 row_shr:4 row_mask:0xf bank_mask:0xf
	v_cndmask_b32_e32 v6, 0, v6, vcc_lo
	v_cmp_lt_u32_e32 vcc_lo, 7, v4
	s_delay_alu instid0(VALU_DEP_2) | instskip(NEXT) | instid1(VALU_DEP_1)
	v_add_nc_u32_e32 v3, v3, v6
	v_mov_b32_dpp v6, v3 row_shr:8 row_mask:0xf bank_mask:0xf
	s_delay_alu instid0(VALU_DEP_1) | instskip(SKIP_1) | instid1(VALU_DEP_2)
	v_cndmask_b32_e32 v4, 0, v6, vcc_lo
	v_bfe_i32 v6, v5, 4, 1
	v_add_nc_u32_e32 v3, v3, v4
	ds_swizzle_b32 v4, v3 offset:swizzle(BROADCAST,32,15)
	s_waitcnt lgkmcnt(0)
	v_and_b32_e32 v6, v6, v4
	v_lshrrev_b32_e32 v4, 5, v0
	s_delay_alu instid0(VALU_DEP_2)
	v_add_nc_u32_e32 v3, v3, v6
	v_cmpx_eq_u32_e64 v7, v0
	s_cbranch_execz .LBB45_2
; %bb.1:
	s_delay_alu instid0(VALU_DEP_3)
	v_lshlrev_b32_e32 v6, 2, v4
	ds_store_b32 v6, v3
.LBB45_2:
	s_or_b32 exec_lo, exec_lo, s0
	s_delay_alu instid0(SALU_CYCLE_1)
	s_mov_b32 s0, exec_lo
	s_waitcnt lgkmcnt(0)
	s_barrier
	buffer_gl0_inv
	v_cmpx_gt_u32_e32 8, v0
	s_cbranch_execz .LBB45_4
; %bb.3:
	v_lshlrev_b32_e32 v6, 2, v0
	ds_load_b32 v7, v6
	s_waitcnt lgkmcnt(0)
	v_mov_b32_dpp v8, v7 row_shr:1 row_mask:0xf bank_mask:0xf
	v_and_b32_e32 v5, 7, v5
	s_delay_alu instid0(VALU_DEP_1) | instskip(NEXT) | instid1(VALU_DEP_3)
	v_cmp_ne_u32_e32 vcc_lo, 0, v5
	v_cndmask_b32_e32 v8, 0, v8, vcc_lo
	v_cmp_lt_u32_e32 vcc_lo, 1, v5
	s_delay_alu instid0(VALU_DEP_2) | instskip(NEXT) | instid1(VALU_DEP_1)
	v_add_nc_u32_e32 v7, v8, v7
	v_mov_b32_dpp v8, v7 row_shr:2 row_mask:0xf bank_mask:0xf
	s_delay_alu instid0(VALU_DEP_1) | instskip(SKIP_1) | instid1(VALU_DEP_2)
	v_cndmask_b32_e32 v8, 0, v8, vcc_lo
	v_cmp_lt_u32_e32 vcc_lo, 3, v5
	v_add_nc_u32_e32 v7, v7, v8
	s_delay_alu instid0(VALU_DEP_1) | instskip(NEXT) | instid1(VALU_DEP_1)
	v_mov_b32_dpp v8, v7 row_shr:4 row_mask:0xf bank_mask:0xf
	v_cndmask_b32_e32 v5, 0, v8, vcc_lo
	s_delay_alu instid0(VALU_DEP_1)
	v_add_nc_u32_e32 v5, v7, v5
	ds_store_b32 v6, v5
.LBB45_4:
	s_or_b32 exec_lo, exec_lo, s0
	s_delay_alu instid0(SALU_CYCLE_1)
	s_mov_b32 s0, exec_lo
	s_waitcnt lgkmcnt(0)
	s_barrier
	buffer_gl0_inv
	v_cmpx_lt_u32_e32 31, v0
	s_cbranch_execz .LBB45_6
; %bb.5:
	v_lshl_add_u32 v4, v4, 2, -4
	ds_load_b32 v4, v4
	s_waitcnt lgkmcnt(0)
	v_add_nc_u32_e32 v3, v4, v3
.LBB45_6:
	s_or_b32 exec_lo, exec_lo, s0
	s_mov_b32 s5, 0
	global_store_b32 v[1:2], v3, off
	s_mov_b32 s0, exec_lo
	v_cmpx_eq_u32_e32 0, v0
	s_cbranch_execz .LBB45_8
; %bb.7:
	v_mov_b32_e32 v0, 0
	s_lshl_b64 s[0:1], s[4:5], 2
	s_delay_alu instid0(SALU_CYCLE_1)
	s_add_u32 s0, s2, s0
	s_addc_u32 s1, s3, s1
	ds_load_b32 v1, v0 offset:28
	s_waitcnt lgkmcnt(0)
	global_store_b32 v0, v1, s[0:1]
.LBB45_8:
	s_nop 0
	s_sendmsg sendmsg(MSG_DEALLOC_VGPRS)
	s_endpgm
	.section	.rodata,"a",@progbits
	.p2align	6, 0x0
	.amdhsa_kernel _Z28inclusive_scan_reduce_kernelILj256ELN6hipcub18BlockScanAlgorithmE0EiEvPT1_S3_
		.amdhsa_group_segment_fixed_size 32
		.amdhsa_private_segment_fixed_size 0
		.amdhsa_kernarg_size 16
		.amdhsa_user_sgpr_count 15
		.amdhsa_user_sgpr_dispatch_ptr 0
		.amdhsa_user_sgpr_queue_ptr 0
		.amdhsa_user_sgpr_kernarg_segment_ptr 1
		.amdhsa_user_sgpr_dispatch_id 0
		.amdhsa_user_sgpr_private_segment_size 0
		.amdhsa_wavefront_size32 1
		.amdhsa_uses_dynamic_stack 0
		.amdhsa_enable_private_segment 0
		.amdhsa_system_sgpr_workgroup_id_x 1
		.amdhsa_system_sgpr_workgroup_id_y 0
		.amdhsa_system_sgpr_workgroup_id_z 0
		.amdhsa_system_sgpr_workgroup_info 0
		.amdhsa_system_vgpr_workitem_id 0
		.amdhsa_next_free_vgpr 9
		.amdhsa_next_free_sgpr 16
		.amdhsa_reserve_vcc 1
		.amdhsa_float_round_mode_32 0
		.amdhsa_float_round_mode_16_64 0
		.amdhsa_float_denorm_mode_32 3
		.amdhsa_float_denorm_mode_16_64 3
		.amdhsa_dx10_clamp 1
		.amdhsa_ieee_mode 1
		.amdhsa_fp16_overflow 0
		.amdhsa_workgroup_processor_mode 1
		.amdhsa_memory_ordered 1
		.amdhsa_forward_progress 0
		.amdhsa_shared_vgpr_count 0
		.amdhsa_exception_fp_ieee_invalid_op 0
		.amdhsa_exception_fp_denorm_src 0
		.amdhsa_exception_fp_ieee_div_zero 0
		.amdhsa_exception_fp_ieee_overflow 0
		.amdhsa_exception_fp_ieee_underflow 0
		.amdhsa_exception_fp_ieee_inexact 0
		.amdhsa_exception_int_div_zero 0
	.end_amdhsa_kernel
	.section	.text._Z28inclusive_scan_reduce_kernelILj256ELN6hipcub18BlockScanAlgorithmE0EiEvPT1_S3_,"axG",@progbits,_Z28inclusive_scan_reduce_kernelILj256ELN6hipcub18BlockScanAlgorithmE0EiEvPT1_S3_,comdat
.Lfunc_end45:
	.size	_Z28inclusive_scan_reduce_kernelILj256ELN6hipcub18BlockScanAlgorithmE0EiEvPT1_S3_, .Lfunc_end45-_Z28inclusive_scan_reduce_kernelILj256ELN6hipcub18BlockScanAlgorithmE0EiEvPT1_S3_
                                        ; -- End function
	.section	.AMDGPU.csdata,"",@progbits
; Kernel info:
; codeLenInByte = 540
; NumSgprs: 18
; NumVgprs: 9
; ScratchSize: 0
; MemoryBound: 0
; FloatMode: 240
; IeeeMode: 1
; LDSByteSize: 32 bytes/workgroup (compile time only)
; SGPRBlocks: 2
; VGPRBlocks: 1
; NumSGPRsForWavesPerEU: 18
; NumVGPRsForWavesPerEU: 9
; Occupancy: 16
; WaveLimiterHint : 0
; COMPUTE_PGM_RSRC2:SCRATCH_EN: 0
; COMPUTE_PGM_RSRC2:USER_SGPR: 15
; COMPUTE_PGM_RSRC2:TRAP_HANDLER: 0
; COMPUTE_PGM_RSRC2:TGID_X_EN: 1
; COMPUTE_PGM_RSRC2:TGID_Y_EN: 0
; COMPUTE_PGM_RSRC2:TGID_Z_EN: 0
; COMPUTE_PGM_RSRC2:TIDIG_COMP_CNT: 0
	.section	.text._Z28inclusive_scan_reduce_kernelILj128ELN6hipcub18BlockScanAlgorithmE0EiEvPT1_S3_,"axG",@progbits,_Z28inclusive_scan_reduce_kernelILj128ELN6hipcub18BlockScanAlgorithmE0EiEvPT1_S3_,comdat
	.protected	_Z28inclusive_scan_reduce_kernelILj128ELN6hipcub18BlockScanAlgorithmE0EiEvPT1_S3_ ; -- Begin function _Z28inclusive_scan_reduce_kernelILj128ELN6hipcub18BlockScanAlgorithmE0EiEvPT1_S3_
	.globl	_Z28inclusive_scan_reduce_kernelILj128ELN6hipcub18BlockScanAlgorithmE0EiEvPT1_S3_
	.p2align	8
	.type	_Z28inclusive_scan_reduce_kernelILj128ELN6hipcub18BlockScanAlgorithmE0EiEvPT1_S3_,@function
_Z28inclusive_scan_reduce_kernelILj128ELN6hipcub18BlockScanAlgorithmE0EiEvPT1_S3_: ; @_Z28inclusive_scan_reduce_kernelILj128ELN6hipcub18BlockScanAlgorithmE0EiEvPT1_S3_
; %bb.0:
	s_load_b128 s[0:3], s[0:1], 0x0
	s_mov_b32 s4, s15
	v_mov_b32_e32 v2, 0
	v_lshl_or_b32 v1, s4, 7, v0
	v_mbcnt_lo_u32_b32 v5, -1, 0
	v_or_b32_e32 v7, 31, v0
	s_delay_alu instid0(VALU_DEP_3) | instskip(NEXT) | instid1(VALU_DEP_3)
	v_lshlrev_b64 v[1:2], 2, v[1:2]
	v_and_b32_e32 v4, 15, v5
	s_waitcnt lgkmcnt(0)
	s_delay_alu instid0(VALU_DEP_2) | instskip(NEXT) | instid1(VALU_DEP_3)
	v_add_co_u32 v1, vcc_lo, s0, v1
	v_add_co_ci_u32_e32 v2, vcc_lo, s1, v2, vcc_lo
	s_delay_alu instid0(VALU_DEP_3) | instskip(SKIP_4) | instid1(VALU_DEP_1)
	v_cmp_ne_u32_e32 vcc_lo, 0, v4
	s_mov_b32 s0, exec_lo
	global_load_b32 v3, v[1:2], off
	s_waitcnt vmcnt(0)
	v_mov_b32_dpp v6, v3 row_shr:1 row_mask:0xf bank_mask:0xf
	v_cndmask_b32_e32 v6, 0, v6, vcc_lo
	v_cmp_lt_u32_e32 vcc_lo, 1, v4
	s_delay_alu instid0(VALU_DEP_2) | instskip(NEXT) | instid1(VALU_DEP_1)
	v_add_nc_u32_e32 v3, v6, v3
	v_mov_b32_dpp v6, v3 row_shr:2 row_mask:0xf bank_mask:0xf
	s_delay_alu instid0(VALU_DEP_1) | instskip(SKIP_1) | instid1(VALU_DEP_2)
	v_cndmask_b32_e32 v6, 0, v6, vcc_lo
	v_cmp_lt_u32_e32 vcc_lo, 3, v4
	v_add_nc_u32_e32 v3, v3, v6
	s_delay_alu instid0(VALU_DEP_1) | instskip(NEXT) | instid1(VALU_DEP_1)
	v_mov_b32_dpp v6, v3 row_shr:4 row_mask:0xf bank_mask:0xf
	v_cndmask_b32_e32 v6, 0, v6, vcc_lo
	v_cmp_lt_u32_e32 vcc_lo, 7, v4
	s_delay_alu instid0(VALU_DEP_2) | instskip(NEXT) | instid1(VALU_DEP_1)
	v_add_nc_u32_e32 v3, v3, v6
	v_mov_b32_dpp v6, v3 row_shr:8 row_mask:0xf bank_mask:0xf
	s_delay_alu instid0(VALU_DEP_1) | instskip(SKIP_1) | instid1(VALU_DEP_2)
	v_cndmask_b32_e32 v4, 0, v6, vcc_lo
	v_bfe_i32 v6, v5, 4, 1
	v_add_nc_u32_e32 v3, v3, v4
	ds_swizzle_b32 v4, v3 offset:swizzle(BROADCAST,32,15)
	s_waitcnt lgkmcnt(0)
	v_and_b32_e32 v6, v6, v4
	v_lshrrev_b32_e32 v4, 5, v0
	s_delay_alu instid0(VALU_DEP_2)
	v_add_nc_u32_e32 v3, v3, v6
	v_cmpx_eq_u32_e64 v7, v0
	s_cbranch_execz .LBB46_2
; %bb.1:
	s_delay_alu instid0(VALU_DEP_3)
	v_lshlrev_b32_e32 v6, 2, v4
	ds_store_b32 v6, v3
.LBB46_2:
	s_or_b32 exec_lo, exec_lo, s0
	s_delay_alu instid0(SALU_CYCLE_1)
	s_mov_b32 s0, exec_lo
	s_waitcnt lgkmcnt(0)
	s_barrier
	buffer_gl0_inv
	v_cmpx_gt_u32_e32 4, v0
	s_cbranch_execz .LBB46_4
; %bb.3:
	v_lshlrev_b32_e32 v6, 2, v0
	ds_load_b32 v7, v6
	s_waitcnt lgkmcnt(0)
	v_mov_b32_dpp v8, v7 row_shr:1 row_mask:0xf bank_mask:0xf
	v_and_b32_e32 v5, 3, v5
	s_delay_alu instid0(VALU_DEP_1) | instskip(NEXT) | instid1(VALU_DEP_3)
	v_cmp_ne_u32_e32 vcc_lo, 0, v5
	v_cndmask_b32_e32 v8, 0, v8, vcc_lo
	v_cmp_lt_u32_e32 vcc_lo, 1, v5
	s_delay_alu instid0(VALU_DEP_2) | instskip(NEXT) | instid1(VALU_DEP_1)
	v_add_nc_u32_e32 v7, v8, v7
	v_mov_b32_dpp v8, v7 row_shr:2 row_mask:0xf bank_mask:0xf
	s_delay_alu instid0(VALU_DEP_1) | instskip(NEXT) | instid1(VALU_DEP_1)
	v_cndmask_b32_e32 v5, 0, v8, vcc_lo
	v_add_nc_u32_e32 v5, v7, v5
	ds_store_b32 v6, v5
.LBB46_4:
	s_or_b32 exec_lo, exec_lo, s0
	s_delay_alu instid0(SALU_CYCLE_1)
	s_mov_b32 s0, exec_lo
	s_waitcnt lgkmcnt(0)
	s_barrier
	buffer_gl0_inv
	v_cmpx_lt_u32_e32 31, v0
	s_cbranch_execz .LBB46_6
; %bb.5:
	v_lshl_add_u32 v4, v4, 2, -4
	ds_load_b32 v4, v4
	s_waitcnt lgkmcnt(0)
	v_add_nc_u32_e32 v3, v4, v3
.LBB46_6:
	s_or_b32 exec_lo, exec_lo, s0
	s_mov_b32 s5, 0
	global_store_b32 v[1:2], v3, off
	s_mov_b32 s0, exec_lo
	v_cmpx_eq_u32_e32 0, v0
	s_cbranch_execz .LBB46_8
; %bb.7:
	v_mov_b32_e32 v0, 0
	s_lshl_b64 s[0:1], s[4:5], 2
	s_delay_alu instid0(SALU_CYCLE_1)
	s_add_u32 s0, s2, s0
	s_addc_u32 s1, s3, s1
	ds_load_b32 v1, v0 offset:12
	s_waitcnt lgkmcnt(0)
	global_store_b32 v0, v1, s[0:1]
.LBB46_8:
	s_nop 0
	s_sendmsg sendmsg(MSG_DEALLOC_VGPRS)
	s_endpgm
	.section	.rodata,"a",@progbits
	.p2align	6, 0x0
	.amdhsa_kernel _Z28inclusive_scan_reduce_kernelILj128ELN6hipcub18BlockScanAlgorithmE0EiEvPT1_S3_
		.amdhsa_group_segment_fixed_size 16
		.amdhsa_private_segment_fixed_size 0
		.amdhsa_kernarg_size 16
		.amdhsa_user_sgpr_count 15
		.amdhsa_user_sgpr_dispatch_ptr 0
		.amdhsa_user_sgpr_queue_ptr 0
		.amdhsa_user_sgpr_kernarg_segment_ptr 1
		.amdhsa_user_sgpr_dispatch_id 0
		.amdhsa_user_sgpr_private_segment_size 0
		.amdhsa_wavefront_size32 1
		.amdhsa_uses_dynamic_stack 0
		.amdhsa_enable_private_segment 0
		.amdhsa_system_sgpr_workgroup_id_x 1
		.amdhsa_system_sgpr_workgroup_id_y 0
		.amdhsa_system_sgpr_workgroup_id_z 0
		.amdhsa_system_sgpr_workgroup_info 0
		.amdhsa_system_vgpr_workitem_id 0
		.amdhsa_next_free_vgpr 9
		.amdhsa_next_free_sgpr 16
		.amdhsa_reserve_vcc 1
		.amdhsa_float_round_mode_32 0
		.amdhsa_float_round_mode_16_64 0
		.amdhsa_float_denorm_mode_32 3
		.amdhsa_float_denorm_mode_16_64 3
		.amdhsa_dx10_clamp 1
		.amdhsa_ieee_mode 1
		.amdhsa_fp16_overflow 0
		.amdhsa_workgroup_processor_mode 1
		.amdhsa_memory_ordered 1
		.amdhsa_forward_progress 0
		.amdhsa_shared_vgpr_count 0
		.amdhsa_exception_fp_ieee_invalid_op 0
		.amdhsa_exception_fp_denorm_src 0
		.amdhsa_exception_fp_ieee_div_zero 0
		.amdhsa_exception_fp_ieee_overflow 0
		.amdhsa_exception_fp_ieee_underflow 0
		.amdhsa_exception_fp_ieee_inexact 0
		.amdhsa_exception_int_div_zero 0
	.end_amdhsa_kernel
	.section	.text._Z28inclusive_scan_reduce_kernelILj128ELN6hipcub18BlockScanAlgorithmE0EiEvPT1_S3_,"axG",@progbits,_Z28inclusive_scan_reduce_kernelILj128ELN6hipcub18BlockScanAlgorithmE0EiEvPT1_S3_,comdat
.Lfunc_end46:
	.size	_Z28inclusive_scan_reduce_kernelILj128ELN6hipcub18BlockScanAlgorithmE0EiEvPT1_S3_, .Lfunc_end46-_Z28inclusive_scan_reduce_kernelILj128ELN6hipcub18BlockScanAlgorithmE0EiEvPT1_S3_
                                        ; -- End function
	.section	.AMDGPU.csdata,"",@progbits
; Kernel info:
; codeLenInByte = 512
; NumSgprs: 18
; NumVgprs: 9
; ScratchSize: 0
; MemoryBound: 0
; FloatMode: 240
; IeeeMode: 1
; LDSByteSize: 16 bytes/workgroup (compile time only)
; SGPRBlocks: 2
; VGPRBlocks: 1
; NumSGPRsForWavesPerEU: 18
; NumVGPRsForWavesPerEU: 9
; Occupancy: 16
; WaveLimiterHint : 0
; COMPUTE_PGM_RSRC2:SCRATCH_EN: 0
; COMPUTE_PGM_RSRC2:USER_SGPR: 15
; COMPUTE_PGM_RSRC2:TRAP_HANDLER: 0
; COMPUTE_PGM_RSRC2:TGID_X_EN: 1
; COMPUTE_PGM_RSRC2:TGID_Y_EN: 0
; COMPUTE_PGM_RSRC2:TGID_Z_EN: 0
; COMPUTE_PGM_RSRC2:TIDIG_COMP_CNT: 0
	.section	.text._Z28inclusive_scan_reduce_kernelILj64ELN6hipcub18BlockScanAlgorithmE0EiEvPT1_S3_,"axG",@progbits,_Z28inclusive_scan_reduce_kernelILj64ELN6hipcub18BlockScanAlgorithmE0EiEvPT1_S3_,comdat
	.protected	_Z28inclusive_scan_reduce_kernelILj64ELN6hipcub18BlockScanAlgorithmE0EiEvPT1_S3_ ; -- Begin function _Z28inclusive_scan_reduce_kernelILj64ELN6hipcub18BlockScanAlgorithmE0EiEvPT1_S3_
	.globl	_Z28inclusive_scan_reduce_kernelILj64ELN6hipcub18BlockScanAlgorithmE0EiEvPT1_S3_
	.p2align	8
	.type	_Z28inclusive_scan_reduce_kernelILj64ELN6hipcub18BlockScanAlgorithmE0EiEvPT1_S3_,@function
_Z28inclusive_scan_reduce_kernelILj64ELN6hipcub18BlockScanAlgorithmE0EiEvPT1_S3_: ; @_Z28inclusive_scan_reduce_kernelILj64ELN6hipcub18BlockScanAlgorithmE0EiEvPT1_S3_
; %bb.0:
	s_load_b128 s[0:3], s[0:1], 0x0
	s_mov_b32 s4, s15
	v_mbcnt_lo_u32_b32 v4, -1, 0
	v_mov_b32_e32 v2, 0
	v_lshl_or_b32 v1, s4, 6, v0
	v_or_b32_e32 v7, 31, v0
	s_delay_alu instid0(VALU_DEP_4) | instskip(NEXT) | instid1(VALU_DEP_3)
	v_and_b32_e32 v5, 15, v4
	v_lshlrev_b64 v[1:2], 2, v[1:2]
	s_waitcnt lgkmcnt(0)
	s_delay_alu instid0(VALU_DEP_1) | instskip(NEXT) | instid1(VALU_DEP_2)
	v_add_co_u32 v1, vcc_lo, s0, v1
	v_add_co_ci_u32_e32 v2, vcc_lo, s1, v2, vcc_lo
	v_cmp_ne_u32_e32 vcc_lo, 0, v5
	s_mov_b32 s0, exec_lo
	global_load_b32 v3, v[1:2], off
	s_waitcnt vmcnt(0)
	v_mov_b32_dpp v6, v3 row_shr:1 row_mask:0xf bank_mask:0xf
	s_delay_alu instid0(VALU_DEP_1) | instskip(SKIP_1) | instid1(VALU_DEP_2)
	v_cndmask_b32_e32 v6, 0, v6, vcc_lo
	v_cmp_lt_u32_e32 vcc_lo, 1, v5
	v_add_nc_u32_e32 v3, v6, v3
	s_delay_alu instid0(VALU_DEP_1) | instskip(NEXT) | instid1(VALU_DEP_1)
	v_mov_b32_dpp v6, v3 row_shr:2 row_mask:0xf bank_mask:0xf
	v_cndmask_b32_e32 v6, 0, v6, vcc_lo
	v_cmp_lt_u32_e32 vcc_lo, 3, v5
	s_delay_alu instid0(VALU_DEP_2) | instskip(NEXT) | instid1(VALU_DEP_1)
	v_add_nc_u32_e32 v3, v3, v6
	v_mov_b32_dpp v6, v3 row_shr:4 row_mask:0xf bank_mask:0xf
	s_delay_alu instid0(VALU_DEP_1) | instskip(SKIP_1) | instid1(VALU_DEP_2)
	v_cndmask_b32_e32 v6, 0, v6, vcc_lo
	v_cmp_lt_u32_e32 vcc_lo, 7, v5
	v_add_nc_u32_e32 v3, v3, v6
	s_delay_alu instid0(VALU_DEP_1) | instskip(NEXT) | instid1(VALU_DEP_1)
	v_mov_b32_dpp v6, v3 row_shr:8 row_mask:0xf bank_mask:0xf
	v_cndmask_b32_e32 v5, 0, v6, vcc_lo
	v_bfe_i32 v6, v4, 4, 1
	s_delay_alu instid0(VALU_DEP_2) | instskip(SKIP_4) | instid1(VALU_DEP_2)
	v_add_nc_u32_e32 v3, v3, v5
	ds_swizzle_b32 v5, v3 offset:swizzle(BROADCAST,32,15)
	s_waitcnt lgkmcnt(0)
	v_and_b32_e32 v6, v6, v5
	v_lshrrev_b32_e32 v5, 5, v0
	v_add_nc_u32_e32 v3, v3, v6
	v_cmpx_eq_u32_e64 v7, v0
	s_cbranch_execz .LBB47_2
; %bb.1:
	s_delay_alu instid0(VALU_DEP_3)
	v_lshlrev_b32_e32 v6, 2, v5
	ds_store_b32 v6, v3
.LBB47_2:
	s_or_b32 exec_lo, exec_lo, s0
	s_delay_alu instid0(SALU_CYCLE_1)
	s_mov_b32 s0, exec_lo
	s_waitcnt lgkmcnt(0)
	s_barrier
	buffer_gl0_inv
	v_cmpx_gt_u32_e32 2, v0
	s_cbranch_execz .LBB47_4
; %bb.3:
	v_lshlrev_b32_e32 v6, 2, v0
	v_bfe_i32 v4, v4, 0, 1
	ds_load_b32 v7, v6
	s_waitcnt lgkmcnt(0)
	v_mov_b32_dpp v8, v7 row_shr:1 row_mask:0xf bank_mask:0xf
	s_delay_alu instid0(VALU_DEP_1) | instskip(NEXT) | instid1(VALU_DEP_1)
	v_and_b32_e32 v4, v4, v8
	v_add_nc_u32_e32 v4, v4, v7
	ds_store_b32 v6, v4
.LBB47_4:
	s_or_b32 exec_lo, exec_lo, s0
	s_delay_alu instid0(SALU_CYCLE_1)
	s_mov_b32 s0, exec_lo
	s_waitcnt lgkmcnt(0)
	s_barrier
	buffer_gl0_inv
	v_cmpx_lt_u32_e32 31, v0
	s_cbranch_execz .LBB47_6
; %bb.5:
	v_lshl_add_u32 v4, v5, 2, -4
	ds_load_b32 v4, v4
	s_waitcnt lgkmcnt(0)
	v_add_nc_u32_e32 v3, v4, v3
.LBB47_6:
	s_or_b32 exec_lo, exec_lo, s0
	s_mov_b32 s5, 0
	global_store_b32 v[1:2], v3, off
	s_mov_b32 s0, exec_lo
	v_cmpx_eq_u32_e32 0, v0
	s_cbranch_execz .LBB47_8
; %bb.7:
	v_mov_b32_e32 v0, 0
	s_lshl_b64 s[0:1], s[4:5], 2
	s_delay_alu instid0(SALU_CYCLE_1)
	s_add_u32 s0, s2, s0
	s_addc_u32 s1, s3, s1
	ds_load_b32 v1, v0 offset:4
	s_waitcnt lgkmcnt(0)
	global_store_b32 v0, v1, s[0:1]
.LBB47_8:
	s_nop 0
	s_sendmsg sendmsg(MSG_DEALLOC_VGPRS)
	s_endpgm
	.section	.rodata,"a",@progbits
	.p2align	6, 0x0
	.amdhsa_kernel _Z28inclusive_scan_reduce_kernelILj64ELN6hipcub18BlockScanAlgorithmE0EiEvPT1_S3_
		.amdhsa_group_segment_fixed_size 8
		.amdhsa_private_segment_fixed_size 0
		.amdhsa_kernarg_size 16
		.amdhsa_user_sgpr_count 15
		.amdhsa_user_sgpr_dispatch_ptr 0
		.amdhsa_user_sgpr_queue_ptr 0
		.amdhsa_user_sgpr_kernarg_segment_ptr 1
		.amdhsa_user_sgpr_dispatch_id 0
		.amdhsa_user_sgpr_private_segment_size 0
		.amdhsa_wavefront_size32 1
		.amdhsa_uses_dynamic_stack 0
		.amdhsa_enable_private_segment 0
		.amdhsa_system_sgpr_workgroup_id_x 1
		.amdhsa_system_sgpr_workgroup_id_y 0
		.amdhsa_system_sgpr_workgroup_id_z 0
		.amdhsa_system_sgpr_workgroup_info 0
		.amdhsa_system_vgpr_workitem_id 0
		.amdhsa_next_free_vgpr 9
		.amdhsa_next_free_sgpr 16
		.amdhsa_reserve_vcc 1
		.amdhsa_float_round_mode_32 0
		.amdhsa_float_round_mode_16_64 0
		.amdhsa_float_denorm_mode_32 3
		.amdhsa_float_denorm_mode_16_64 3
		.amdhsa_dx10_clamp 1
		.amdhsa_ieee_mode 1
		.amdhsa_fp16_overflow 0
		.amdhsa_workgroup_processor_mode 1
		.amdhsa_memory_ordered 1
		.amdhsa_forward_progress 0
		.amdhsa_shared_vgpr_count 0
		.amdhsa_exception_fp_ieee_invalid_op 0
		.amdhsa_exception_fp_denorm_src 0
		.amdhsa_exception_fp_ieee_div_zero 0
		.amdhsa_exception_fp_ieee_overflow 0
		.amdhsa_exception_fp_ieee_underflow 0
		.amdhsa_exception_fp_ieee_inexact 0
		.amdhsa_exception_int_div_zero 0
	.end_amdhsa_kernel
	.section	.text._Z28inclusive_scan_reduce_kernelILj64ELN6hipcub18BlockScanAlgorithmE0EiEvPT1_S3_,"axG",@progbits,_Z28inclusive_scan_reduce_kernelILj64ELN6hipcub18BlockScanAlgorithmE0EiEvPT1_S3_,comdat
.Lfunc_end47:
	.size	_Z28inclusive_scan_reduce_kernelILj64ELN6hipcub18BlockScanAlgorithmE0EiEvPT1_S3_, .Lfunc_end47-_Z28inclusive_scan_reduce_kernelILj64ELN6hipcub18BlockScanAlgorithmE0EiEvPT1_S3_
                                        ; -- End function
	.section	.AMDGPU.csdata,"",@progbits
; Kernel info:
; codeLenInByte = 480
; NumSgprs: 18
; NumVgprs: 9
; ScratchSize: 0
; MemoryBound: 0
; FloatMode: 240
; IeeeMode: 1
; LDSByteSize: 8 bytes/workgroup (compile time only)
; SGPRBlocks: 2
; VGPRBlocks: 1
; NumSGPRsForWavesPerEU: 18
; NumVGPRsForWavesPerEU: 9
; Occupancy: 16
; WaveLimiterHint : 0
; COMPUTE_PGM_RSRC2:SCRATCH_EN: 0
; COMPUTE_PGM_RSRC2:USER_SGPR: 15
; COMPUTE_PGM_RSRC2:TRAP_HANDLER: 0
; COMPUTE_PGM_RSRC2:TGID_X_EN: 1
; COMPUTE_PGM_RSRC2:TGID_Y_EN: 0
; COMPUTE_PGM_RSRC2:TGID_Z_EN: 0
; COMPUTE_PGM_RSRC2:TIDIG_COMP_CNT: 0
	.section	.text._Z37inclusive_scan_prefix_callback_kernelILj377ELN6hipcub18BlockScanAlgorithmE1EhEvPT1_S3_S2_,"axG",@progbits,_Z37inclusive_scan_prefix_callback_kernelILj377ELN6hipcub18BlockScanAlgorithmE1EhEvPT1_S3_S2_,comdat
	.protected	_Z37inclusive_scan_prefix_callback_kernelILj377ELN6hipcub18BlockScanAlgorithmE1EhEvPT1_S3_S2_ ; -- Begin function _Z37inclusive_scan_prefix_callback_kernelILj377ELN6hipcub18BlockScanAlgorithmE1EhEvPT1_S3_S2_
	.globl	_Z37inclusive_scan_prefix_callback_kernelILj377ELN6hipcub18BlockScanAlgorithmE1EhEvPT1_S3_S2_
	.p2align	8
	.type	_Z37inclusive_scan_prefix_callback_kernelILj377ELN6hipcub18BlockScanAlgorithmE1EhEvPT1_S3_S2_,@function
_Z37inclusive_scan_prefix_callback_kernelILj377ELN6hipcub18BlockScanAlgorithmE1EhEvPT1_S3_S2_: ; @_Z37inclusive_scan_prefix_callback_kernelILj377ELN6hipcub18BlockScanAlgorithmE1EhEvPT1_S3_S2_
; %bb.0:
	s_load_b128 s[4:7], s[0:1], 0x0
	v_mad_u64_u32 v[1:2], null, 0x179, s15, v[0:1]
	v_cmp_gt_u32_e32 vcc_lo, 32, v0
	s_waitcnt lgkmcnt(0)
	global_load_u8 v3, v1, s[4:5]
	v_add_co_u32 v1, s2, s4, v1
	s_delay_alu instid0(VALU_DEP_1)
	v_add_co_ci_u32_e64 v2, null, s5, 0, s2
	s_waitcnt vmcnt(0)
	ds_store_b8 v0, v3
	s_waitcnt lgkmcnt(0)
	s_barrier
	buffer_gl0_inv
	s_and_saveexec_b32 s3, vcc_lo
	s_cbranch_execz .LBB48_2
; %bb.1:
	v_mul_u32_u24_e32 v7, 12, v0
	v_mbcnt_lo_u32_b32 v18, -1, 0
	ds_load_b96 v[4:6], v7
	v_and_b32_e32 v20, 15, v18
	v_add_nc_u32_e32 v21, -1, v18
	s_delay_alu instid0(VALU_DEP_2)
	v_cmp_ne_u32_e64 s2, 0, v20
	s_waitcnt lgkmcnt(0)
	v_lshrrev_b32_e32 v8, 8, v4
	v_lshrrev_b32_e32 v9, 16, v4
	;; [unrolled: 1-line block ×5, first 2 shown]
	v_add_nc_u16 v10, v8, v4
	v_lshrrev_b32_e32 v14, 24, v5
	v_lshrrev_b32_e32 v15, 8, v6
	;; [unrolled: 1-line block ×4, first 2 shown]
	v_add_nc_u16 v10, v10, v9
	s_delay_alu instid0(VALU_DEP_1) | instskip(NEXT) | instid1(VALU_DEP_1)
	v_add_nc_u16 v10, v10, v11
	v_add_nc_u16 v10, v10, v5
	s_delay_alu instid0(VALU_DEP_1) | instskip(NEXT) | instid1(VALU_DEP_1)
	v_add_nc_u16 v10, v10, v12
	;; [unrolled: 3-line block ×5, first 2 shown]
	v_and_b32_e32 v19, 0xff, v10
	s_delay_alu instid0(VALU_DEP_1) | instskip(NEXT) | instid1(VALU_DEP_1)
	v_mov_b32_dpp v19, v19 row_shr:1 row_mask:0xf bank_mask:0xf
	v_cndmask_b32_e64 v19, 0, v19, s2
	v_cmp_lt_u32_e64 s2, 1, v20
	s_delay_alu instid0(VALU_DEP_2) | instskip(NEXT) | instid1(VALU_DEP_1)
	v_add_nc_u16 v10, v19, v10
	v_and_b32_e32 v19, 0xff, v10
	s_delay_alu instid0(VALU_DEP_1) | instskip(NEXT) | instid1(VALU_DEP_1)
	v_mov_b32_dpp v19, v19 row_shr:2 row_mask:0xf bank_mask:0xf
	v_cndmask_b32_e64 v19, 0, v19, s2
	v_cmp_lt_u32_e64 s2, 3, v20
	s_delay_alu instid0(VALU_DEP_2) | instskip(NEXT) | instid1(VALU_DEP_1)
	v_add_nc_u16 v10, v10, v19
	v_and_b32_e32 v19, 0xff, v10
	s_delay_alu instid0(VALU_DEP_1) | instskip(NEXT) | instid1(VALU_DEP_1)
	v_mov_b32_dpp v19, v19 row_shr:4 row_mask:0xf bank_mask:0xf
	v_cndmask_b32_e64 v19, 0, v19, s2
	v_cmp_lt_u32_e64 s2, 7, v20
	v_and_b32_e32 v20, 16, v18
	s_delay_alu instid0(VALU_DEP_3) | instskip(NEXT) | instid1(VALU_DEP_1)
	v_add_nc_u16 v10, v10, v19
	v_and_b32_e32 v19, 0xff, v10
	s_delay_alu instid0(VALU_DEP_1) | instskip(NEXT) | instid1(VALU_DEP_1)
	v_mov_b32_dpp v19, v19 row_shr:8 row_mask:0xf bank_mask:0xf
	v_cndmask_b32_e64 v19, 0, v19, s2
	v_cmp_ne_u32_e64 s2, 0, v20
	s_delay_alu instid0(VALU_DEP_2) | instskip(NEXT) | instid1(VALU_DEP_1)
	v_add_nc_u16 v10, v10, v19
	v_and_b32_e32 v19, 0xff, v10
	ds_swizzle_b32 v19, v19 offset:swizzle(BROADCAST,32,15)
	s_waitcnt lgkmcnt(0)
	v_cndmask_b32_e64 v19, 0, v19, s2
	v_cmp_gt_i32_e64 s2, 0, v21
	s_delay_alu instid0(VALU_DEP_2) | instskip(NEXT) | instid1(VALU_DEP_2)
	v_add_nc_u16 v10, v10, v19
	v_cndmask_b32_e64 v18, v21, v18, s2
	v_cmp_eq_u32_e64 s2, 0, v0
	s_delay_alu instid0(VALU_DEP_3) | instskip(NEXT) | instid1(VALU_DEP_3)
	v_and_b32_e32 v10, 0xff, v10
	v_lshlrev_b32_e32 v18, 2, v18
	ds_bpermute_b32 v10, v18, v10
	s_waitcnt lgkmcnt(0)
	v_add_nc_u16 v4, v4, v10
	s_delay_alu instid0(VALU_DEP_1) | instskip(NEXT) | instid1(VALU_DEP_1)
	v_cndmask_b32_e64 v3, v4, v3, s2
	v_add_nc_u16 v4, v3, v8
	v_and_b32_e32 v3, 0xff, v3
	s_delay_alu instid0(VALU_DEP_2) | instskip(SKIP_1) | instid1(VALU_DEP_2)
	v_add_nc_u16 v8, v4, v9
	v_lshlrev_b16 v4, 8, v4
	v_add_nc_u16 v9, v8, v11
	s_delay_alu instid0(VALU_DEP_2) | instskip(SKIP_1) | instid1(VALU_DEP_3)
	v_or_b32_e32 v3, v3, v4
	v_and_b32_e32 v4, 0xff, v8
	v_add_nc_u16 v5, v9, v5
	v_lshlrev_b16 v9, 8, v9
	s_delay_alu instid0(VALU_DEP_4) | instskip(NEXT) | instid1(VALU_DEP_3)
	v_and_b32_e32 v3, 0xffff, v3
	v_add_nc_u16 v10, v5, v12
	v_and_b32_e32 v5, 0xff, v5
	s_delay_alu instid0(VALU_DEP_4) | instskip(NEXT) | instid1(VALU_DEP_3)
	v_or_b32_e32 v4, v4, v9
	v_add_nc_u16 v11, v10, v13
	v_lshlrev_b16 v10, 8, v10
	s_delay_alu instid0(VALU_DEP_3) | instskip(NEXT) | instid1(VALU_DEP_3)
	v_lshlrev_b32_e32 v4, 16, v4
	v_add_nc_u16 v12, v11, v14
	v_and_b32_e32 v11, 0xff, v11
	s_delay_alu instid0(VALU_DEP_4) | instskip(NEXT) | instid1(VALU_DEP_4)
	v_or_b32_e32 v5, v5, v10
	v_or_b32_e32 v3, v3, v4
	s_delay_alu instid0(VALU_DEP_4) | instskip(SKIP_1) | instid1(VALU_DEP_4)
	v_add_nc_u16 v6, v12, v6
	v_lshlrev_b16 v12, 8, v12
	v_and_b32_e32 v5, 0xffff, v5
	s_delay_alu instid0(VALU_DEP_3) | instskip(SKIP_1) | instid1(VALU_DEP_4)
	v_add_nc_u16 v13, v6, v15
	v_and_b32_e32 v6, 0xff, v6
	v_or_b32_e32 v9, v11, v12
	s_delay_alu instid0(VALU_DEP_3) | instskip(SKIP_1) | instid1(VALU_DEP_3)
	v_add_nc_u16 v8, v13, v16
	v_lshlrev_b16 v13, 8, v13
	v_lshlrev_b32_e32 v9, 16, v9
	s_delay_alu instid0(VALU_DEP_3) | instskip(SKIP_1) | instid1(VALU_DEP_4)
	v_add_nc_u16 v14, v8, v17
	v_and_b32_e32 v8, 0xff, v8
	v_or_b32_e32 v6, v6, v13
	s_delay_alu instid0(VALU_DEP_4) | instskip(NEXT) | instid1(VALU_DEP_4)
	v_or_b32_e32 v4, v5, v9
	v_lshlrev_b16 v14, 8, v14
	s_delay_alu instid0(VALU_DEP_3) | instskip(NEXT) | instid1(VALU_DEP_2)
	v_and_b32_e32 v6, 0xffff, v6
	v_or_b32_e32 v8, v8, v14
	s_delay_alu instid0(VALU_DEP_1) | instskip(NEXT) | instid1(VALU_DEP_1)
	v_lshlrev_b32_e32 v8, 16, v8
	v_or_b32_e32 v5, v6, v8
	ds_store_b96 v7, v[3:5]
.LBB48_2:
	s_or_b32 exec_lo, exec_lo, s3
	s_load_b32 s1, s[0:1], 0x10
	s_waitcnt lgkmcnt(0)
	s_barrier
	buffer_gl0_inv
	ds_load_u8 v3, v0
	v_mov_b32_e32 v4, s1
	s_and_saveexec_b32 s0, vcc_lo
	s_cbranch_execz .LBB48_6
; %bb.3:
	v_mov_b32_e32 v5, 0
	s_and_b32 s2, s1, 0xff
	s_mov_b32 s3, exec_lo
	ds_load_u8 v4, v5 offset:376
	v_cmpx_eq_u32_e32 0, v0
	s_cbranch_execz .LBB48_5
; %bb.4:
	v_mov_b32_e32 v6, s1
	ds_store_b8 v5, v6
.LBB48_5:
	s_or_b32 exec_lo, exec_lo, s3
	s_waitcnt lgkmcnt(0)
	v_add_nc_u32_e32 v4, s2, v4
.LBB48_6:
	s_or_b32 exec_lo, exec_lo, s0
	v_mov_b32_e32 v5, 0
	s_waitcnt lgkmcnt(0)
	s_barrier
	buffer_gl0_inv
	s_mov_b32 s0, exec_lo
	ds_load_u8 v5, v5
	s_waitcnt lgkmcnt(0)
	v_add_nc_u16 v3, v5, v3
	global_store_b8 v[1:2], v3, off
	v_cmpx_eq_u32_e32 0, v0
	s_cbranch_execz .LBB48_8
; %bb.7:
	v_mov_b32_e32 v0, s15
	global_store_b8 v0, v4, s[6:7]
.LBB48_8:
	s_nop 0
	s_sendmsg sendmsg(MSG_DEALLOC_VGPRS)
	s_endpgm
	.section	.rodata,"a",@progbits
	.p2align	6, 0x0
	.amdhsa_kernel _Z37inclusive_scan_prefix_callback_kernelILj377ELN6hipcub18BlockScanAlgorithmE1EhEvPT1_S3_S2_
		.amdhsa_group_segment_fixed_size 384
		.amdhsa_private_segment_fixed_size 0
		.amdhsa_kernarg_size 20
		.amdhsa_user_sgpr_count 15
		.amdhsa_user_sgpr_dispatch_ptr 0
		.amdhsa_user_sgpr_queue_ptr 0
		.amdhsa_user_sgpr_kernarg_segment_ptr 1
		.amdhsa_user_sgpr_dispatch_id 0
		.amdhsa_user_sgpr_private_segment_size 0
		.amdhsa_wavefront_size32 1
		.amdhsa_uses_dynamic_stack 0
		.amdhsa_enable_private_segment 0
		.amdhsa_system_sgpr_workgroup_id_x 1
		.amdhsa_system_sgpr_workgroup_id_y 0
		.amdhsa_system_sgpr_workgroup_id_z 0
		.amdhsa_system_sgpr_workgroup_info 0
		.amdhsa_system_vgpr_workitem_id 0
		.amdhsa_next_free_vgpr 22
		.amdhsa_next_free_sgpr 16
		.amdhsa_reserve_vcc 1
		.amdhsa_float_round_mode_32 0
		.amdhsa_float_round_mode_16_64 0
		.amdhsa_float_denorm_mode_32 3
		.amdhsa_float_denorm_mode_16_64 3
		.amdhsa_dx10_clamp 1
		.amdhsa_ieee_mode 1
		.amdhsa_fp16_overflow 0
		.amdhsa_workgroup_processor_mode 1
		.amdhsa_memory_ordered 1
		.amdhsa_forward_progress 0
		.amdhsa_shared_vgpr_count 0
		.amdhsa_exception_fp_ieee_invalid_op 0
		.amdhsa_exception_fp_denorm_src 0
		.amdhsa_exception_fp_ieee_div_zero 0
		.amdhsa_exception_fp_ieee_overflow 0
		.amdhsa_exception_fp_ieee_underflow 0
		.amdhsa_exception_fp_ieee_inexact 0
		.amdhsa_exception_int_div_zero 0
	.end_amdhsa_kernel
	.section	.text._Z37inclusive_scan_prefix_callback_kernelILj377ELN6hipcub18BlockScanAlgorithmE1EhEvPT1_S3_S2_,"axG",@progbits,_Z37inclusive_scan_prefix_callback_kernelILj377ELN6hipcub18BlockScanAlgorithmE1EhEvPT1_S3_S2_,comdat
.Lfunc_end48:
	.size	_Z37inclusive_scan_prefix_callback_kernelILj377ELN6hipcub18BlockScanAlgorithmE1EhEvPT1_S3_S2_, .Lfunc_end48-_Z37inclusive_scan_prefix_callback_kernelILj377ELN6hipcub18BlockScanAlgorithmE1EhEvPT1_S3_S2_
                                        ; -- End function
	.section	.AMDGPU.csdata,"",@progbits
; Kernel info:
; codeLenInByte = 1096
; NumSgprs: 18
; NumVgprs: 22
; ScratchSize: 0
; MemoryBound: 0
; FloatMode: 240
; IeeeMode: 1
; LDSByteSize: 384 bytes/workgroup (compile time only)
; SGPRBlocks: 2
; VGPRBlocks: 2
; NumSGPRsForWavesPerEU: 18
; NumVGPRsForWavesPerEU: 22
; Occupancy: 15
; WaveLimiterHint : 0
; COMPUTE_PGM_RSRC2:SCRATCH_EN: 0
; COMPUTE_PGM_RSRC2:USER_SGPR: 15
; COMPUTE_PGM_RSRC2:TRAP_HANDLER: 0
; COMPUTE_PGM_RSRC2:TGID_X_EN: 1
; COMPUTE_PGM_RSRC2:TGID_Y_EN: 0
; COMPUTE_PGM_RSRC2:TGID_Z_EN: 0
; COMPUTE_PGM_RSRC2:TIDIG_COMP_CNT: 0
	.section	.text._Z37inclusive_scan_prefix_callback_kernelILj377ELN6hipcub18BlockScanAlgorithmE1EiEvPT1_S3_S2_,"axG",@progbits,_Z37inclusive_scan_prefix_callback_kernelILj377ELN6hipcub18BlockScanAlgorithmE1EiEvPT1_S3_S2_,comdat
	.protected	_Z37inclusive_scan_prefix_callback_kernelILj377ELN6hipcub18BlockScanAlgorithmE1EiEvPT1_S3_S2_ ; -- Begin function _Z37inclusive_scan_prefix_callback_kernelILj377ELN6hipcub18BlockScanAlgorithmE1EiEvPT1_S3_S2_
	.globl	_Z37inclusive_scan_prefix_callback_kernelILj377ELN6hipcub18BlockScanAlgorithmE1EiEvPT1_S3_S2_
	.p2align	8
	.type	_Z37inclusive_scan_prefix_callback_kernelILj377ELN6hipcub18BlockScanAlgorithmE1EiEvPT1_S3_S2_,@function
_Z37inclusive_scan_prefix_callback_kernelILj377ELN6hipcub18BlockScanAlgorithmE1EiEvPT1_S3_S2_: ; @_Z37inclusive_scan_prefix_callback_kernelILj377ELN6hipcub18BlockScanAlgorithmE1EiEvPT1_S3_S2_
; %bb.0:
	s_load_b128 s[4:7], s[0:1], 0x0
	s_mov_b32 s8, s15
	v_lshlrev_b32_e32 v3, 2, v0
	v_mad_u64_u32 v[1:2], null, 0x179, s8, v[0:1]
	v_mov_b32_e32 v2, 0
	s_delay_alu instid0(VALU_DEP_1) | instskip(SKIP_1) | instid1(VALU_DEP_1)
	v_lshlrev_b64 v[1:2], 2, v[1:2]
	s_waitcnt lgkmcnt(0)
	v_add_co_u32 v1, vcc_lo, s4, v1
	s_delay_alu instid0(VALU_DEP_2)
	v_add_co_ci_u32_e32 v2, vcc_lo, s5, v2, vcc_lo
	v_cmp_gt_u32_e32 vcc_lo, 32, v0
	global_load_b32 v4, v[1:2], off
	s_waitcnt vmcnt(0)
	ds_store_b32 v3, v4
	s_waitcnt lgkmcnt(0)
	s_barrier
	buffer_gl0_inv
	s_and_saveexec_b32 s3, vcc_lo
	s_cbranch_execz .LBB49_2
; %bb.1:
	v_mul_u32_u24_e32 v5, 12, v0
	v_mbcnt_lo_u32_b32 v19, -1, 0
	s_delay_alu instid0(VALU_DEP_2) | instskip(NEXT) | instid1(VALU_DEP_2)
	v_lshlrev_b32_e32 v17, 2, v5
	v_and_b32_e32 v20, 15, v19
	v_bfe_i32 v22, v19, 4, 1
	ds_load_2addr_b32 v[5:6], v17 offset1:1
	ds_load_2addr_b32 v[7:8], v17 offset0:2 offset1:3
	ds_load_2addr_b32 v[9:10], v17 offset0:4 offset1:5
	;; [unrolled: 1-line block ×5, first 2 shown]
	v_cmp_ne_u32_e64 s2, 0, v20
	s_waitcnt lgkmcnt(5)
	v_add_nc_u32_e32 v18, v6, v5
	s_waitcnt lgkmcnt(4)
	s_delay_alu instid0(VALU_DEP_1) | instskip(SKIP_1) | instid1(VALU_DEP_1)
	v_add3_u32 v18, v18, v7, v8
	s_waitcnt lgkmcnt(3)
	v_add3_u32 v18, v18, v9, v10
	s_waitcnt lgkmcnt(2)
	s_delay_alu instid0(VALU_DEP_1) | instskip(SKIP_1) | instid1(VALU_DEP_1)
	v_add3_u32 v18, v18, v11, v12
	s_waitcnt lgkmcnt(1)
	v_add3_u32 v18, v18, v13, v14
	s_waitcnt lgkmcnt(0)
	s_delay_alu instid0(VALU_DEP_1) | instskip(NEXT) | instid1(VALU_DEP_1)
	v_add3_u32 v18, v18, v15, v16
	v_mov_b32_dpp v21, v18 row_shr:1 row_mask:0xf bank_mask:0xf
	s_delay_alu instid0(VALU_DEP_1) | instskip(SKIP_1) | instid1(VALU_DEP_2)
	v_cndmask_b32_e64 v21, 0, v21, s2
	v_cmp_lt_u32_e64 s2, 1, v20
	v_add_nc_u32_e32 v18, v21, v18
	s_delay_alu instid0(VALU_DEP_1) | instskip(NEXT) | instid1(VALU_DEP_1)
	v_mov_b32_dpp v21, v18 row_shr:2 row_mask:0xf bank_mask:0xf
	v_cndmask_b32_e64 v21, 0, v21, s2
	v_cmp_lt_u32_e64 s2, 3, v20
	s_delay_alu instid0(VALU_DEP_2) | instskip(NEXT) | instid1(VALU_DEP_1)
	v_add_nc_u32_e32 v18, v18, v21
	v_mov_b32_dpp v21, v18 row_shr:4 row_mask:0xf bank_mask:0xf
	s_delay_alu instid0(VALU_DEP_1) | instskip(SKIP_1) | instid1(VALU_DEP_2)
	v_cndmask_b32_e64 v21, 0, v21, s2
	v_cmp_lt_u32_e64 s2, 7, v20
	v_add_nc_u32_e32 v18, v18, v21
	s_delay_alu instid0(VALU_DEP_1) | instskip(NEXT) | instid1(VALU_DEP_1)
	v_mov_b32_dpp v21, v18 row_shr:8 row_mask:0xf bank_mask:0xf
	v_cndmask_b32_e64 v20, 0, v21, s2
	v_add_nc_u32_e32 v21, -1, v19
	s_delay_alu instid0(VALU_DEP_2) | instskip(NEXT) | instid1(VALU_DEP_2)
	v_add_nc_u32_e32 v18, v18, v20
	v_cmp_gt_i32_e64 s2, 0, v21
	ds_swizzle_b32 v20, v18 offset:swizzle(BROADCAST,32,15)
	v_cndmask_b32_e64 v19, v21, v19, s2
	v_cmp_eq_u32_e64 s2, 0, v0
	s_delay_alu instid0(VALU_DEP_2) | instskip(SKIP_2) | instid1(VALU_DEP_1)
	v_lshlrev_b32_e32 v19, 2, v19
	s_waitcnt lgkmcnt(0)
	v_and_b32_e32 v20, v22, v20
	v_add_nc_u32_e32 v18, v18, v20
	ds_bpermute_b32 v18, v19, v18
	s_waitcnt lgkmcnt(0)
	v_add_nc_u32_e32 v5, v18, v5
	s_delay_alu instid0(VALU_DEP_1) | instskip(NEXT) | instid1(VALU_DEP_1)
	v_cndmask_b32_e64 v4, v5, v4, s2
	v_add_nc_u32_e32 v5, v4, v6
	s_delay_alu instid0(VALU_DEP_1) | instskip(NEXT) | instid1(VALU_DEP_1)
	v_add_nc_u32_e32 v6, v5, v7
	v_add_nc_u32_e32 v7, v6, v8
	s_delay_alu instid0(VALU_DEP_1) | instskip(NEXT) | instid1(VALU_DEP_1)
	v_add_nc_u32_e32 v8, v7, v9
	;; [unrolled: 3-line block ×5, first 2 shown]
	v_add_nc_u32_e32 v15, v14, v16
	ds_store_2addr_b32 v17, v4, v5 offset1:1
	ds_store_2addr_b32 v17, v6, v7 offset0:2 offset1:3
	ds_store_2addr_b32 v17, v8, v9 offset0:4 offset1:5
	;; [unrolled: 1-line block ×5, first 2 shown]
.LBB49_2:
	s_or_b32 exec_lo, exec_lo, s3
	s_load_b32 s0, s[0:1], 0x10
	s_waitcnt lgkmcnt(0)
	s_barrier
	buffer_gl0_inv
	ds_load_b32 v4, v3
	v_mov_b32_e32 v3, s0
	s_and_saveexec_b32 s1, vcc_lo
	s_cbranch_execz .LBB49_6
; %bb.3:
	v_mov_b32_e32 v5, 0
	s_mov_b32 s2, exec_lo
	ds_load_b32 v3, v5 offset:1504
	v_cmpx_eq_u32_e32 0, v0
	s_cbranch_execz .LBB49_5
; %bb.4:
	v_mov_b32_e32 v6, s0
	ds_store_b32 v5, v6
.LBB49_5:
	s_or_b32 exec_lo, exec_lo, s2
	s_waitcnt lgkmcnt(0)
	v_add_nc_u32_e32 v3, s0, v3
.LBB49_6:
	s_or_b32 exec_lo, exec_lo, s1
	v_mov_b32_e32 v5, 0
	s_waitcnt lgkmcnt(0)
	s_barrier
	buffer_gl0_inv
	s_mov_b32 s9, 0
	ds_load_b32 v6, v5
	s_mov_b32 s0, exec_lo
	s_waitcnt lgkmcnt(0)
	v_add_nc_u32_e32 v4, v6, v4
	global_store_b32 v[1:2], v4, off
	v_cmpx_eq_u32_e32 0, v0
	s_cbranch_execz .LBB49_8
; %bb.7:
	s_lshl_b64 s[0:1], s[8:9], 2
	s_delay_alu instid0(SALU_CYCLE_1)
	s_add_u32 s0, s6, s0
	s_addc_u32 s1, s7, s1
	global_store_b32 v5, v3, s[0:1]
.LBB49_8:
	s_nop 0
	s_sendmsg sendmsg(MSG_DEALLOC_VGPRS)
	s_endpgm
	.section	.rodata,"a",@progbits
	.p2align	6, 0x0
	.amdhsa_kernel _Z37inclusive_scan_prefix_callback_kernelILj377ELN6hipcub18BlockScanAlgorithmE1EiEvPT1_S3_S2_
		.amdhsa_group_segment_fixed_size 1536
		.amdhsa_private_segment_fixed_size 0
		.amdhsa_kernarg_size 20
		.amdhsa_user_sgpr_count 15
		.amdhsa_user_sgpr_dispatch_ptr 0
		.amdhsa_user_sgpr_queue_ptr 0
		.amdhsa_user_sgpr_kernarg_segment_ptr 1
		.amdhsa_user_sgpr_dispatch_id 0
		.amdhsa_user_sgpr_private_segment_size 0
		.amdhsa_wavefront_size32 1
		.amdhsa_uses_dynamic_stack 0
		.amdhsa_enable_private_segment 0
		.amdhsa_system_sgpr_workgroup_id_x 1
		.amdhsa_system_sgpr_workgroup_id_y 0
		.amdhsa_system_sgpr_workgroup_id_z 0
		.amdhsa_system_sgpr_workgroup_info 0
		.amdhsa_system_vgpr_workitem_id 0
		.amdhsa_next_free_vgpr 23
		.amdhsa_next_free_sgpr 16
		.amdhsa_reserve_vcc 1
		.amdhsa_float_round_mode_32 0
		.amdhsa_float_round_mode_16_64 0
		.amdhsa_float_denorm_mode_32 3
		.amdhsa_float_denorm_mode_16_64 3
		.amdhsa_dx10_clamp 1
		.amdhsa_ieee_mode 1
		.amdhsa_fp16_overflow 0
		.amdhsa_workgroup_processor_mode 1
		.amdhsa_memory_ordered 1
		.amdhsa_forward_progress 0
		.amdhsa_shared_vgpr_count 0
		.amdhsa_exception_fp_ieee_invalid_op 0
		.amdhsa_exception_fp_denorm_src 0
		.amdhsa_exception_fp_ieee_div_zero 0
		.amdhsa_exception_fp_ieee_overflow 0
		.amdhsa_exception_fp_ieee_underflow 0
		.amdhsa_exception_fp_ieee_inexact 0
		.amdhsa_exception_int_div_zero 0
	.end_amdhsa_kernel
	.section	.text._Z37inclusive_scan_prefix_callback_kernelILj377ELN6hipcub18BlockScanAlgorithmE1EiEvPT1_S3_S2_,"axG",@progbits,_Z37inclusive_scan_prefix_callback_kernelILj377ELN6hipcub18BlockScanAlgorithmE1EiEvPT1_S3_S2_,comdat
.Lfunc_end49:
	.size	_Z37inclusive_scan_prefix_callback_kernelILj377ELN6hipcub18BlockScanAlgorithmE1EiEvPT1_S3_S2_, .Lfunc_end49-_Z37inclusive_scan_prefix_callback_kernelILj377ELN6hipcub18BlockScanAlgorithmE1EiEvPT1_S3_S2_
                                        ; -- End function
	.section	.AMDGPU.csdata,"",@progbits
; Kernel info:
; codeLenInByte = 800
; NumSgprs: 18
; NumVgprs: 23
; ScratchSize: 0
; MemoryBound: 0
; FloatMode: 240
; IeeeMode: 1
; LDSByteSize: 1536 bytes/workgroup (compile time only)
; SGPRBlocks: 2
; VGPRBlocks: 2
; NumSGPRsForWavesPerEU: 18
; NumVGPRsForWavesPerEU: 23
; Occupancy: 15
; WaveLimiterHint : 0
; COMPUTE_PGM_RSRC2:SCRATCH_EN: 0
; COMPUTE_PGM_RSRC2:USER_SGPR: 15
; COMPUTE_PGM_RSRC2:TRAP_HANDLER: 0
; COMPUTE_PGM_RSRC2:TGID_X_EN: 1
; COMPUTE_PGM_RSRC2:TGID_Y_EN: 0
; COMPUTE_PGM_RSRC2:TGID_Z_EN: 0
; COMPUTE_PGM_RSRC2:TIDIG_COMP_CNT: 0
	.section	.text._Z37inclusive_scan_prefix_callback_kernelILj255ELN6hipcub18BlockScanAlgorithmE1EjEvPT1_S3_S2_,"axG",@progbits,_Z37inclusive_scan_prefix_callback_kernelILj255ELN6hipcub18BlockScanAlgorithmE1EjEvPT1_S3_S2_,comdat
	.protected	_Z37inclusive_scan_prefix_callback_kernelILj255ELN6hipcub18BlockScanAlgorithmE1EjEvPT1_S3_S2_ ; -- Begin function _Z37inclusive_scan_prefix_callback_kernelILj255ELN6hipcub18BlockScanAlgorithmE1EjEvPT1_S3_S2_
	.globl	_Z37inclusive_scan_prefix_callback_kernelILj255ELN6hipcub18BlockScanAlgorithmE1EjEvPT1_S3_S2_
	.p2align	8
	.type	_Z37inclusive_scan_prefix_callback_kernelILj255ELN6hipcub18BlockScanAlgorithmE1EjEvPT1_S3_S2_,@function
_Z37inclusive_scan_prefix_callback_kernelILj255ELN6hipcub18BlockScanAlgorithmE1EjEvPT1_S3_S2_: ; @_Z37inclusive_scan_prefix_callback_kernelILj255ELN6hipcub18BlockScanAlgorithmE1EjEvPT1_S3_S2_
; %bb.0:
	s_load_b128 s[4:7], s[0:1], 0x0
	s_mov_b32 s8, s15
	v_lshrrev_b32_e32 v3, 5, v0
	v_mad_u64_u32 v[1:2], null, 0xff, s8, v[0:1]
	v_mov_b32_e32 v2, 0
	s_delay_alu instid0(VALU_DEP_3) | instskip(NEXT) | instid1(VALU_DEP_2)
	v_add_lshl_u32 v3, v3, v0, 2
	v_lshlrev_b64 v[1:2], 2, v[1:2]
	s_waitcnt lgkmcnt(0)
	s_delay_alu instid0(VALU_DEP_1) | instskip(NEXT) | instid1(VALU_DEP_2)
	v_add_co_u32 v1, vcc_lo, s4, v1
	v_add_co_ci_u32_e32 v2, vcc_lo, s5, v2, vcc_lo
	v_cmp_gt_u32_e32 vcc_lo, 32, v0
	global_load_b32 v4, v[1:2], off
	s_waitcnt vmcnt(0)
	ds_store_b32 v3, v4
	s_waitcnt lgkmcnt(0)
	s_barrier
	buffer_gl0_inv
	s_and_saveexec_b32 s3, vcc_lo
	s_cbranch_execz .LBB50_2
; %bb.1:
	v_and_b32_e32 v5, 0xfc, v0
	v_mbcnt_lo_u32_b32 v15, -1, 0
	s_delay_alu instid0(VALU_DEP_2) | instskip(NEXT) | instid1(VALU_DEP_2)
	v_lshl_or_b32 v13, v0, 5, v5
	v_and_b32_e32 v16, 15, v15
	v_add_nc_u32_e32 v18, -1, v15
	ds_load_2addr_b32 v[5:6], v13 offset1:1
	ds_load_2addr_b32 v[7:8], v13 offset0:2 offset1:3
	ds_load_2addr_b32 v[9:10], v13 offset0:4 offset1:5
	ds_load_2addr_b32 v[11:12], v13 offset0:6 offset1:7
	v_cmp_ne_u32_e64 s2, 0, v16
	s_waitcnt lgkmcnt(3)
	v_add_nc_u32_e32 v14, v6, v5
	s_waitcnt lgkmcnt(2)
	s_delay_alu instid0(VALU_DEP_1) | instskip(SKIP_1) | instid1(VALU_DEP_1)
	v_add3_u32 v14, v14, v7, v8
	s_waitcnt lgkmcnt(1)
	v_add3_u32 v14, v14, v9, v10
	s_waitcnt lgkmcnt(0)
	s_delay_alu instid0(VALU_DEP_1) | instskip(NEXT) | instid1(VALU_DEP_1)
	v_add3_u32 v14, v14, v11, v12
	v_mov_b32_dpp v17, v14 row_shr:1 row_mask:0xf bank_mask:0xf
	s_delay_alu instid0(VALU_DEP_1) | instskip(SKIP_1) | instid1(VALU_DEP_2)
	v_cndmask_b32_e64 v17, 0, v17, s2
	v_cmp_lt_u32_e64 s2, 1, v16
	v_add_nc_u32_e32 v14, v17, v14
	s_delay_alu instid0(VALU_DEP_1) | instskip(NEXT) | instid1(VALU_DEP_1)
	v_mov_b32_dpp v17, v14 row_shr:2 row_mask:0xf bank_mask:0xf
	v_cndmask_b32_e64 v17, 0, v17, s2
	v_cmp_lt_u32_e64 s2, 3, v16
	s_delay_alu instid0(VALU_DEP_2) | instskip(NEXT) | instid1(VALU_DEP_1)
	v_add_nc_u32_e32 v14, v14, v17
	v_mov_b32_dpp v17, v14 row_shr:4 row_mask:0xf bank_mask:0xf
	s_delay_alu instid0(VALU_DEP_1) | instskip(SKIP_1) | instid1(VALU_DEP_2)
	v_cndmask_b32_e64 v17, 0, v17, s2
	v_cmp_lt_u32_e64 s2, 7, v16
	v_add_nc_u32_e32 v14, v14, v17
	s_delay_alu instid0(VALU_DEP_1) | instskip(NEXT) | instid1(VALU_DEP_1)
	v_mov_b32_dpp v17, v14 row_shr:8 row_mask:0xf bank_mask:0xf
	v_cndmask_b32_e64 v16, 0, v17, s2
	v_bfe_i32 v17, v15, 4, 1
	v_cmp_gt_i32_e64 s2, 0, v18
	s_delay_alu instid0(VALU_DEP_3) | instskip(NEXT) | instid1(VALU_DEP_2)
	v_add_nc_u32_e32 v14, v14, v16
	v_cndmask_b32_e64 v15, v18, v15, s2
	v_cmp_eq_u32_e64 s2, 0, v0
	ds_swizzle_b32 v16, v14 offset:swizzle(BROADCAST,32,15)
	v_lshlrev_b32_e32 v15, 2, v15
	s_waitcnt lgkmcnt(0)
	v_and_b32_e32 v16, v17, v16
	s_delay_alu instid0(VALU_DEP_1) | instskip(SKIP_3) | instid1(VALU_DEP_1)
	v_add_nc_u32_e32 v14, v14, v16
	ds_bpermute_b32 v14, v15, v14
	s_waitcnt lgkmcnt(0)
	v_add_nc_u32_e32 v5, v14, v5
	v_cndmask_b32_e64 v4, v5, v4, s2
	s_delay_alu instid0(VALU_DEP_1) | instskip(NEXT) | instid1(VALU_DEP_1)
	v_add_nc_u32_e32 v5, v4, v6
	v_add_nc_u32_e32 v6, v5, v7
	s_delay_alu instid0(VALU_DEP_1) | instskip(NEXT) | instid1(VALU_DEP_1)
	v_add_nc_u32_e32 v7, v6, v8
	v_add_nc_u32_e32 v8, v7, v9
	;; [unrolled: 3-line block ×3, first 2 shown]
	s_delay_alu instid0(VALU_DEP_1)
	v_add_nc_u32_e32 v11, v10, v12
	ds_store_2addr_b32 v13, v4, v5 offset1:1
	ds_store_2addr_b32 v13, v6, v7 offset0:2 offset1:3
	ds_store_2addr_b32 v13, v8, v9 offset0:4 offset1:5
	;; [unrolled: 1-line block ×3, first 2 shown]
.LBB50_2:
	s_or_b32 exec_lo, exec_lo, s3
	s_load_b32 s0, s[0:1], 0x10
	s_waitcnt lgkmcnt(0)
	s_barrier
	buffer_gl0_inv
	ds_load_b32 v4, v3
	v_mov_b32_e32 v3, s0
	s_and_saveexec_b32 s1, vcc_lo
	s_cbranch_execz .LBB50_6
; %bb.3:
	v_mov_b32_e32 v5, 0
	s_mov_b32 s2, exec_lo
	ds_load_b32 v3, v5 offset:1044
	v_cmpx_eq_u32_e32 0, v0
	s_cbranch_execz .LBB50_5
; %bb.4:
	v_mov_b32_e32 v6, s0
	ds_store_b32 v5, v6
.LBB50_5:
	s_or_b32 exec_lo, exec_lo, s2
	s_waitcnt lgkmcnt(0)
	v_add_nc_u32_e32 v3, s0, v3
.LBB50_6:
	s_or_b32 exec_lo, exec_lo, s1
	v_mov_b32_e32 v5, 0
	s_waitcnt lgkmcnt(0)
	s_barrier
	buffer_gl0_inv
	s_mov_b32 s9, 0
	ds_load_b32 v6, v5
	s_mov_b32 s0, exec_lo
	s_waitcnt lgkmcnt(0)
	v_add_nc_u32_e32 v4, v6, v4
	global_store_b32 v[1:2], v4, off
	v_cmpx_eq_u32_e32 0, v0
	s_cbranch_execz .LBB50_8
; %bb.7:
	s_lshl_b64 s[0:1], s[8:9], 2
	s_delay_alu instid0(SALU_CYCLE_1)
	s_add_u32 s0, s6, s0
	s_addc_u32 s1, s7, s1
	global_store_b32 v5, v3, s[0:1]
.LBB50_8:
	s_nop 0
	s_sendmsg sendmsg(MSG_DEALLOC_VGPRS)
	s_endpgm
	.section	.rodata,"a",@progbits
	.p2align	6, 0x0
	.amdhsa_kernel _Z37inclusive_scan_prefix_callback_kernelILj255ELN6hipcub18BlockScanAlgorithmE1EjEvPT1_S3_S2_
		.amdhsa_group_segment_fixed_size 1056
		.amdhsa_private_segment_fixed_size 0
		.amdhsa_kernarg_size 20
		.amdhsa_user_sgpr_count 15
		.amdhsa_user_sgpr_dispatch_ptr 0
		.amdhsa_user_sgpr_queue_ptr 0
		.amdhsa_user_sgpr_kernarg_segment_ptr 1
		.amdhsa_user_sgpr_dispatch_id 0
		.amdhsa_user_sgpr_private_segment_size 0
		.amdhsa_wavefront_size32 1
		.amdhsa_uses_dynamic_stack 0
		.amdhsa_enable_private_segment 0
		.amdhsa_system_sgpr_workgroup_id_x 1
		.amdhsa_system_sgpr_workgroup_id_y 0
		.amdhsa_system_sgpr_workgroup_id_z 0
		.amdhsa_system_sgpr_workgroup_info 0
		.amdhsa_system_vgpr_workitem_id 0
		.amdhsa_next_free_vgpr 19
		.amdhsa_next_free_sgpr 16
		.amdhsa_reserve_vcc 1
		.amdhsa_float_round_mode_32 0
		.amdhsa_float_round_mode_16_64 0
		.amdhsa_float_denorm_mode_32 3
		.amdhsa_float_denorm_mode_16_64 3
		.amdhsa_dx10_clamp 1
		.amdhsa_ieee_mode 1
		.amdhsa_fp16_overflow 0
		.amdhsa_workgroup_processor_mode 1
		.amdhsa_memory_ordered 1
		.amdhsa_forward_progress 0
		.amdhsa_shared_vgpr_count 0
		.amdhsa_exception_fp_ieee_invalid_op 0
		.amdhsa_exception_fp_denorm_src 0
		.amdhsa_exception_fp_ieee_div_zero 0
		.amdhsa_exception_fp_ieee_overflow 0
		.amdhsa_exception_fp_ieee_underflow 0
		.amdhsa_exception_fp_ieee_inexact 0
		.amdhsa_exception_int_div_zero 0
	.end_amdhsa_kernel
	.section	.text._Z37inclusive_scan_prefix_callback_kernelILj255ELN6hipcub18BlockScanAlgorithmE1EjEvPT1_S3_S2_,"axG",@progbits,_Z37inclusive_scan_prefix_callback_kernelILj255ELN6hipcub18BlockScanAlgorithmE1EjEvPT1_S3_S2_,comdat
.Lfunc_end50:
	.size	_Z37inclusive_scan_prefix_callback_kernelILj255ELN6hipcub18BlockScanAlgorithmE1EjEvPT1_S3_S2_, .Lfunc_end50-_Z37inclusive_scan_prefix_callback_kernelILj255ELN6hipcub18BlockScanAlgorithmE1EjEvPT1_S3_S2_
                                        ; -- End function
	.section	.AMDGPU.csdata,"",@progbits
; Kernel info:
; codeLenInByte = 732
; NumSgprs: 18
; NumVgprs: 19
; ScratchSize: 0
; MemoryBound: 0
; FloatMode: 240
; IeeeMode: 1
; LDSByteSize: 1056 bytes/workgroup (compile time only)
; SGPRBlocks: 2
; VGPRBlocks: 2
; NumSGPRsForWavesPerEU: 18
; NumVGPRsForWavesPerEU: 19
; Occupancy: 16
; WaveLimiterHint : 0
; COMPUTE_PGM_RSRC2:SCRATCH_EN: 0
; COMPUTE_PGM_RSRC2:USER_SGPR: 15
; COMPUTE_PGM_RSRC2:TRAP_HANDLER: 0
; COMPUTE_PGM_RSRC2:TGID_X_EN: 1
; COMPUTE_PGM_RSRC2:TGID_Y_EN: 0
; COMPUTE_PGM_RSRC2:TGID_Z_EN: 0
; COMPUTE_PGM_RSRC2:TIDIG_COMP_CNT: 0
	.section	.text._Z37inclusive_scan_prefix_callback_kernelILj162ELN6hipcub18BlockScanAlgorithmE1EsEvPT1_S3_S2_,"axG",@progbits,_Z37inclusive_scan_prefix_callback_kernelILj162ELN6hipcub18BlockScanAlgorithmE1EsEvPT1_S3_S2_,comdat
	.protected	_Z37inclusive_scan_prefix_callback_kernelILj162ELN6hipcub18BlockScanAlgorithmE1EsEvPT1_S3_S2_ ; -- Begin function _Z37inclusive_scan_prefix_callback_kernelILj162ELN6hipcub18BlockScanAlgorithmE1EsEvPT1_S3_S2_
	.globl	_Z37inclusive_scan_prefix_callback_kernelILj162ELN6hipcub18BlockScanAlgorithmE1EsEvPT1_S3_S2_
	.p2align	8
	.type	_Z37inclusive_scan_prefix_callback_kernelILj162ELN6hipcub18BlockScanAlgorithmE1EsEvPT1_S3_S2_,@function
_Z37inclusive_scan_prefix_callback_kernelILj162ELN6hipcub18BlockScanAlgorithmE1EsEvPT1_S3_S2_: ; @_Z37inclusive_scan_prefix_callback_kernelILj162ELN6hipcub18BlockScanAlgorithmE1EsEvPT1_S3_S2_
; %bb.0:
	s_load_b128 s[4:7], s[0:1], 0x0
	s_mov_b32 s8, s15
	v_lshlrev_b32_e32 v3, 1, v0
	v_mad_u64_u32 v[1:2], null, 0xa2, s8, v[0:1]
	v_mov_b32_e32 v2, 0
	s_delay_alu instid0(VALU_DEP_1) | instskip(SKIP_1) | instid1(VALU_DEP_1)
	v_lshlrev_b64 v[1:2], 1, v[1:2]
	s_waitcnt lgkmcnt(0)
	v_add_co_u32 v1, vcc_lo, s4, v1
	s_delay_alu instid0(VALU_DEP_2)
	v_add_co_ci_u32_e32 v2, vcc_lo, s5, v2, vcc_lo
	v_cmp_gt_u32_e32 vcc_lo, 32, v0
	global_load_u16 v4, v[1:2], off
	s_waitcnt vmcnt(0)
	ds_store_b16 v3, v4
	s_waitcnt lgkmcnt(0)
	s_barrier
	buffer_gl0_inv
	s_and_saveexec_b32 s3, vcc_lo
	s_cbranch_execz .LBB51_2
; %bb.1:
	v_mul_u32_u24_e32 v5, 6, v0
	v_mbcnt_lo_u32_b32 v13, -1, 0
	s_delay_alu instid0(VALU_DEP_2) | instskip(NEXT) | instid1(VALU_DEP_2)
	v_lshlrev_b32_e32 v8, 1, v5
	v_and_b32_e32 v15, 15, v13
	ds_load_b96 v[5:7], v8
	v_cmp_ne_u32_e64 s2, 0, v15
	s_waitcnt lgkmcnt(0)
	v_lshrrev_b32_e32 v9, 16, v5
	v_lshrrev_b32_e32 v11, 16, v6
	;; [unrolled: 1-line block ×3, first 2 shown]
	s_delay_alu instid0(VALU_DEP_3) | instskip(NEXT) | instid1(VALU_DEP_1)
	v_add_nc_u16 v10, v9, v5
	v_add_nc_u16 v10, v10, v6
	s_delay_alu instid0(VALU_DEP_1) | instskip(NEXT) | instid1(VALU_DEP_1)
	v_add_nc_u16 v10, v10, v11
	v_add_nc_u16 v10, v10, v7
	s_delay_alu instid0(VALU_DEP_1) | instskip(NEXT) | instid1(VALU_DEP_1)
	v_add_nc_u16 v10, v10, v12
	v_and_b32_e32 v14, 0xffff, v10
	s_delay_alu instid0(VALU_DEP_1) | instskip(NEXT) | instid1(VALU_DEP_1)
	v_mov_b32_dpp v14, v14 row_shr:1 row_mask:0xf bank_mask:0xf
	v_cndmask_b32_e64 v14, 0, v14, s2
	v_cmp_lt_u32_e64 s2, 1, v15
	s_delay_alu instid0(VALU_DEP_2) | instskip(NEXT) | instid1(VALU_DEP_1)
	v_add_nc_u16 v10, v14, v10
	v_and_b32_e32 v14, 0xffff, v10
	s_delay_alu instid0(VALU_DEP_1) | instskip(NEXT) | instid1(VALU_DEP_1)
	v_mov_b32_dpp v14, v14 row_shr:2 row_mask:0xf bank_mask:0xf
	v_cndmask_b32_e64 v14, 0, v14, s2
	v_cmp_lt_u32_e64 s2, 3, v15
	s_delay_alu instid0(VALU_DEP_2) | instskip(NEXT) | instid1(VALU_DEP_1)
	v_add_nc_u16 v10, v10, v14
	v_and_b32_e32 v14, 0xffff, v10
	s_delay_alu instid0(VALU_DEP_1) | instskip(NEXT) | instid1(VALU_DEP_1)
	v_mov_b32_dpp v14, v14 row_shr:4 row_mask:0xf bank_mask:0xf
	v_cndmask_b32_e64 v14, 0, v14, s2
	v_cmp_lt_u32_e64 s2, 7, v15
	v_and_b32_e32 v15, 16, v13
	s_delay_alu instid0(VALU_DEP_3) | instskip(NEXT) | instid1(VALU_DEP_1)
	v_add_nc_u16 v10, v10, v14
	v_and_b32_e32 v14, 0xffff, v10
	s_delay_alu instid0(VALU_DEP_1) | instskip(NEXT) | instid1(VALU_DEP_1)
	v_mov_b32_dpp v14, v14 row_shr:8 row_mask:0xf bank_mask:0xf
	v_cndmask_b32_e64 v14, 0, v14, s2
	v_cmp_ne_u32_e64 s2, 0, v15
	v_add_nc_u32_e32 v15, -1, v13
	s_delay_alu instid0(VALU_DEP_3) | instskip(NEXT) | instid1(VALU_DEP_1)
	v_add_nc_u16 v10, v10, v14
	v_and_b32_e32 v14, 0xffff, v10
	ds_swizzle_b32 v14, v14 offset:swizzle(BROADCAST,32,15)
	s_waitcnt lgkmcnt(0)
	v_cndmask_b32_e64 v14, 0, v14, s2
	v_cmp_gt_i32_e64 s2, 0, v15
	s_delay_alu instid0(VALU_DEP_2) | instskip(NEXT) | instid1(VALU_DEP_2)
	v_add_nc_u16 v10, v10, v14
	v_cndmask_b32_e64 v13, v15, v13, s2
	v_cmp_eq_u32_e64 s2, 0, v0
	s_delay_alu instid0(VALU_DEP_3) | instskip(NEXT) | instid1(VALU_DEP_3)
	v_and_b32_e32 v10, 0xffff, v10
	v_lshlrev_b32_e32 v13, 2, v13
	ds_bpermute_b32 v10, v13, v10
	s_waitcnt lgkmcnt(0)
	v_add_nc_u16 v5, v5, v10
	s_delay_alu instid0(VALU_DEP_1) | instskip(NEXT) | instid1(VALU_DEP_1)
	v_cndmask_b32_e64 v4, v5, v4, s2
	v_add_nc_u16 v5, v4, v9
	s_delay_alu instid0(VALU_DEP_1) | instskip(SKIP_1) | instid1(VALU_DEP_2)
	v_add_nc_u16 v6, v5, v6
	v_perm_b32 v4, v5, v4, 0x5040100
	v_add_nc_u16 v9, v6, v11
	s_delay_alu instid0(VALU_DEP_1) | instskip(SKIP_1) | instid1(VALU_DEP_2)
	v_add_nc_u16 v7, v9, v7
	v_perm_b32 v5, v9, v6, 0x5040100
	v_add_nc_u16 v10, v7, v12
	s_delay_alu instid0(VALU_DEP_1)
	v_perm_b32 v6, v10, v7, 0x5040100
	ds_store_b96 v8, v[4:6]
.LBB51_2:
	s_or_b32 exec_lo, exec_lo, s3
	s_load_b32 s0, s[0:1], 0x10
	s_waitcnt lgkmcnt(0)
	s_barrier
	buffer_gl0_inv
	ds_load_u16 v4, v3
	v_mov_b32_e32 v3, s0
	s_and_saveexec_b32 s1, vcc_lo
	s_cbranch_execz .LBB51_6
; %bb.3:
	v_mov_b32_e32 v5, 0
	s_mov_b32 s2, exec_lo
	ds_load_u16 v3, v5 offset:322
	v_cmpx_eq_u32_e32 0, v0
	s_cbranch_execz .LBB51_5
; %bb.4:
	v_mov_b32_e32 v6, s0
	ds_store_b16 v5, v6
.LBB51_5:
	s_or_b32 exec_lo, exec_lo, s2
	s_waitcnt lgkmcnt(0)
	v_add_nc_u32_e32 v3, s0, v3
.LBB51_6:
	s_or_b32 exec_lo, exec_lo, s1
	v_mov_b32_e32 v5, 0
	s_waitcnt lgkmcnt(0)
	s_barrier
	buffer_gl0_inv
	s_mov_b32 s9, 0
	ds_load_u16 v6, v5
	s_mov_b32 s0, exec_lo
	s_waitcnt lgkmcnt(0)
	v_add_nc_u16 v4, v6, v4
	global_store_b16 v[1:2], v4, off
	v_cmpx_eq_u32_e32 0, v0
	s_cbranch_execz .LBB51_8
; %bb.7:
	s_lshl_b64 s[0:1], s[8:9], 1
	s_delay_alu instid0(SALU_CYCLE_1)
	s_add_u32 s0, s6, s0
	s_addc_u32 s1, s7, s1
	global_store_b16 v5, v3, s[0:1]
.LBB51_8:
	s_nop 0
	s_sendmsg sendmsg(MSG_DEALLOC_VGPRS)
	s_endpgm
	.section	.rodata,"a",@progbits
	.p2align	6, 0x0
	.amdhsa_kernel _Z37inclusive_scan_prefix_callback_kernelILj162ELN6hipcub18BlockScanAlgorithmE1EsEvPT1_S3_S2_
		.amdhsa_group_segment_fixed_size 384
		.amdhsa_private_segment_fixed_size 0
		.amdhsa_kernarg_size 20
		.amdhsa_user_sgpr_count 15
		.amdhsa_user_sgpr_dispatch_ptr 0
		.amdhsa_user_sgpr_queue_ptr 0
		.amdhsa_user_sgpr_kernarg_segment_ptr 1
		.amdhsa_user_sgpr_dispatch_id 0
		.amdhsa_user_sgpr_private_segment_size 0
		.amdhsa_wavefront_size32 1
		.amdhsa_uses_dynamic_stack 0
		.amdhsa_enable_private_segment 0
		.amdhsa_system_sgpr_workgroup_id_x 1
		.amdhsa_system_sgpr_workgroup_id_y 0
		.amdhsa_system_sgpr_workgroup_id_z 0
		.amdhsa_system_sgpr_workgroup_info 0
		.amdhsa_system_vgpr_workitem_id 0
		.amdhsa_next_free_vgpr 16
		.amdhsa_next_free_sgpr 16
		.amdhsa_reserve_vcc 1
		.amdhsa_float_round_mode_32 0
		.amdhsa_float_round_mode_16_64 0
		.amdhsa_float_denorm_mode_32 3
		.amdhsa_float_denorm_mode_16_64 3
		.amdhsa_dx10_clamp 1
		.amdhsa_ieee_mode 1
		.amdhsa_fp16_overflow 0
		.amdhsa_workgroup_processor_mode 1
		.amdhsa_memory_ordered 1
		.amdhsa_forward_progress 0
		.amdhsa_shared_vgpr_count 0
		.amdhsa_exception_fp_ieee_invalid_op 0
		.amdhsa_exception_fp_denorm_src 0
		.amdhsa_exception_fp_ieee_div_zero 0
		.amdhsa_exception_fp_ieee_overflow 0
		.amdhsa_exception_fp_ieee_underflow 0
		.amdhsa_exception_fp_ieee_inexact 0
		.amdhsa_exception_int_div_zero 0
	.end_amdhsa_kernel
	.section	.text._Z37inclusive_scan_prefix_callback_kernelILj162ELN6hipcub18BlockScanAlgorithmE1EsEvPT1_S3_S2_,"axG",@progbits,_Z37inclusive_scan_prefix_callback_kernelILj162ELN6hipcub18BlockScanAlgorithmE1EsEvPT1_S3_S2_,comdat
.Lfunc_end51:
	.size	_Z37inclusive_scan_prefix_callback_kernelILj162ELN6hipcub18BlockScanAlgorithmE1EsEvPT1_S3_S2_, .Lfunc_end51-_Z37inclusive_scan_prefix_callback_kernelILj162ELN6hipcub18BlockScanAlgorithmE1EsEvPT1_S3_S2_
                                        ; -- End function
	.section	.AMDGPU.csdata,"",@progbits
; Kernel info:
; codeLenInByte = 828
; NumSgprs: 18
; NumVgprs: 16
; ScratchSize: 0
; MemoryBound: 0
; FloatMode: 240
; IeeeMode: 1
; LDSByteSize: 384 bytes/workgroup (compile time only)
; SGPRBlocks: 2
; VGPRBlocks: 1
; NumSGPRsForWavesPerEU: 18
; NumVGPRsForWavesPerEU: 16
; Occupancy: 15
; WaveLimiterHint : 0
; COMPUTE_PGM_RSRC2:SCRATCH_EN: 0
; COMPUTE_PGM_RSRC2:USER_SGPR: 15
; COMPUTE_PGM_RSRC2:TRAP_HANDLER: 0
; COMPUTE_PGM_RSRC2:TGID_X_EN: 1
; COMPUTE_PGM_RSRC2:TGID_Y_EN: 0
; COMPUTE_PGM_RSRC2:TGID_Z_EN: 0
; COMPUTE_PGM_RSRC2:TIDIG_COMP_CNT: 0
	.section	.text._Z37inclusive_scan_prefix_callback_kernelILj37ELN6hipcub18BlockScanAlgorithmE1ElEvPT1_S3_S2_,"axG",@progbits,_Z37inclusive_scan_prefix_callback_kernelILj37ELN6hipcub18BlockScanAlgorithmE1ElEvPT1_S3_S2_,comdat
	.protected	_Z37inclusive_scan_prefix_callback_kernelILj37ELN6hipcub18BlockScanAlgorithmE1ElEvPT1_S3_S2_ ; -- Begin function _Z37inclusive_scan_prefix_callback_kernelILj37ELN6hipcub18BlockScanAlgorithmE1ElEvPT1_S3_S2_
	.globl	_Z37inclusive_scan_prefix_callback_kernelILj37ELN6hipcub18BlockScanAlgorithmE1ElEvPT1_S3_S2_
	.p2align	8
	.type	_Z37inclusive_scan_prefix_callback_kernelILj37ELN6hipcub18BlockScanAlgorithmE1ElEvPT1_S3_S2_,@function
_Z37inclusive_scan_prefix_callback_kernelILj37ELN6hipcub18BlockScanAlgorithmE1ElEvPT1_S3_S2_: ; @_Z37inclusive_scan_prefix_callback_kernelILj37ELN6hipcub18BlockScanAlgorithmE1ElEvPT1_S3_S2_
; %bb.0:
	s_clause 0x1
	s_load_b128 s[4:7], s[0:1], 0x0
	s_load_b64 s[8:9], s[0:1], 0x10
	s_mov_b32 s2, s15
	s_delay_alu instid0(SALU_CYCLE_1) | instskip(SKIP_1) | instid1(VALU_DEP_1)
	v_mad_u64_u32 v[1:2], null, s2, 37, v[0:1]
	v_mov_b32_e32 v2, 0
	v_lshlrev_b64 v[1:2], 3, v[1:2]
	s_waitcnt lgkmcnt(0)
	s_delay_alu instid0(VALU_DEP_1) | instskip(NEXT) | instid1(VALU_DEP_2)
	v_add_co_u32 v5, vcc_lo, s4, v1
	v_add_co_ci_u32_e32 v6, vcc_lo, s5, v2, vcc_lo
	v_lshrrev_b32_e32 v1, 5, v0
	v_cmp_gt_u32_e32 vcc_lo, 32, v0
	global_load_b64 v[7:8], v[5:6], off
	v_add_lshl_u32 v13, v1, v0, 3
	s_waitcnt vmcnt(0)
	ds_store_b64 v13, v[7:8]
	s_waitcnt lgkmcnt(0)
	s_barrier
	buffer_gl0_inv
	s_and_saveexec_b32 s1, vcc_lo
	s_cbranch_execz .LBB52_10
; %bb.1:
	v_lshrrev_b32_e32 v1, 1, v0
	v_mbcnt_lo_u32_b32 v15, -1, 0
	s_mov_b32 s3, exec_lo
	s_delay_alu instid0(VALU_DEP_2) | instskip(NEXT) | instid1(VALU_DEP_1)
	v_and_b32_e32 v1, 24, v1
	v_lshl_or_b32 v14, v0, 4, v1
	ds_load_2addr_b64 v[1:4], v14 offset1:1
	s_waitcnt lgkmcnt(0)
	v_add_co_u32 v9, s0, v3, v1
	s_delay_alu instid0(VALU_DEP_1) | instskip(SKIP_1) | instid1(VALU_DEP_3)
	v_add_co_ci_u32_e64 v10, s0, v4, v2, s0
	v_and_b32_e32 v16, 15, v15
	v_mov_b32_dpp v18, v9 row_shr:1 row_mask:0xf bank_mask:0xf
	s_delay_alu instid0(VALU_DEP_3) | instskip(SKIP_1) | instid1(VALU_DEP_4)
	v_dual_mov_b32 v12, v10 :: v_dual_mov_b32 v11, v9
	v_mov_b32_dpp v17, v10 row_shr:1 row_mask:0xf bank_mask:0xf
	v_cmpx_ne_u32_e32 0, v16
; %bb.2:
	s_delay_alu instid0(VALU_DEP_4) | instskip(NEXT) | instid1(VALU_DEP_1)
	v_add_co_u32 v9, s0, v9, v18
	v_add_co_ci_u32_e64 v10, s0, 0, v10, s0
	s_delay_alu instid0(VALU_DEP_2) | instskip(NEXT) | instid1(VALU_DEP_1)
	v_add_co_u32 v11, s0, 0, v9
	v_add_co_ci_u32_e64 v12, s0, v17, v10, s0
	s_delay_alu instid0(VALU_DEP_1)
	v_mov_b32_e32 v10, v12
; %bb.3:
	s_or_b32 exec_lo, exec_lo, s3
	v_mov_b32_dpp v18, v9 row_shr:2 row_mask:0xf bank_mask:0xf
	s_delay_alu instid0(VALU_DEP_2)
	v_mov_b32_dpp v17, v10 row_shr:2 row_mask:0xf bank_mask:0xf
	s_mov_b32 s3, exec_lo
	v_cmpx_lt_u32_e32 1, v16
; %bb.4:
	s_delay_alu instid0(VALU_DEP_3) | instskip(NEXT) | instid1(VALU_DEP_1)
	v_add_co_u32 v9, s0, v11, v18
	v_add_co_ci_u32_e64 v10, s0, 0, v12, s0
	s_delay_alu instid0(VALU_DEP_2) | instskip(NEXT) | instid1(VALU_DEP_1)
	v_add_co_u32 v11, s0, 0, v9
	v_add_co_ci_u32_e64 v12, s0, v17, v10, s0
	s_delay_alu instid0(VALU_DEP_1)
	v_mov_b32_e32 v10, v12
; %bb.5:
	s_or_b32 exec_lo, exec_lo, s3
	v_mov_b32_dpp v18, v9 row_shr:4 row_mask:0xf bank_mask:0xf
	s_delay_alu instid0(VALU_DEP_2)
	v_mov_b32_dpp v17, v10 row_shr:4 row_mask:0xf bank_mask:0xf
	s_mov_b32 s3, exec_lo
	v_cmpx_lt_u32_e32 3, v16
; %bb.6:
	s_delay_alu instid0(VALU_DEP_3) | instskip(NEXT) | instid1(VALU_DEP_1)
	v_add_co_u32 v9, s0, v11, v18
	v_add_co_ci_u32_e64 v10, s0, 0, v12, s0
	s_delay_alu instid0(VALU_DEP_2) | instskip(NEXT) | instid1(VALU_DEP_1)
	v_add_co_u32 v11, s0, 0, v9
	v_add_co_ci_u32_e64 v12, s0, v17, v10, s0
	s_delay_alu instid0(VALU_DEP_1)
	v_mov_b32_e32 v10, v12
; %bb.7:
	s_or_b32 exec_lo, exec_lo, s3
	v_mov_b32_dpp v18, v9 row_shr:8 row_mask:0xf bank_mask:0xf
	s_delay_alu instid0(VALU_DEP_2)
	v_mov_b32_dpp v17, v10 row_shr:8 row_mask:0xf bank_mask:0xf
	s_mov_b32 s3, exec_lo
	v_cmpx_lt_u32_e32 7, v16
; %bb.8:
	s_delay_alu instid0(VALU_DEP_3) | instskip(NEXT) | instid1(VALU_DEP_1)
	v_add_co_u32 v9, s0, v11, v18
	v_add_co_ci_u32_e64 v10, s0, 0, v12, s0
	s_delay_alu instid0(VALU_DEP_2) | instskip(NEXT) | instid1(VALU_DEP_1)
	v_add_co_u32 v11, s0, 0, v9
	v_add_co_ci_u32_e64 v12, s0, v17, v10, s0
	s_delay_alu instid0(VALU_DEP_1)
	v_mov_b32_e32 v10, v12
; %bb.9:
	s_or_b32 exec_lo, exec_lo, s3
	ds_swizzle_b32 v16, v9 offset:swizzle(BROADCAST,32,15)
	ds_swizzle_b32 v17, v10 offset:swizzle(BROADCAST,32,15)
	v_add_nc_u32_e32 v18, -1, v15
	v_and_b32_e32 v19, 16, v15
	s_delay_alu instid0(VALU_DEP_2) | instskip(NEXT) | instid1(VALU_DEP_1)
	v_cmp_gt_i32_e64 s0, 0, v18
	v_cndmask_b32_e64 v15, v18, v15, s0
	s_delay_alu instid0(VALU_DEP_1) | instskip(SKIP_2) | instid1(VALU_DEP_1)
	v_lshlrev_b32_e32 v15, 2, v15
	s_waitcnt lgkmcnt(1)
	v_add_co_u32 v11, s0, v11, v16
	v_add_co_ci_u32_e64 v12, s0, 0, v12, s0
	v_cmp_eq_u32_e64 s0, 0, v19
	s_delay_alu instid0(VALU_DEP_1) | instskip(SKIP_1) | instid1(VALU_DEP_3)
	v_cndmask_b32_e64 v9, v11, v9, s0
	s_waitcnt lgkmcnt(0)
	v_add_nc_u32_e32 v11, v17, v12
	ds_bpermute_b32 v9, v15, v9
	v_cndmask_b32_e64 v10, v11, v10, s0
	ds_bpermute_b32 v10, v15, v10
	s_waitcnt lgkmcnt(1)
	v_add_co_u32 v1, s0, v1, v9
	s_delay_alu instid0(VALU_DEP_1) | instskip(NEXT) | instid1(VALU_DEP_2)
	v_add_co_ci_u32_e64 v2, s0, 0, v2, s0
	v_add_co_u32 v1, s0, v1, 0
	s_waitcnt lgkmcnt(0)
	s_delay_alu instid0(VALU_DEP_2) | instskip(SKIP_1) | instid1(VALU_DEP_1)
	v_add_co_ci_u32_e64 v2, s0, v2, v10, s0
	v_cmp_eq_u32_e64 s0, 0, v0
	v_cndmask_b32_e64 v1, v1, v7, s0
	s_delay_alu instid0(VALU_DEP_3) | instskip(NEXT) | instid1(VALU_DEP_2)
	v_cndmask_b32_e64 v2, v2, v8, s0
	v_add_co_u32 v3, s0, v1, v3
	s_delay_alu instid0(VALU_DEP_1)
	v_add_co_ci_u32_e64 v4, s0, v2, v4, s0
	ds_store_2addr_b64 v14, v[1:2], v[3:4] offset1:1
.LBB52_10:
	s_or_b32 exec_lo, exec_lo, s1
	s_waitcnt lgkmcnt(0)
	s_barrier
	buffer_gl0_inv
	ds_load_b64 v[3:4], v13
	v_dual_mov_b32 v1, s8 :: v_dual_mov_b32 v2, s9
	s_and_saveexec_b32 s0, vcc_lo
	s_cbranch_execz .LBB52_14
; %bb.11:
	v_mov_b32_e32 v7, 0
	s_mov_b32 s1, exec_lo
	ds_load_b64 v[1:2], v7 offset:296
	s_waitcnt lgkmcnt(0)
	v_add_co_u32 v1, vcc_lo, v1, s8
	v_add_co_ci_u32_e32 v2, vcc_lo, s9, v2, vcc_lo
	v_cmpx_eq_u32_e32 0, v0
	s_cbranch_execz .LBB52_13
; %bb.12:
	v_dual_mov_b32 v8, s8 :: v_dual_mov_b32 v9, s9
	ds_store_b64 v7, v[8:9]
.LBB52_13:
	s_or_b32 exec_lo, exec_lo, s1
.LBB52_14:
	s_delay_alu instid0(SALU_CYCLE_1)
	s_or_b32 exec_lo, exec_lo, s0
	v_mov_b32_e32 v7, 0
	s_waitcnt lgkmcnt(0)
	s_barrier
	buffer_gl0_inv
	s_mov_b32 s3, 0
	ds_load_b64 v[8:9], v7
	s_mov_b32 s0, exec_lo
	s_waitcnt lgkmcnt(0)
	v_add_co_u32 v3, vcc_lo, v8, v3
	v_add_co_ci_u32_e32 v4, vcc_lo, v9, v4, vcc_lo
	global_store_b64 v[5:6], v[3:4], off
	v_cmpx_eq_u32_e32 0, v0
	s_cbranch_execz .LBB52_16
; %bb.15:
	s_lshl_b64 s[0:1], s[2:3], 3
	s_delay_alu instid0(SALU_CYCLE_1)
	s_add_u32 s0, s6, s0
	s_addc_u32 s1, s7, s1
	global_store_b64 v7, v[1:2], s[0:1]
.LBB52_16:
	s_nop 0
	s_sendmsg sendmsg(MSG_DEALLOC_VGPRS)
	s_endpgm
	.section	.rodata,"a",@progbits
	.p2align	6, 0x0
	.amdhsa_kernel _Z37inclusive_scan_prefix_callback_kernelILj37ELN6hipcub18BlockScanAlgorithmE1ElEvPT1_S3_S2_
		.amdhsa_group_segment_fixed_size 528
		.amdhsa_private_segment_fixed_size 0
		.amdhsa_kernarg_size 24
		.amdhsa_user_sgpr_count 15
		.amdhsa_user_sgpr_dispatch_ptr 0
		.amdhsa_user_sgpr_queue_ptr 0
		.amdhsa_user_sgpr_kernarg_segment_ptr 1
		.amdhsa_user_sgpr_dispatch_id 0
		.amdhsa_user_sgpr_private_segment_size 0
		.amdhsa_wavefront_size32 1
		.amdhsa_uses_dynamic_stack 0
		.amdhsa_enable_private_segment 0
		.amdhsa_system_sgpr_workgroup_id_x 1
		.amdhsa_system_sgpr_workgroup_id_y 0
		.amdhsa_system_sgpr_workgroup_id_z 0
		.amdhsa_system_sgpr_workgroup_info 0
		.amdhsa_system_vgpr_workitem_id 0
		.amdhsa_next_free_vgpr 20
		.amdhsa_next_free_sgpr 16
		.amdhsa_reserve_vcc 1
		.amdhsa_float_round_mode_32 0
		.amdhsa_float_round_mode_16_64 0
		.amdhsa_float_denorm_mode_32 3
		.amdhsa_float_denorm_mode_16_64 3
		.amdhsa_dx10_clamp 1
		.amdhsa_ieee_mode 1
		.amdhsa_fp16_overflow 0
		.amdhsa_workgroup_processor_mode 1
		.amdhsa_memory_ordered 1
		.amdhsa_forward_progress 0
		.amdhsa_shared_vgpr_count 0
		.amdhsa_exception_fp_ieee_invalid_op 0
		.amdhsa_exception_fp_denorm_src 0
		.amdhsa_exception_fp_ieee_div_zero 0
		.amdhsa_exception_fp_ieee_overflow 0
		.amdhsa_exception_fp_ieee_underflow 0
		.amdhsa_exception_fp_ieee_inexact 0
		.amdhsa_exception_int_div_zero 0
	.end_amdhsa_kernel
	.section	.text._Z37inclusive_scan_prefix_callback_kernelILj37ELN6hipcub18BlockScanAlgorithmE1ElEvPT1_S3_S2_,"axG",@progbits,_Z37inclusive_scan_prefix_callback_kernelILj37ELN6hipcub18BlockScanAlgorithmE1ElEvPT1_S3_S2_,comdat
.Lfunc_end52:
	.size	_Z37inclusive_scan_prefix_callback_kernelILj37ELN6hipcub18BlockScanAlgorithmE1ElEvPT1_S3_S2_, .Lfunc_end52-_Z37inclusive_scan_prefix_callback_kernelILj37ELN6hipcub18BlockScanAlgorithmE1ElEvPT1_S3_S2_
                                        ; -- End function
	.section	.AMDGPU.csdata,"",@progbits
; Kernel info:
; codeLenInByte = 964
; NumSgprs: 18
; NumVgprs: 20
; ScratchSize: 0
; MemoryBound: 0
; FloatMode: 240
; IeeeMode: 1
; LDSByteSize: 528 bytes/workgroup (compile time only)
; SGPRBlocks: 2
; VGPRBlocks: 2
; NumSGPRsForWavesPerEU: 18
; NumVGPRsForWavesPerEU: 20
; Occupancy: 16
; WaveLimiterHint : 0
; COMPUTE_PGM_RSRC2:SCRATCH_EN: 0
; COMPUTE_PGM_RSRC2:USER_SGPR: 15
; COMPUTE_PGM_RSRC2:TRAP_HANDLER: 0
; COMPUTE_PGM_RSRC2:TGID_X_EN: 1
; COMPUTE_PGM_RSRC2:TGID_Y_EN: 0
; COMPUTE_PGM_RSRC2:TGID_Z_EN: 0
; COMPUTE_PGM_RSRC2:TIDIG_COMP_CNT: 0
	.section	.text._Z37inclusive_scan_prefix_callback_kernelILj65ELN6hipcub18BlockScanAlgorithmE1EmEvPT1_S3_S2_,"axG",@progbits,_Z37inclusive_scan_prefix_callback_kernelILj65ELN6hipcub18BlockScanAlgorithmE1EmEvPT1_S3_S2_,comdat
	.protected	_Z37inclusive_scan_prefix_callback_kernelILj65ELN6hipcub18BlockScanAlgorithmE1EmEvPT1_S3_S2_ ; -- Begin function _Z37inclusive_scan_prefix_callback_kernelILj65ELN6hipcub18BlockScanAlgorithmE1EmEvPT1_S3_S2_
	.globl	_Z37inclusive_scan_prefix_callback_kernelILj65ELN6hipcub18BlockScanAlgorithmE1EmEvPT1_S3_S2_
	.p2align	8
	.type	_Z37inclusive_scan_prefix_callback_kernelILj65ELN6hipcub18BlockScanAlgorithmE1EmEvPT1_S3_S2_,@function
_Z37inclusive_scan_prefix_callback_kernelILj65ELN6hipcub18BlockScanAlgorithmE1EmEvPT1_S3_S2_: ; @_Z37inclusive_scan_prefix_callback_kernelILj65ELN6hipcub18BlockScanAlgorithmE1EmEvPT1_S3_S2_
; %bb.0:
	s_clause 0x1
	s_load_b128 s[4:7], s[0:1], 0x0
	s_load_b64 s[8:9], s[0:1], 0x10
	s_mov_b32 s2, s15
	v_lshlrev_b32_e32 v15, 3, v0
	v_mad_u64_u32 v[1:2], null, 0x41, s2, v[0:1]
	v_mov_b32_e32 v2, 0
	s_delay_alu instid0(VALU_DEP_1) | instskip(SKIP_1) | instid1(VALU_DEP_1)
	v_lshlrev_b64 v[1:2], 3, v[1:2]
	s_waitcnt lgkmcnt(0)
	v_add_co_u32 v5, vcc_lo, s4, v1
	s_delay_alu instid0(VALU_DEP_2)
	v_add_co_ci_u32_e32 v6, vcc_lo, s5, v2, vcc_lo
	v_cmp_gt_u32_e32 vcc_lo, 32, v0
	global_load_b64 v[7:8], v[5:6], off
	s_waitcnt vmcnt(0)
	ds_store_b64 v15, v[7:8]
	s_waitcnt lgkmcnt(0)
	s_barrier
	buffer_gl0_inv
	s_and_saveexec_b32 s1, vcc_lo
	s_cbranch_execz .LBB53_10
; %bb.1:
	v_mul_u32_u24_e32 v1, 3, v0
	v_mbcnt_lo_u32_b32 v17, -1, 0
	s_mov_b32 s3, exec_lo
	s_delay_alu instid0(VALU_DEP_2) | instskip(NEXT) | instid1(VALU_DEP_2)
	v_lshlrev_b32_e32 v16, 3, v1
	v_and_b32_e32 v18, 15, v17
	ds_load_2addr_b64 v[1:4], v16 offset1:1
	ds_load_b64 v[9:10], v16 offset:16
	s_waitcnt lgkmcnt(1)
	v_add_co_u32 v11, s0, v3, v1
	s_delay_alu instid0(VALU_DEP_1) | instskip(SKIP_1) | instid1(VALU_DEP_2)
	v_add_co_ci_u32_e64 v12, s0, v4, v2, s0
	s_waitcnt lgkmcnt(0)
	v_add_co_u32 v11, s0, v11, v9
	s_delay_alu instid0(VALU_DEP_1) | instskip(NEXT) | instid1(VALU_DEP_2)
	v_add_co_ci_u32_e64 v12, s0, v12, v10, s0
	v_mov_b32_dpp v20, v11 row_shr:1 row_mask:0xf bank_mask:0xf
	s_delay_alu instid0(VALU_DEP_2)
	v_dual_mov_b32 v14, v12 :: v_dual_mov_b32 v13, v11
	v_mov_b32_dpp v19, v12 row_shr:1 row_mask:0xf bank_mask:0xf
	v_cmpx_ne_u32_e32 0, v18
; %bb.2:
	s_delay_alu instid0(VALU_DEP_4) | instskip(NEXT) | instid1(VALU_DEP_1)
	v_add_co_u32 v11, s0, v11, v20
	v_add_co_ci_u32_e64 v12, s0, 0, v12, s0
	s_delay_alu instid0(VALU_DEP_2) | instskip(NEXT) | instid1(VALU_DEP_1)
	v_add_co_u32 v13, s0, 0, v11
	v_add_co_ci_u32_e64 v14, s0, v19, v12, s0
	s_delay_alu instid0(VALU_DEP_1)
	v_mov_b32_e32 v12, v14
; %bb.3:
	s_or_b32 exec_lo, exec_lo, s3
	v_mov_b32_dpp v20, v11 row_shr:2 row_mask:0xf bank_mask:0xf
	s_delay_alu instid0(VALU_DEP_2)
	v_mov_b32_dpp v19, v12 row_shr:2 row_mask:0xf bank_mask:0xf
	s_mov_b32 s3, exec_lo
	v_cmpx_lt_u32_e32 1, v18
; %bb.4:
	s_delay_alu instid0(VALU_DEP_3) | instskip(NEXT) | instid1(VALU_DEP_1)
	v_add_co_u32 v11, s0, v13, v20
	v_add_co_ci_u32_e64 v12, s0, 0, v14, s0
	s_delay_alu instid0(VALU_DEP_2) | instskip(NEXT) | instid1(VALU_DEP_1)
	v_add_co_u32 v13, s0, 0, v11
	v_add_co_ci_u32_e64 v14, s0, v19, v12, s0
	s_delay_alu instid0(VALU_DEP_1)
	v_mov_b32_e32 v12, v14
; %bb.5:
	s_or_b32 exec_lo, exec_lo, s3
	v_mov_b32_dpp v20, v11 row_shr:4 row_mask:0xf bank_mask:0xf
	s_delay_alu instid0(VALU_DEP_2)
	v_mov_b32_dpp v19, v12 row_shr:4 row_mask:0xf bank_mask:0xf
	s_mov_b32 s3, exec_lo
	v_cmpx_lt_u32_e32 3, v18
; %bb.6:
	s_delay_alu instid0(VALU_DEP_3) | instskip(NEXT) | instid1(VALU_DEP_1)
	;; [unrolled: 16-line block ×3, first 2 shown]
	v_add_co_u32 v11, s0, v13, v20
	v_add_co_ci_u32_e64 v12, s0, 0, v14, s0
	s_delay_alu instid0(VALU_DEP_2) | instskip(NEXT) | instid1(VALU_DEP_1)
	v_add_co_u32 v13, s0, 0, v11
	v_add_co_ci_u32_e64 v14, s0, v19, v12, s0
	s_delay_alu instid0(VALU_DEP_1)
	v_mov_b32_e32 v12, v14
; %bb.9:
	s_or_b32 exec_lo, exec_lo, s3
	ds_swizzle_b32 v18, v11 offset:swizzle(BROADCAST,32,15)
	ds_swizzle_b32 v19, v12 offset:swizzle(BROADCAST,32,15)
	v_add_nc_u32_e32 v20, -1, v17
	v_and_b32_e32 v21, 16, v17
	s_delay_alu instid0(VALU_DEP_2) | instskip(NEXT) | instid1(VALU_DEP_1)
	v_cmp_gt_i32_e64 s0, 0, v20
	v_cndmask_b32_e64 v17, v20, v17, s0
	s_delay_alu instid0(VALU_DEP_1) | instskip(SKIP_2) | instid1(VALU_DEP_1)
	v_lshlrev_b32_e32 v17, 2, v17
	s_waitcnt lgkmcnt(1)
	v_add_co_u32 v13, s0, v13, v18
	v_add_co_ci_u32_e64 v14, s0, 0, v14, s0
	v_cmp_eq_u32_e64 s0, 0, v21
	s_delay_alu instid0(VALU_DEP_1) | instskip(SKIP_1) | instid1(VALU_DEP_3)
	v_cndmask_b32_e64 v11, v13, v11, s0
	s_waitcnt lgkmcnt(0)
	v_add_nc_u32_e32 v13, v19, v14
	ds_bpermute_b32 v11, v17, v11
	v_cndmask_b32_e64 v12, v13, v12, s0
	ds_bpermute_b32 v12, v17, v12
	s_waitcnt lgkmcnt(1)
	v_add_co_u32 v1, s0, v1, v11
	s_delay_alu instid0(VALU_DEP_1) | instskip(NEXT) | instid1(VALU_DEP_2)
	v_add_co_ci_u32_e64 v2, s0, 0, v2, s0
	v_add_co_u32 v1, s0, v1, 0
	s_waitcnt lgkmcnt(0)
	s_delay_alu instid0(VALU_DEP_2) | instskip(SKIP_1) | instid1(VALU_DEP_1)
	v_add_co_ci_u32_e64 v2, s0, v2, v12, s0
	v_cmp_eq_u32_e64 s0, 0, v0
	v_cndmask_b32_e64 v1, v1, v7, s0
	s_delay_alu instid0(VALU_DEP_3) | instskip(NEXT) | instid1(VALU_DEP_2)
	v_cndmask_b32_e64 v2, v2, v8, s0
	v_add_co_u32 v3, s0, v1, v3
	s_delay_alu instid0(VALU_DEP_1) | instskip(NEXT) | instid1(VALU_DEP_2)
	v_add_co_ci_u32_e64 v4, s0, v2, v4, s0
	v_add_co_u32 v7, s0, v3, v9
	s_delay_alu instid0(VALU_DEP_1)
	v_add_co_ci_u32_e64 v8, s0, v4, v10, s0
	ds_store_2addr_b64 v16, v[1:2], v[3:4] offset1:1
	ds_store_b64 v16, v[7:8] offset:16
.LBB53_10:
	s_or_b32 exec_lo, exec_lo, s1
	s_waitcnt lgkmcnt(0)
	s_barrier
	buffer_gl0_inv
	ds_load_b64 v[3:4], v15
	v_dual_mov_b32 v1, s8 :: v_dual_mov_b32 v2, s9
	s_and_saveexec_b32 s0, vcc_lo
	s_cbranch_execz .LBB53_14
; %bb.11:
	v_mov_b32_e32 v7, 0
	s_mov_b32 s1, exec_lo
	ds_load_b64 v[1:2], v7 offset:512
	s_waitcnt lgkmcnt(0)
	v_add_co_u32 v1, vcc_lo, v1, s8
	v_add_co_ci_u32_e32 v2, vcc_lo, s9, v2, vcc_lo
	v_cmpx_eq_u32_e32 0, v0
	s_cbranch_execz .LBB53_13
; %bb.12:
	v_dual_mov_b32 v8, s8 :: v_dual_mov_b32 v9, s9
	ds_store_b64 v7, v[8:9]
.LBB53_13:
	s_or_b32 exec_lo, exec_lo, s1
.LBB53_14:
	s_delay_alu instid0(SALU_CYCLE_1)
	s_or_b32 exec_lo, exec_lo, s0
	v_mov_b32_e32 v7, 0
	s_waitcnt lgkmcnt(0)
	s_barrier
	buffer_gl0_inv
	s_mov_b32 s3, 0
	ds_load_b64 v[8:9], v7
	s_mov_b32 s0, exec_lo
	s_waitcnt lgkmcnt(0)
	v_add_co_u32 v3, vcc_lo, v8, v3
	v_add_co_ci_u32_e32 v4, vcc_lo, v9, v4, vcc_lo
	global_store_b64 v[5:6], v[3:4], off
	v_cmpx_eq_u32_e32 0, v0
	s_cbranch_execz .LBB53_16
; %bb.15:
	s_lshl_b64 s[0:1], s[2:3], 3
	s_delay_alu instid0(SALU_CYCLE_1)
	s_add_u32 s0, s6, s0
	s_addc_u32 s1, s7, s1
	global_store_b64 v7, v[1:2], s[0:1]
.LBB53_16:
	s_nop 0
	s_sendmsg sendmsg(MSG_DEALLOC_VGPRS)
	s_endpgm
	.section	.rodata,"a",@progbits
	.p2align	6, 0x0
	.amdhsa_kernel _Z37inclusive_scan_prefix_callback_kernelILj65ELN6hipcub18BlockScanAlgorithmE1EmEvPT1_S3_S2_
		.amdhsa_group_segment_fixed_size 768
		.amdhsa_private_segment_fixed_size 0
		.amdhsa_kernarg_size 24
		.amdhsa_user_sgpr_count 15
		.amdhsa_user_sgpr_dispatch_ptr 0
		.amdhsa_user_sgpr_queue_ptr 0
		.amdhsa_user_sgpr_kernarg_segment_ptr 1
		.amdhsa_user_sgpr_dispatch_id 0
		.amdhsa_user_sgpr_private_segment_size 0
		.amdhsa_wavefront_size32 1
		.amdhsa_uses_dynamic_stack 0
		.amdhsa_enable_private_segment 0
		.amdhsa_system_sgpr_workgroup_id_x 1
		.amdhsa_system_sgpr_workgroup_id_y 0
		.amdhsa_system_sgpr_workgroup_id_z 0
		.amdhsa_system_sgpr_workgroup_info 0
		.amdhsa_system_vgpr_workitem_id 0
		.amdhsa_next_free_vgpr 22
		.amdhsa_next_free_sgpr 16
		.amdhsa_reserve_vcc 1
		.amdhsa_float_round_mode_32 0
		.amdhsa_float_round_mode_16_64 0
		.amdhsa_float_denorm_mode_32 3
		.amdhsa_float_denorm_mode_16_64 3
		.amdhsa_dx10_clamp 1
		.amdhsa_ieee_mode 1
		.amdhsa_fp16_overflow 0
		.amdhsa_workgroup_processor_mode 1
		.amdhsa_memory_ordered 1
		.amdhsa_forward_progress 0
		.amdhsa_shared_vgpr_count 0
		.amdhsa_exception_fp_ieee_invalid_op 0
		.amdhsa_exception_fp_denorm_src 0
		.amdhsa_exception_fp_ieee_div_zero 0
		.amdhsa_exception_fp_ieee_overflow 0
		.amdhsa_exception_fp_ieee_underflow 0
		.amdhsa_exception_fp_ieee_inexact 0
		.amdhsa_exception_int_div_zero 0
	.end_amdhsa_kernel
	.section	.text._Z37inclusive_scan_prefix_callback_kernelILj65ELN6hipcub18BlockScanAlgorithmE1EmEvPT1_S3_S2_,"axG",@progbits,_Z37inclusive_scan_prefix_callback_kernelILj65ELN6hipcub18BlockScanAlgorithmE1EmEvPT1_S3_S2_,comdat
.Lfunc_end53:
	.size	_Z37inclusive_scan_prefix_callback_kernelILj65ELN6hipcub18BlockScanAlgorithmE1EmEvPT1_S3_S2_, .Lfunc_end53-_Z37inclusive_scan_prefix_callback_kernelILj65ELN6hipcub18BlockScanAlgorithmE1EmEvPT1_S3_S2_
                                        ; -- End function
	.section	.AMDGPU.csdata,"",@progbits
; Kernel info:
; codeLenInByte = 1012
; NumSgprs: 18
; NumVgprs: 22
; ScratchSize: 0
; MemoryBound: 0
; FloatMode: 240
; IeeeMode: 1
; LDSByteSize: 768 bytes/workgroup (compile time only)
; SGPRBlocks: 2
; VGPRBlocks: 2
; NumSGPRsForWavesPerEU: 18
; NumVGPRsForWavesPerEU: 22
; Occupancy: 16
; WaveLimiterHint : 0
; COMPUTE_PGM_RSRC2:SCRATCH_EN: 0
; COMPUTE_PGM_RSRC2:USER_SGPR: 15
; COMPUTE_PGM_RSRC2:TRAP_HANDLER: 0
; COMPUTE_PGM_RSRC2:TGID_X_EN: 1
; COMPUTE_PGM_RSRC2:TGID_Y_EN: 0
; COMPUTE_PGM_RSRC2:TGID_Z_EN: 0
; COMPUTE_PGM_RSRC2:TIDIG_COMP_CNT: 0
	.section	.text._Z37inclusive_scan_prefix_callback_kernelILj512ELN6hipcub18BlockScanAlgorithmE1EiEvPT1_S3_S2_,"axG",@progbits,_Z37inclusive_scan_prefix_callback_kernelILj512ELN6hipcub18BlockScanAlgorithmE1EiEvPT1_S3_S2_,comdat
	.protected	_Z37inclusive_scan_prefix_callback_kernelILj512ELN6hipcub18BlockScanAlgorithmE1EiEvPT1_S3_S2_ ; -- Begin function _Z37inclusive_scan_prefix_callback_kernelILj512ELN6hipcub18BlockScanAlgorithmE1EiEvPT1_S3_S2_
	.globl	_Z37inclusive_scan_prefix_callback_kernelILj512ELN6hipcub18BlockScanAlgorithmE1EiEvPT1_S3_S2_
	.p2align	8
	.type	_Z37inclusive_scan_prefix_callback_kernelILj512ELN6hipcub18BlockScanAlgorithmE1EiEvPT1_S3_S2_,@function
_Z37inclusive_scan_prefix_callback_kernelILj512ELN6hipcub18BlockScanAlgorithmE1EiEvPT1_S3_S2_: ; @_Z37inclusive_scan_prefix_callback_kernelILj512ELN6hipcub18BlockScanAlgorithmE1EiEvPT1_S3_S2_
; %bb.0:
	s_load_b128 s[4:7], s[0:1], 0x0
	s_mov_b32 s8, s15
	v_mov_b32_e32 v2, 0
	v_lshl_or_b32 v1, s8, 9, v0
	v_lshrrev_b32_e32 v3, 5, v0
	s_delay_alu instid0(VALU_DEP_2) | instskip(NEXT) | instid1(VALU_DEP_2)
	v_lshlrev_b64 v[1:2], 2, v[1:2]
	v_add_lshl_u32 v3, v3, v0, 2
	s_waitcnt lgkmcnt(0)
	s_delay_alu instid0(VALU_DEP_2) | instskip(NEXT) | instid1(VALU_DEP_3)
	v_add_co_u32 v1, vcc_lo, s4, v1
	v_add_co_ci_u32_e32 v2, vcc_lo, s5, v2, vcc_lo
	v_cmp_gt_u32_e32 vcc_lo, 32, v0
	global_load_b32 v4, v[1:2], off
	s_waitcnt vmcnt(0)
	ds_store_b32 v3, v4
	s_waitcnt lgkmcnt(0)
	s_barrier
	buffer_gl0_inv
	s_and_saveexec_b32 s3, vcc_lo
	s_cbranch_execz .LBB54_2
; %bb.1:
	v_lshlrev_b32_e32 v5, 1, v0
	v_mbcnt_lo_u32_b32 v23, -1, 0
	s_delay_alu instid0(VALU_DEP_2) | instskip(NEXT) | instid1(VALU_DEP_2)
	v_and_b32_e32 v5, 0x3fc, v5
	v_and_b32_e32 v24, 15, v23
	v_bfe_i32 v26, v23, 4, 1
	s_delay_alu instid0(VALU_DEP_3) | instskip(NEXT) | instid1(VALU_DEP_3)
	v_lshl_or_b32 v21, v0, 6, v5
	v_cmp_ne_u32_e64 s2, 0, v24
	ds_load_2addr_b32 v[5:6], v21 offset1:1
	ds_load_2addr_b32 v[7:8], v21 offset0:2 offset1:3
	ds_load_2addr_b32 v[9:10], v21 offset0:4 offset1:5
	;; [unrolled: 1-line block ×4, first 2 shown]
	s_waitcnt lgkmcnt(4)
	v_add_nc_u32_e32 v15, v6, v5
	s_waitcnt lgkmcnt(3)
	s_delay_alu instid0(VALU_DEP_1)
	v_add3_u32 v17, v15, v7, v8
	ds_load_2addr_b32 v[15:16], v21 offset0:10 offset1:11
	s_waitcnt lgkmcnt(3)
	v_add3_u32 v22, v17, v9, v10
	ds_load_2addr_b32 v[17:18], v21 offset0:12 offset1:13
	ds_load_2addr_b32 v[19:20], v21 offset0:14 offset1:15
	s_waitcnt lgkmcnt(4)
	v_add3_u32 v22, v22, v11, v12
	s_waitcnt lgkmcnt(3)
	s_delay_alu instid0(VALU_DEP_1) | instskip(SKIP_1) | instid1(VALU_DEP_1)
	v_add3_u32 v22, v22, v13, v14
	s_waitcnt lgkmcnt(2)
	v_add3_u32 v22, v22, v15, v16
	s_waitcnt lgkmcnt(1)
	s_delay_alu instid0(VALU_DEP_1) | instskip(SKIP_1) | instid1(VALU_DEP_1)
	v_add3_u32 v22, v22, v17, v18
	s_waitcnt lgkmcnt(0)
	v_add3_u32 v22, v22, v19, v20
	s_delay_alu instid0(VALU_DEP_1) | instskip(NEXT) | instid1(VALU_DEP_1)
	v_mov_b32_dpp v25, v22 row_shr:1 row_mask:0xf bank_mask:0xf
	v_cndmask_b32_e64 v25, 0, v25, s2
	v_cmp_lt_u32_e64 s2, 1, v24
	s_delay_alu instid0(VALU_DEP_2) | instskip(NEXT) | instid1(VALU_DEP_1)
	v_add_nc_u32_e32 v22, v25, v22
	v_mov_b32_dpp v25, v22 row_shr:2 row_mask:0xf bank_mask:0xf
	s_delay_alu instid0(VALU_DEP_1) | instskip(SKIP_1) | instid1(VALU_DEP_2)
	v_cndmask_b32_e64 v25, 0, v25, s2
	v_cmp_lt_u32_e64 s2, 3, v24
	v_add_nc_u32_e32 v22, v22, v25
	s_delay_alu instid0(VALU_DEP_1) | instskip(NEXT) | instid1(VALU_DEP_1)
	v_mov_b32_dpp v25, v22 row_shr:4 row_mask:0xf bank_mask:0xf
	v_cndmask_b32_e64 v25, 0, v25, s2
	v_cmp_lt_u32_e64 s2, 7, v24
	s_delay_alu instid0(VALU_DEP_2) | instskip(NEXT) | instid1(VALU_DEP_1)
	v_add_nc_u32_e32 v22, v22, v25
	v_mov_b32_dpp v25, v22 row_shr:8 row_mask:0xf bank_mask:0xf
	s_delay_alu instid0(VALU_DEP_1) | instskip(SKIP_1) | instid1(VALU_DEP_2)
	v_cndmask_b32_e64 v24, 0, v25, s2
	v_add_nc_u32_e32 v25, -1, v23
	v_add_nc_u32_e32 v22, v22, v24
	s_delay_alu instid0(VALU_DEP_2) | instskip(SKIP_3) | instid1(VALU_DEP_2)
	v_cmp_gt_i32_e64 s2, 0, v25
	ds_swizzle_b32 v24, v22 offset:swizzle(BROADCAST,32,15)
	v_cndmask_b32_e64 v23, v25, v23, s2
	v_cmp_eq_u32_e64 s2, 0, v0
	v_lshlrev_b32_e32 v23, 2, v23
	s_waitcnt lgkmcnt(0)
	v_and_b32_e32 v24, v26, v24
	s_delay_alu instid0(VALU_DEP_1) | instskip(SKIP_3) | instid1(VALU_DEP_1)
	v_add_nc_u32_e32 v22, v22, v24
	ds_bpermute_b32 v22, v23, v22
	s_waitcnt lgkmcnt(0)
	v_add_nc_u32_e32 v5, v22, v5
	v_cndmask_b32_e64 v4, v5, v4, s2
	s_delay_alu instid0(VALU_DEP_1) | instskip(NEXT) | instid1(VALU_DEP_1)
	v_add_nc_u32_e32 v5, v4, v6
	v_add_nc_u32_e32 v6, v5, v7
	s_delay_alu instid0(VALU_DEP_1) | instskip(NEXT) | instid1(VALU_DEP_1)
	v_add_nc_u32_e32 v7, v6, v8
	v_add_nc_u32_e32 v8, v7, v9
	;; [unrolled: 3-line block ×7, first 2 shown]
	s_delay_alu instid0(VALU_DEP_1)
	v_add_nc_u32_e32 v19, v18, v20
	ds_store_2addr_b32 v21, v4, v5 offset1:1
	ds_store_2addr_b32 v21, v6, v7 offset0:2 offset1:3
	ds_store_2addr_b32 v21, v8, v9 offset0:4 offset1:5
	;; [unrolled: 1-line block ×7, first 2 shown]
.LBB54_2:
	s_or_b32 exec_lo, exec_lo, s3
	s_load_b32 s0, s[0:1], 0x10
	s_waitcnt lgkmcnt(0)
	s_barrier
	buffer_gl0_inv
	ds_load_b32 v4, v3
	v_mov_b32_e32 v3, s0
	s_and_saveexec_b32 s1, vcc_lo
	s_cbranch_execz .LBB54_6
; %bb.3:
	v_mov_b32_e32 v5, 0
	s_mov_b32 s2, exec_lo
	ds_load_b32 v3, v5 offset:2104
	v_cmpx_eq_u32_e32 0, v0
	s_cbranch_execz .LBB54_5
; %bb.4:
	v_mov_b32_e32 v6, s0
	ds_store_b32 v5, v6
.LBB54_5:
	s_or_b32 exec_lo, exec_lo, s2
	s_waitcnt lgkmcnt(0)
	v_add_nc_u32_e32 v3, s0, v3
.LBB54_6:
	s_or_b32 exec_lo, exec_lo, s1
	v_mov_b32_e32 v5, 0
	s_waitcnt lgkmcnt(0)
	s_barrier
	buffer_gl0_inv
	s_mov_b32 s9, 0
	ds_load_b32 v6, v5
	s_mov_b32 s0, exec_lo
	s_waitcnt lgkmcnt(0)
	v_add_nc_u32_e32 v4, v6, v4
	global_store_b32 v[1:2], v4, off
	v_cmpx_eq_u32_e32 0, v0
	s_cbranch_execz .LBB54_8
; %bb.7:
	s_lshl_b64 s[0:1], s[8:9], 2
	s_delay_alu instid0(SALU_CYCLE_1)
	s_add_u32 s0, s6, s0
	s_addc_u32 s1, s7, s1
	global_store_b32 v5, v3, s[0:1]
.LBB54_8:
	s_nop 0
	s_sendmsg sendmsg(MSG_DEALLOC_VGPRS)
	s_endpgm
	.section	.rodata,"a",@progbits
	.p2align	6, 0x0
	.amdhsa_kernel _Z37inclusive_scan_prefix_callback_kernelILj512ELN6hipcub18BlockScanAlgorithmE1EiEvPT1_S3_S2_
		.amdhsa_group_segment_fixed_size 2112
		.amdhsa_private_segment_fixed_size 0
		.amdhsa_kernarg_size 20
		.amdhsa_user_sgpr_count 15
		.amdhsa_user_sgpr_dispatch_ptr 0
		.amdhsa_user_sgpr_queue_ptr 0
		.amdhsa_user_sgpr_kernarg_segment_ptr 1
		.amdhsa_user_sgpr_dispatch_id 0
		.amdhsa_user_sgpr_private_segment_size 0
		.amdhsa_wavefront_size32 1
		.amdhsa_uses_dynamic_stack 0
		.amdhsa_enable_private_segment 0
		.amdhsa_system_sgpr_workgroup_id_x 1
		.amdhsa_system_sgpr_workgroup_id_y 0
		.amdhsa_system_sgpr_workgroup_id_z 0
		.amdhsa_system_sgpr_workgroup_info 0
		.amdhsa_system_vgpr_workitem_id 0
		.amdhsa_next_free_vgpr 27
		.amdhsa_next_free_sgpr 16
		.amdhsa_reserve_vcc 1
		.amdhsa_float_round_mode_32 0
		.amdhsa_float_round_mode_16_64 0
		.amdhsa_float_denorm_mode_32 3
		.amdhsa_float_denorm_mode_16_64 3
		.amdhsa_dx10_clamp 1
		.amdhsa_ieee_mode 1
		.amdhsa_fp16_overflow 0
		.amdhsa_workgroup_processor_mode 1
		.amdhsa_memory_ordered 1
		.amdhsa_forward_progress 0
		.amdhsa_shared_vgpr_count 0
		.amdhsa_exception_fp_ieee_invalid_op 0
		.amdhsa_exception_fp_denorm_src 0
		.amdhsa_exception_fp_ieee_div_zero 0
		.amdhsa_exception_fp_ieee_overflow 0
		.amdhsa_exception_fp_ieee_underflow 0
		.amdhsa_exception_fp_ieee_inexact 0
		.amdhsa_exception_int_div_zero 0
	.end_amdhsa_kernel
	.section	.text._Z37inclusive_scan_prefix_callback_kernelILj512ELN6hipcub18BlockScanAlgorithmE1EiEvPT1_S3_S2_,"axG",@progbits,_Z37inclusive_scan_prefix_callback_kernelILj512ELN6hipcub18BlockScanAlgorithmE1EiEvPT1_S3_S2_,comdat
.Lfunc_end54:
	.size	_Z37inclusive_scan_prefix_callback_kernelILj512ELN6hipcub18BlockScanAlgorithmE1EiEvPT1_S3_S2_, .Lfunc_end54-_Z37inclusive_scan_prefix_callback_kernelILj512ELN6hipcub18BlockScanAlgorithmE1EiEvPT1_S3_S2_
                                        ; -- End function
	.section	.AMDGPU.csdata,"",@progbits
; Kernel info:
; codeLenInByte = 904
; NumSgprs: 18
; NumVgprs: 27
; ScratchSize: 0
; MemoryBound: 0
; FloatMode: 240
; IeeeMode: 1
; LDSByteSize: 2112 bytes/workgroup (compile time only)
; SGPRBlocks: 2
; VGPRBlocks: 3
; NumSGPRsForWavesPerEU: 18
; NumVGPRsForWavesPerEU: 27
; Occupancy: 16
; WaveLimiterHint : 0
; COMPUTE_PGM_RSRC2:SCRATCH_EN: 0
; COMPUTE_PGM_RSRC2:USER_SGPR: 15
; COMPUTE_PGM_RSRC2:TRAP_HANDLER: 0
; COMPUTE_PGM_RSRC2:TGID_X_EN: 1
; COMPUTE_PGM_RSRC2:TGID_Y_EN: 0
; COMPUTE_PGM_RSRC2:TGID_Z_EN: 0
; COMPUTE_PGM_RSRC2:TIDIG_COMP_CNT: 0
	.section	.text._Z37inclusive_scan_prefix_callback_kernelILj256ELN6hipcub18BlockScanAlgorithmE1EiEvPT1_S3_S2_,"axG",@progbits,_Z37inclusive_scan_prefix_callback_kernelILj256ELN6hipcub18BlockScanAlgorithmE1EiEvPT1_S3_S2_,comdat
	.protected	_Z37inclusive_scan_prefix_callback_kernelILj256ELN6hipcub18BlockScanAlgorithmE1EiEvPT1_S3_S2_ ; -- Begin function _Z37inclusive_scan_prefix_callback_kernelILj256ELN6hipcub18BlockScanAlgorithmE1EiEvPT1_S3_S2_
	.globl	_Z37inclusive_scan_prefix_callback_kernelILj256ELN6hipcub18BlockScanAlgorithmE1EiEvPT1_S3_S2_
	.p2align	8
	.type	_Z37inclusive_scan_prefix_callback_kernelILj256ELN6hipcub18BlockScanAlgorithmE1EiEvPT1_S3_S2_,@function
_Z37inclusive_scan_prefix_callback_kernelILj256ELN6hipcub18BlockScanAlgorithmE1EiEvPT1_S3_S2_: ; @_Z37inclusive_scan_prefix_callback_kernelILj256ELN6hipcub18BlockScanAlgorithmE1EiEvPT1_S3_S2_
; %bb.0:
	s_load_b128 s[4:7], s[0:1], 0x0
	s_mov_b32 s8, s15
	v_mov_b32_e32 v2, 0
	v_lshl_or_b32 v1, s8, 8, v0
	v_lshrrev_b32_e32 v3, 5, v0
	s_delay_alu instid0(VALU_DEP_2) | instskip(NEXT) | instid1(VALU_DEP_2)
	v_lshlrev_b64 v[1:2], 2, v[1:2]
	v_add_lshl_u32 v3, v3, v0, 2
	s_waitcnt lgkmcnt(0)
	s_delay_alu instid0(VALU_DEP_2) | instskip(NEXT) | instid1(VALU_DEP_3)
	v_add_co_u32 v1, vcc_lo, s4, v1
	v_add_co_ci_u32_e32 v2, vcc_lo, s5, v2, vcc_lo
	v_cmp_gt_u32_e32 vcc_lo, 32, v0
	global_load_b32 v4, v[1:2], off
	s_waitcnt vmcnt(0)
	ds_store_b32 v3, v4
	s_waitcnt lgkmcnt(0)
	s_barrier
	buffer_gl0_inv
	s_and_saveexec_b32 s3, vcc_lo
	s_cbranch_execz .LBB55_2
; %bb.1:
	v_and_b32_e32 v5, 0xfc, v0
	v_mbcnt_lo_u32_b32 v15, -1, 0
	s_delay_alu instid0(VALU_DEP_2) | instskip(NEXT) | instid1(VALU_DEP_2)
	v_lshl_or_b32 v13, v0, 5, v5
	v_and_b32_e32 v16, 15, v15
	v_add_nc_u32_e32 v18, -1, v15
	ds_load_2addr_b32 v[5:6], v13 offset1:1
	ds_load_2addr_b32 v[7:8], v13 offset0:2 offset1:3
	ds_load_2addr_b32 v[9:10], v13 offset0:4 offset1:5
	;; [unrolled: 1-line block ×3, first 2 shown]
	v_cmp_ne_u32_e64 s2, 0, v16
	s_waitcnt lgkmcnt(3)
	v_add_nc_u32_e32 v14, v6, v5
	s_waitcnt lgkmcnt(2)
	s_delay_alu instid0(VALU_DEP_1) | instskip(SKIP_1) | instid1(VALU_DEP_1)
	v_add3_u32 v14, v14, v7, v8
	s_waitcnt lgkmcnt(1)
	v_add3_u32 v14, v14, v9, v10
	s_waitcnt lgkmcnt(0)
	s_delay_alu instid0(VALU_DEP_1) | instskip(NEXT) | instid1(VALU_DEP_1)
	v_add3_u32 v14, v14, v11, v12
	v_mov_b32_dpp v17, v14 row_shr:1 row_mask:0xf bank_mask:0xf
	s_delay_alu instid0(VALU_DEP_1) | instskip(SKIP_1) | instid1(VALU_DEP_2)
	v_cndmask_b32_e64 v17, 0, v17, s2
	v_cmp_lt_u32_e64 s2, 1, v16
	v_add_nc_u32_e32 v14, v17, v14
	s_delay_alu instid0(VALU_DEP_1) | instskip(NEXT) | instid1(VALU_DEP_1)
	v_mov_b32_dpp v17, v14 row_shr:2 row_mask:0xf bank_mask:0xf
	v_cndmask_b32_e64 v17, 0, v17, s2
	v_cmp_lt_u32_e64 s2, 3, v16
	s_delay_alu instid0(VALU_DEP_2) | instskip(NEXT) | instid1(VALU_DEP_1)
	v_add_nc_u32_e32 v14, v14, v17
	v_mov_b32_dpp v17, v14 row_shr:4 row_mask:0xf bank_mask:0xf
	s_delay_alu instid0(VALU_DEP_1) | instskip(SKIP_1) | instid1(VALU_DEP_2)
	v_cndmask_b32_e64 v17, 0, v17, s2
	v_cmp_lt_u32_e64 s2, 7, v16
	v_add_nc_u32_e32 v14, v14, v17
	s_delay_alu instid0(VALU_DEP_1) | instskip(NEXT) | instid1(VALU_DEP_1)
	v_mov_b32_dpp v17, v14 row_shr:8 row_mask:0xf bank_mask:0xf
	v_cndmask_b32_e64 v16, 0, v17, s2
	v_bfe_i32 v17, v15, 4, 1
	v_cmp_gt_i32_e64 s2, 0, v18
	s_delay_alu instid0(VALU_DEP_3) | instskip(NEXT) | instid1(VALU_DEP_2)
	v_add_nc_u32_e32 v14, v14, v16
	v_cndmask_b32_e64 v15, v18, v15, s2
	v_cmp_eq_u32_e64 s2, 0, v0
	ds_swizzle_b32 v16, v14 offset:swizzle(BROADCAST,32,15)
	v_lshlrev_b32_e32 v15, 2, v15
	s_waitcnt lgkmcnt(0)
	v_and_b32_e32 v16, v17, v16
	s_delay_alu instid0(VALU_DEP_1) | instskip(SKIP_3) | instid1(VALU_DEP_1)
	v_add_nc_u32_e32 v14, v14, v16
	ds_bpermute_b32 v14, v15, v14
	s_waitcnt lgkmcnt(0)
	v_add_nc_u32_e32 v5, v14, v5
	v_cndmask_b32_e64 v4, v5, v4, s2
	s_delay_alu instid0(VALU_DEP_1) | instskip(NEXT) | instid1(VALU_DEP_1)
	v_add_nc_u32_e32 v5, v4, v6
	v_add_nc_u32_e32 v6, v5, v7
	s_delay_alu instid0(VALU_DEP_1) | instskip(NEXT) | instid1(VALU_DEP_1)
	v_add_nc_u32_e32 v7, v6, v8
	v_add_nc_u32_e32 v8, v7, v9
	;; [unrolled: 3-line block ×3, first 2 shown]
	s_delay_alu instid0(VALU_DEP_1)
	v_add_nc_u32_e32 v11, v10, v12
	ds_store_2addr_b32 v13, v4, v5 offset1:1
	ds_store_2addr_b32 v13, v6, v7 offset0:2 offset1:3
	ds_store_2addr_b32 v13, v8, v9 offset0:4 offset1:5
	;; [unrolled: 1-line block ×3, first 2 shown]
.LBB55_2:
	s_or_b32 exec_lo, exec_lo, s3
	s_load_b32 s0, s[0:1], 0x10
	s_waitcnt lgkmcnt(0)
	s_barrier
	buffer_gl0_inv
	ds_load_b32 v4, v3
	v_mov_b32_e32 v3, s0
	s_and_saveexec_b32 s1, vcc_lo
	s_cbranch_execz .LBB55_6
; %bb.3:
	v_mov_b32_e32 v5, 0
	s_mov_b32 s2, exec_lo
	ds_load_b32 v3, v5 offset:1048
	v_cmpx_eq_u32_e32 0, v0
	s_cbranch_execz .LBB55_5
; %bb.4:
	v_mov_b32_e32 v6, s0
	ds_store_b32 v5, v6
.LBB55_5:
	s_or_b32 exec_lo, exec_lo, s2
	s_waitcnt lgkmcnt(0)
	v_add_nc_u32_e32 v3, s0, v3
.LBB55_6:
	s_or_b32 exec_lo, exec_lo, s1
	v_mov_b32_e32 v5, 0
	s_waitcnt lgkmcnt(0)
	s_barrier
	buffer_gl0_inv
	s_mov_b32 s9, 0
	ds_load_b32 v6, v5
	s_mov_b32 s0, exec_lo
	s_waitcnt lgkmcnt(0)
	v_add_nc_u32_e32 v4, v6, v4
	global_store_b32 v[1:2], v4, off
	v_cmpx_eq_u32_e32 0, v0
	s_cbranch_execz .LBB55_8
; %bb.7:
	s_lshl_b64 s[0:1], s[8:9], 2
	s_delay_alu instid0(SALU_CYCLE_1)
	s_add_u32 s0, s6, s0
	s_addc_u32 s1, s7, s1
	global_store_b32 v5, v3, s[0:1]
.LBB55_8:
	s_nop 0
	s_sendmsg sendmsg(MSG_DEALLOC_VGPRS)
	s_endpgm
	.section	.rodata,"a",@progbits
	.p2align	6, 0x0
	.amdhsa_kernel _Z37inclusive_scan_prefix_callback_kernelILj256ELN6hipcub18BlockScanAlgorithmE1EiEvPT1_S3_S2_
		.amdhsa_group_segment_fixed_size 1056
		.amdhsa_private_segment_fixed_size 0
		.amdhsa_kernarg_size 20
		.amdhsa_user_sgpr_count 15
		.amdhsa_user_sgpr_dispatch_ptr 0
		.amdhsa_user_sgpr_queue_ptr 0
		.amdhsa_user_sgpr_kernarg_segment_ptr 1
		.amdhsa_user_sgpr_dispatch_id 0
		.amdhsa_user_sgpr_private_segment_size 0
		.amdhsa_wavefront_size32 1
		.amdhsa_uses_dynamic_stack 0
		.amdhsa_enable_private_segment 0
		.amdhsa_system_sgpr_workgroup_id_x 1
		.amdhsa_system_sgpr_workgroup_id_y 0
		.amdhsa_system_sgpr_workgroup_id_z 0
		.amdhsa_system_sgpr_workgroup_info 0
		.amdhsa_system_vgpr_workitem_id 0
		.amdhsa_next_free_vgpr 19
		.amdhsa_next_free_sgpr 16
		.amdhsa_reserve_vcc 1
		.amdhsa_float_round_mode_32 0
		.amdhsa_float_round_mode_16_64 0
		.amdhsa_float_denorm_mode_32 3
		.amdhsa_float_denorm_mode_16_64 3
		.amdhsa_dx10_clamp 1
		.amdhsa_ieee_mode 1
		.amdhsa_fp16_overflow 0
		.amdhsa_workgroup_processor_mode 1
		.amdhsa_memory_ordered 1
		.amdhsa_forward_progress 0
		.amdhsa_shared_vgpr_count 0
		.amdhsa_exception_fp_ieee_invalid_op 0
		.amdhsa_exception_fp_denorm_src 0
		.amdhsa_exception_fp_ieee_div_zero 0
		.amdhsa_exception_fp_ieee_overflow 0
		.amdhsa_exception_fp_ieee_underflow 0
		.amdhsa_exception_fp_ieee_inexact 0
		.amdhsa_exception_int_div_zero 0
	.end_amdhsa_kernel
	.section	.text._Z37inclusive_scan_prefix_callback_kernelILj256ELN6hipcub18BlockScanAlgorithmE1EiEvPT1_S3_S2_,"axG",@progbits,_Z37inclusive_scan_prefix_callback_kernelILj256ELN6hipcub18BlockScanAlgorithmE1EiEvPT1_S3_S2_,comdat
.Lfunc_end55:
	.size	_Z37inclusive_scan_prefix_callback_kernelILj256ELN6hipcub18BlockScanAlgorithmE1EiEvPT1_S3_S2_, .Lfunc_end55-_Z37inclusive_scan_prefix_callback_kernelILj256ELN6hipcub18BlockScanAlgorithmE1EiEvPT1_S3_S2_
                                        ; -- End function
	.section	.AMDGPU.csdata,"",@progbits
; Kernel info:
; codeLenInByte = 728
; NumSgprs: 18
; NumVgprs: 19
; ScratchSize: 0
; MemoryBound: 0
; FloatMode: 240
; IeeeMode: 1
; LDSByteSize: 1056 bytes/workgroup (compile time only)
; SGPRBlocks: 2
; VGPRBlocks: 2
; NumSGPRsForWavesPerEU: 18
; NumVGPRsForWavesPerEU: 19
; Occupancy: 16
; WaveLimiterHint : 0
; COMPUTE_PGM_RSRC2:SCRATCH_EN: 0
; COMPUTE_PGM_RSRC2:USER_SGPR: 15
; COMPUTE_PGM_RSRC2:TRAP_HANDLER: 0
; COMPUTE_PGM_RSRC2:TGID_X_EN: 1
; COMPUTE_PGM_RSRC2:TGID_Y_EN: 0
; COMPUTE_PGM_RSRC2:TGID_Z_EN: 0
; COMPUTE_PGM_RSRC2:TIDIG_COMP_CNT: 0
	.section	.text._Z37inclusive_scan_prefix_callback_kernelILj128ELN6hipcub18BlockScanAlgorithmE1EiEvPT1_S3_S2_,"axG",@progbits,_Z37inclusive_scan_prefix_callback_kernelILj128ELN6hipcub18BlockScanAlgorithmE1EiEvPT1_S3_S2_,comdat
	.protected	_Z37inclusive_scan_prefix_callback_kernelILj128ELN6hipcub18BlockScanAlgorithmE1EiEvPT1_S3_S2_ ; -- Begin function _Z37inclusive_scan_prefix_callback_kernelILj128ELN6hipcub18BlockScanAlgorithmE1EiEvPT1_S3_S2_
	.globl	_Z37inclusive_scan_prefix_callback_kernelILj128ELN6hipcub18BlockScanAlgorithmE1EiEvPT1_S3_S2_
	.p2align	8
	.type	_Z37inclusive_scan_prefix_callback_kernelILj128ELN6hipcub18BlockScanAlgorithmE1EiEvPT1_S3_S2_,@function
_Z37inclusive_scan_prefix_callback_kernelILj128ELN6hipcub18BlockScanAlgorithmE1EiEvPT1_S3_S2_: ; @_Z37inclusive_scan_prefix_callback_kernelILj128ELN6hipcub18BlockScanAlgorithmE1EiEvPT1_S3_S2_
; %bb.0:
	s_load_b128 s[4:7], s[0:1], 0x0
	s_mov_b32 s8, s15
	v_mov_b32_e32 v2, 0
	v_lshl_or_b32 v1, s8, 7, v0
	v_lshrrev_b32_e32 v3, 5, v0
	s_delay_alu instid0(VALU_DEP_2) | instskip(NEXT) | instid1(VALU_DEP_2)
	v_lshlrev_b64 v[1:2], 2, v[1:2]
	v_add_lshl_u32 v3, v3, v0, 2
	s_waitcnt lgkmcnt(0)
	s_delay_alu instid0(VALU_DEP_2) | instskip(NEXT) | instid1(VALU_DEP_3)
	v_add_co_u32 v1, vcc_lo, s4, v1
	v_add_co_ci_u32_e32 v2, vcc_lo, s5, v2, vcc_lo
	v_cmp_gt_u32_e32 vcc_lo, 32, v0
	global_load_b32 v4, v[1:2], off
	s_waitcnt vmcnt(0)
	ds_store_b32 v3, v4
	s_waitcnt lgkmcnt(0)
	s_barrier
	buffer_gl0_inv
	s_and_saveexec_b32 s3, vcc_lo
	s_cbranch_execz .LBB56_2
; %bb.1:
	v_lshrrev_b32_e32 v5, 1, v0
	v_mbcnt_lo_u32_b32 v11, -1, 0
	s_delay_alu instid0(VALU_DEP_2) | instskip(NEXT) | instid1(VALU_DEP_2)
	v_and_b32_e32 v5, 60, v5
	v_and_b32_e32 v12, 15, v11
	v_add_nc_u32_e32 v14, -1, v11
	s_delay_alu instid0(VALU_DEP_3) | instskip(NEXT) | instid1(VALU_DEP_3)
	v_lshl_or_b32 v9, v0, 4, v5
	v_cmp_ne_u32_e64 s2, 0, v12
	ds_load_2addr_b32 v[5:6], v9 offset1:1
	ds_load_2addr_b32 v[7:8], v9 offset0:2 offset1:3
	s_waitcnt lgkmcnt(1)
	v_add_nc_u32_e32 v10, v6, v5
	s_waitcnt lgkmcnt(0)
	s_delay_alu instid0(VALU_DEP_1) | instskip(NEXT) | instid1(VALU_DEP_1)
	v_add3_u32 v10, v10, v7, v8
	v_mov_b32_dpp v13, v10 row_shr:1 row_mask:0xf bank_mask:0xf
	s_delay_alu instid0(VALU_DEP_1) | instskip(SKIP_1) | instid1(VALU_DEP_2)
	v_cndmask_b32_e64 v13, 0, v13, s2
	v_cmp_lt_u32_e64 s2, 1, v12
	v_add_nc_u32_e32 v10, v13, v10
	s_delay_alu instid0(VALU_DEP_1) | instskip(NEXT) | instid1(VALU_DEP_1)
	v_mov_b32_dpp v13, v10 row_shr:2 row_mask:0xf bank_mask:0xf
	v_cndmask_b32_e64 v13, 0, v13, s2
	v_cmp_lt_u32_e64 s2, 3, v12
	s_delay_alu instid0(VALU_DEP_2) | instskip(NEXT) | instid1(VALU_DEP_1)
	v_add_nc_u32_e32 v10, v10, v13
	v_mov_b32_dpp v13, v10 row_shr:4 row_mask:0xf bank_mask:0xf
	s_delay_alu instid0(VALU_DEP_1) | instskip(SKIP_1) | instid1(VALU_DEP_2)
	v_cndmask_b32_e64 v13, 0, v13, s2
	v_cmp_lt_u32_e64 s2, 7, v12
	v_add_nc_u32_e32 v10, v10, v13
	s_delay_alu instid0(VALU_DEP_1) | instskip(NEXT) | instid1(VALU_DEP_1)
	v_mov_b32_dpp v13, v10 row_shr:8 row_mask:0xf bank_mask:0xf
	v_cndmask_b32_e64 v12, 0, v13, s2
	v_bfe_i32 v13, v11, 4, 1
	v_cmp_gt_i32_e64 s2, 0, v14
	s_delay_alu instid0(VALU_DEP_3) | instskip(NEXT) | instid1(VALU_DEP_2)
	v_add_nc_u32_e32 v10, v10, v12
	v_cndmask_b32_e64 v11, v14, v11, s2
	v_cmp_eq_u32_e64 s2, 0, v0
	ds_swizzle_b32 v12, v10 offset:swizzle(BROADCAST,32,15)
	v_lshlrev_b32_e32 v11, 2, v11
	s_waitcnt lgkmcnt(0)
	v_and_b32_e32 v12, v13, v12
	s_delay_alu instid0(VALU_DEP_1) | instskip(SKIP_3) | instid1(VALU_DEP_1)
	v_add_nc_u32_e32 v10, v10, v12
	ds_bpermute_b32 v10, v11, v10
	s_waitcnt lgkmcnt(0)
	v_add_nc_u32_e32 v5, v10, v5
	v_cndmask_b32_e64 v4, v5, v4, s2
	s_delay_alu instid0(VALU_DEP_1) | instskip(NEXT) | instid1(VALU_DEP_1)
	v_add_nc_u32_e32 v5, v4, v6
	v_add_nc_u32_e32 v6, v5, v7
	s_delay_alu instid0(VALU_DEP_1)
	v_add_nc_u32_e32 v7, v6, v8
	ds_store_2addr_b32 v9, v4, v5 offset1:1
	ds_store_2addr_b32 v9, v6, v7 offset0:2 offset1:3
.LBB56_2:
	s_or_b32 exec_lo, exec_lo, s3
	s_load_b32 s0, s[0:1], 0x10
	s_waitcnt lgkmcnt(0)
	s_barrier
	buffer_gl0_inv
	ds_load_b32 v4, v3
	v_mov_b32_e32 v3, s0
	s_and_saveexec_b32 s1, vcc_lo
	s_cbranch_execz .LBB56_6
; %bb.3:
	v_mov_b32_e32 v5, 0
	s_mov_b32 s2, exec_lo
	ds_load_b32 v3, v5 offset:520
	v_cmpx_eq_u32_e32 0, v0
	s_cbranch_execz .LBB56_5
; %bb.4:
	v_mov_b32_e32 v6, s0
	ds_store_b32 v5, v6
.LBB56_5:
	s_or_b32 exec_lo, exec_lo, s2
	s_waitcnt lgkmcnt(0)
	v_add_nc_u32_e32 v3, s0, v3
.LBB56_6:
	s_or_b32 exec_lo, exec_lo, s1
	v_mov_b32_e32 v5, 0
	s_waitcnt lgkmcnt(0)
	s_barrier
	buffer_gl0_inv
	s_mov_b32 s9, 0
	ds_load_b32 v6, v5
	s_mov_b32 s0, exec_lo
	s_waitcnt lgkmcnt(0)
	v_add_nc_u32_e32 v4, v6, v4
	global_store_b32 v[1:2], v4, off
	v_cmpx_eq_u32_e32 0, v0
	s_cbranch_execz .LBB56_8
; %bb.7:
	s_lshl_b64 s[0:1], s[8:9], 2
	s_delay_alu instid0(SALU_CYCLE_1)
	s_add_u32 s0, s6, s0
	s_addc_u32 s1, s7, s1
	global_store_b32 v5, v3, s[0:1]
.LBB56_8:
	s_nop 0
	s_sendmsg sendmsg(MSG_DEALLOC_VGPRS)
	s_endpgm
	.section	.rodata,"a",@progbits
	.p2align	6, 0x0
	.amdhsa_kernel _Z37inclusive_scan_prefix_callback_kernelILj128ELN6hipcub18BlockScanAlgorithmE1EiEvPT1_S3_S2_
		.amdhsa_group_segment_fixed_size 528
		.amdhsa_private_segment_fixed_size 0
		.amdhsa_kernarg_size 20
		.amdhsa_user_sgpr_count 15
		.amdhsa_user_sgpr_dispatch_ptr 0
		.amdhsa_user_sgpr_queue_ptr 0
		.amdhsa_user_sgpr_kernarg_segment_ptr 1
		.amdhsa_user_sgpr_dispatch_id 0
		.amdhsa_user_sgpr_private_segment_size 0
		.amdhsa_wavefront_size32 1
		.amdhsa_uses_dynamic_stack 0
		.amdhsa_enable_private_segment 0
		.amdhsa_system_sgpr_workgroup_id_x 1
		.amdhsa_system_sgpr_workgroup_id_y 0
		.amdhsa_system_sgpr_workgroup_id_z 0
		.amdhsa_system_sgpr_workgroup_info 0
		.amdhsa_system_vgpr_workitem_id 0
		.amdhsa_next_free_vgpr 15
		.amdhsa_next_free_sgpr 16
		.amdhsa_reserve_vcc 1
		.amdhsa_float_round_mode_32 0
		.amdhsa_float_round_mode_16_64 0
		.amdhsa_float_denorm_mode_32 3
		.amdhsa_float_denorm_mode_16_64 3
		.amdhsa_dx10_clamp 1
		.amdhsa_ieee_mode 1
		.amdhsa_fp16_overflow 0
		.amdhsa_workgroup_processor_mode 1
		.amdhsa_memory_ordered 1
		.amdhsa_forward_progress 0
		.amdhsa_shared_vgpr_count 0
		.amdhsa_exception_fp_ieee_invalid_op 0
		.amdhsa_exception_fp_denorm_src 0
		.amdhsa_exception_fp_ieee_div_zero 0
		.amdhsa_exception_fp_ieee_overflow 0
		.amdhsa_exception_fp_ieee_underflow 0
		.amdhsa_exception_fp_ieee_inexact 0
		.amdhsa_exception_int_div_zero 0
	.end_amdhsa_kernel
	.section	.text._Z37inclusive_scan_prefix_callback_kernelILj128ELN6hipcub18BlockScanAlgorithmE1EiEvPT1_S3_S2_,"axG",@progbits,_Z37inclusive_scan_prefix_callback_kernelILj128ELN6hipcub18BlockScanAlgorithmE1EiEvPT1_S3_S2_,comdat
.Lfunc_end56:
	.size	_Z37inclusive_scan_prefix_callback_kernelILj128ELN6hipcub18BlockScanAlgorithmE1EiEvPT1_S3_S2_, .Lfunc_end56-_Z37inclusive_scan_prefix_callback_kernelILj128ELN6hipcub18BlockScanAlgorithmE1EiEvPT1_S3_S2_
                                        ; -- End function
	.section	.AMDGPU.csdata,"",@progbits
; Kernel info:
; codeLenInByte = 648
; NumSgprs: 18
; NumVgprs: 15
; ScratchSize: 0
; MemoryBound: 0
; FloatMode: 240
; IeeeMode: 1
; LDSByteSize: 528 bytes/workgroup (compile time only)
; SGPRBlocks: 2
; VGPRBlocks: 1
; NumSGPRsForWavesPerEU: 18
; NumVGPRsForWavesPerEU: 15
; Occupancy: 16
; WaveLimiterHint : 0
; COMPUTE_PGM_RSRC2:SCRATCH_EN: 0
; COMPUTE_PGM_RSRC2:USER_SGPR: 15
; COMPUTE_PGM_RSRC2:TRAP_HANDLER: 0
; COMPUTE_PGM_RSRC2:TGID_X_EN: 1
; COMPUTE_PGM_RSRC2:TGID_Y_EN: 0
; COMPUTE_PGM_RSRC2:TGID_Z_EN: 0
; COMPUTE_PGM_RSRC2:TIDIG_COMP_CNT: 0
	.section	.text._Z37inclusive_scan_prefix_callback_kernelILj64ELN6hipcub18BlockScanAlgorithmE1EiEvPT1_S3_S2_,"axG",@progbits,_Z37inclusive_scan_prefix_callback_kernelILj64ELN6hipcub18BlockScanAlgorithmE1EiEvPT1_S3_S2_,comdat
	.protected	_Z37inclusive_scan_prefix_callback_kernelILj64ELN6hipcub18BlockScanAlgorithmE1EiEvPT1_S3_S2_ ; -- Begin function _Z37inclusive_scan_prefix_callback_kernelILj64ELN6hipcub18BlockScanAlgorithmE1EiEvPT1_S3_S2_
	.globl	_Z37inclusive_scan_prefix_callback_kernelILj64ELN6hipcub18BlockScanAlgorithmE1EiEvPT1_S3_S2_
	.p2align	8
	.type	_Z37inclusive_scan_prefix_callback_kernelILj64ELN6hipcub18BlockScanAlgorithmE1EiEvPT1_S3_S2_,@function
_Z37inclusive_scan_prefix_callback_kernelILj64ELN6hipcub18BlockScanAlgorithmE1EiEvPT1_S3_S2_: ; @_Z37inclusive_scan_prefix_callback_kernelILj64ELN6hipcub18BlockScanAlgorithmE1EiEvPT1_S3_S2_
; %bb.0:
	s_load_b128 s[4:7], s[0:1], 0x0
	s_mov_b32 s8, s15
	v_mov_b32_e32 v2, 0
	v_lshl_or_b32 v1, s8, 6, v0
	v_lshrrev_b32_e32 v3, 5, v0
	s_delay_alu instid0(VALU_DEP_2) | instskip(NEXT) | instid1(VALU_DEP_2)
	v_lshlrev_b64 v[1:2], 2, v[1:2]
	v_add_lshl_u32 v3, v3, v0, 2
	s_waitcnt lgkmcnt(0)
	s_delay_alu instid0(VALU_DEP_2) | instskip(NEXT) | instid1(VALU_DEP_3)
	v_add_co_u32 v1, vcc_lo, s4, v1
	v_add_co_ci_u32_e32 v2, vcc_lo, s5, v2, vcc_lo
	v_cmp_gt_u32_e32 vcc_lo, 32, v0
	global_load_b32 v4, v[1:2], off
	s_waitcnt vmcnt(0)
	ds_store_b32 v3, v4
	s_waitcnt lgkmcnt(0)
	s_barrier
	buffer_gl0_inv
	s_and_saveexec_b32 s3, vcc_lo
	s_cbranch_execz .LBB57_2
; %bb.1:
	v_lshrrev_b32_e32 v5, 2, v0
	v_mbcnt_lo_u32_b32 v8, -1, 0
	s_delay_alu instid0(VALU_DEP_2) | instskip(NEXT) | instid1(VALU_DEP_2)
	v_and_b32_e32 v5, 12, v5
	v_and_b32_e32 v10, 15, v8
	v_add_nc_u32_e32 v12, -1, v8
	s_delay_alu instid0(VALU_DEP_3) | instskip(NEXT) | instid1(VALU_DEP_3)
	v_lshl_or_b32 v7, v0, 3, v5
	v_cmp_ne_u32_e64 s2, 0, v10
	ds_load_2addr_b32 v[5:6], v7 offset1:1
	s_waitcnt lgkmcnt(0)
	v_add_nc_u32_e32 v9, v6, v5
	s_delay_alu instid0(VALU_DEP_1) | instskip(NEXT) | instid1(VALU_DEP_1)
	v_mov_b32_dpp v11, v9 row_shr:1 row_mask:0xf bank_mask:0xf
	v_cndmask_b32_e64 v11, 0, v11, s2
	v_cmp_lt_u32_e64 s2, 1, v10
	s_delay_alu instid0(VALU_DEP_2) | instskip(NEXT) | instid1(VALU_DEP_1)
	v_add_nc_u32_e32 v9, v11, v9
	v_mov_b32_dpp v11, v9 row_shr:2 row_mask:0xf bank_mask:0xf
	s_delay_alu instid0(VALU_DEP_1) | instskip(SKIP_1) | instid1(VALU_DEP_2)
	v_cndmask_b32_e64 v11, 0, v11, s2
	v_cmp_lt_u32_e64 s2, 3, v10
	v_add_nc_u32_e32 v9, v9, v11
	s_delay_alu instid0(VALU_DEP_1) | instskip(NEXT) | instid1(VALU_DEP_1)
	v_mov_b32_dpp v11, v9 row_shr:4 row_mask:0xf bank_mask:0xf
	v_cndmask_b32_e64 v11, 0, v11, s2
	v_cmp_lt_u32_e64 s2, 7, v10
	s_delay_alu instid0(VALU_DEP_2) | instskip(NEXT) | instid1(VALU_DEP_1)
	v_add_nc_u32_e32 v9, v9, v11
	v_mov_b32_dpp v11, v9 row_shr:8 row_mask:0xf bank_mask:0xf
	s_delay_alu instid0(VALU_DEP_1) | instskip(SKIP_2) | instid1(VALU_DEP_3)
	v_cndmask_b32_e64 v10, 0, v11, s2
	v_bfe_i32 v11, v8, 4, 1
	v_cmp_gt_i32_e64 s2, 0, v12
	v_add_nc_u32_e32 v9, v9, v10
	s_delay_alu instid0(VALU_DEP_2)
	v_cndmask_b32_e64 v8, v12, v8, s2
	v_cmp_eq_u32_e64 s2, 0, v0
	ds_swizzle_b32 v10, v9 offset:swizzle(BROADCAST,32,15)
	v_lshlrev_b32_e32 v8, 2, v8
	s_waitcnt lgkmcnt(0)
	v_and_b32_e32 v10, v11, v10
	s_delay_alu instid0(VALU_DEP_1) | instskip(SKIP_3) | instid1(VALU_DEP_1)
	v_add_nc_u32_e32 v9, v9, v10
	ds_bpermute_b32 v8, v8, v9
	s_waitcnt lgkmcnt(0)
	v_add_nc_u32_e32 v5, v8, v5
	v_cndmask_b32_e64 v4, v5, v4, s2
	s_delay_alu instid0(VALU_DEP_1)
	v_add_nc_u32_e32 v5, v4, v6
	ds_store_2addr_b32 v7, v4, v5 offset1:1
.LBB57_2:
	s_or_b32 exec_lo, exec_lo, s3
	s_load_b32 s0, s[0:1], 0x10
	s_waitcnt lgkmcnt(0)
	s_barrier
	buffer_gl0_inv
	ds_load_b32 v4, v3
	v_mov_b32_e32 v3, s0
	s_and_saveexec_b32 s1, vcc_lo
	s_cbranch_execz .LBB57_6
; %bb.3:
	v_mov_b32_e32 v5, 0
	s_mov_b32 s2, exec_lo
	ds_load_b32 v3, v5 offset:256
	v_cmpx_eq_u32_e32 0, v0
	s_cbranch_execz .LBB57_5
; %bb.4:
	v_mov_b32_e32 v6, s0
	ds_store_b32 v5, v6
.LBB57_5:
	s_or_b32 exec_lo, exec_lo, s2
	s_waitcnt lgkmcnt(0)
	v_add_nc_u32_e32 v3, s0, v3
.LBB57_6:
	s_or_b32 exec_lo, exec_lo, s1
	v_mov_b32_e32 v5, 0
	s_waitcnt lgkmcnt(0)
	s_barrier
	buffer_gl0_inv
	s_mov_b32 s9, 0
	ds_load_b32 v6, v5
	s_mov_b32 s0, exec_lo
	s_waitcnt lgkmcnt(0)
	v_add_nc_u32_e32 v4, v6, v4
	global_store_b32 v[1:2], v4, off
	v_cmpx_eq_u32_e32 0, v0
	s_cbranch_execz .LBB57_8
; %bb.7:
	s_lshl_b64 s[0:1], s[8:9], 2
	s_delay_alu instid0(SALU_CYCLE_1)
	s_add_u32 s0, s6, s0
	s_addc_u32 s1, s7, s1
	global_store_b32 v5, v3, s[0:1]
.LBB57_8:
	s_nop 0
	s_sendmsg sendmsg(MSG_DEALLOC_VGPRS)
	s_endpgm
	.section	.rodata,"a",@progbits
	.p2align	6, 0x0
	.amdhsa_kernel _Z37inclusive_scan_prefix_callback_kernelILj64ELN6hipcub18BlockScanAlgorithmE1EiEvPT1_S3_S2_
		.amdhsa_group_segment_fixed_size 264
		.amdhsa_private_segment_fixed_size 0
		.amdhsa_kernarg_size 20
		.amdhsa_user_sgpr_count 15
		.amdhsa_user_sgpr_dispatch_ptr 0
		.amdhsa_user_sgpr_queue_ptr 0
		.amdhsa_user_sgpr_kernarg_segment_ptr 1
		.amdhsa_user_sgpr_dispatch_id 0
		.amdhsa_user_sgpr_private_segment_size 0
		.amdhsa_wavefront_size32 1
		.amdhsa_uses_dynamic_stack 0
		.amdhsa_enable_private_segment 0
		.amdhsa_system_sgpr_workgroup_id_x 1
		.amdhsa_system_sgpr_workgroup_id_y 0
		.amdhsa_system_sgpr_workgroup_id_z 0
		.amdhsa_system_sgpr_workgroup_info 0
		.amdhsa_system_vgpr_workitem_id 0
		.amdhsa_next_free_vgpr 13
		.amdhsa_next_free_sgpr 16
		.amdhsa_reserve_vcc 1
		.amdhsa_float_round_mode_32 0
		.amdhsa_float_round_mode_16_64 0
		.amdhsa_float_denorm_mode_32 3
		.amdhsa_float_denorm_mode_16_64 3
		.amdhsa_dx10_clamp 1
		.amdhsa_ieee_mode 1
		.amdhsa_fp16_overflow 0
		.amdhsa_workgroup_processor_mode 1
		.amdhsa_memory_ordered 1
		.amdhsa_forward_progress 0
		.amdhsa_shared_vgpr_count 0
		.amdhsa_exception_fp_ieee_invalid_op 0
		.amdhsa_exception_fp_denorm_src 0
		.amdhsa_exception_fp_ieee_div_zero 0
		.amdhsa_exception_fp_ieee_overflow 0
		.amdhsa_exception_fp_ieee_underflow 0
		.amdhsa_exception_fp_ieee_inexact 0
		.amdhsa_exception_int_div_zero 0
	.end_amdhsa_kernel
	.section	.text._Z37inclusive_scan_prefix_callback_kernelILj64ELN6hipcub18BlockScanAlgorithmE1EiEvPT1_S3_S2_,"axG",@progbits,_Z37inclusive_scan_prefix_callback_kernelILj64ELN6hipcub18BlockScanAlgorithmE1EiEvPT1_S3_S2_,comdat
.Lfunc_end57:
	.size	_Z37inclusive_scan_prefix_callback_kernelILj64ELN6hipcub18BlockScanAlgorithmE1EiEvPT1_S3_S2_, .Lfunc_end57-_Z37inclusive_scan_prefix_callback_kernelILj64ELN6hipcub18BlockScanAlgorithmE1EiEvPT1_S3_S2_
                                        ; -- End function
	.section	.AMDGPU.csdata,"",@progbits
; Kernel info:
; codeLenInByte = 608
; NumSgprs: 18
; NumVgprs: 13
; ScratchSize: 0
; MemoryBound: 0
; FloatMode: 240
; IeeeMode: 1
; LDSByteSize: 264 bytes/workgroup (compile time only)
; SGPRBlocks: 2
; VGPRBlocks: 1
; NumSGPRsForWavesPerEU: 18
; NumVGPRsForWavesPerEU: 13
; Occupancy: 16
; WaveLimiterHint : 0
; COMPUTE_PGM_RSRC2:SCRATCH_EN: 0
; COMPUTE_PGM_RSRC2:USER_SGPR: 15
; COMPUTE_PGM_RSRC2:TRAP_HANDLER: 0
; COMPUTE_PGM_RSRC2:TGID_X_EN: 1
; COMPUTE_PGM_RSRC2:TGID_Y_EN: 0
; COMPUTE_PGM_RSRC2:TGID_Z_EN: 0
; COMPUTE_PGM_RSRC2:TIDIG_COMP_CNT: 0
	.section	.text._Z37inclusive_scan_prefix_callback_kernelILj377ELN6hipcub18BlockScanAlgorithmE0ElEvPT1_S3_S2_,"axG",@progbits,_Z37inclusive_scan_prefix_callback_kernelILj377ELN6hipcub18BlockScanAlgorithmE0ElEvPT1_S3_S2_,comdat
	.protected	_Z37inclusive_scan_prefix_callback_kernelILj377ELN6hipcub18BlockScanAlgorithmE0ElEvPT1_S3_S2_ ; -- Begin function _Z37inclusive_scan_prefix_callback_kernelILj377ELN6hipcub18BlockScanAlgorithmE0ElEvPT1_S3_S2_
	.globl	_Z37inclusive_scan_prefix_callback_kernelILj377ELN6hipcub18BlockScanAlgorithmE0ElEvPT1_S3_S2_
	.p2align	8
	.type	_Z37inclusive_scan_prefix_callback_kernelILj377ELN6hipcub18BlockScanAlgorithmE0ElEvPT1_S3_S2_,@function
_Z37inclusive_scan_prefix_callback_kernelILj377ELN6hipcub18BlockScanAlgorithmE0ElEvPT1_S3_S2_: ; @_Z37inclusive_scan_prefix_callback_kernelILj377ELN6hipcub18BlockScanAlgorithmE0ElEvPT1_S3_S2_
; %bb.0:
	s_load_b128 s[4:7], s[0:1], 0x0
	s_mov_b32 s8, s15
	v_mbcnt_lo_u32_b32 v5, -1, 0
	v_mad_u64_u32 v[1:2], null, 0x179, s8, v[0:1]
	s_delay_alu instid0(VALU_DEP_2) | instskip(NEXT) | instid1(VALU_DEP_1)
	v_dual_mov_b32 v2, 0 :: v_dual_and_b32 v7, 15, v5
	v_lshlrev_b64 v[1:2], 3, v[1:2]
	s_waitcnt lgkmcnt(0)
	s_delay_alu instid0(VALU_DEP_1) | instskip(NEXT) | instid1(VALU_DEP_2)
	v_add_co_u32 v1, vcc_lo, s4, v1
	v_add_co_ci_u32_e32 v2, vcc_lo, s5, v2, vcc_lo
	v_cmp_ne_u32_e32 vcc_lo, 0, v7
	global_load_b64 v[3:4], v[1:2], off
	s_waitcnt vmcnt(0)
	v_mov_b32_dpp v9, v3 row_shr:1 row_mask:0xf bank_mask:0xf
	v_mov_b32_dpp v8, v4 row_shr:1 row_mask:0xf bank_mask:0xf
	v_mov_b32_e32 v6, v3
	s_and_saveexec_b32 s3, vcc_lo
; %bb.1:
	s_delay_alu instid0(VALU_DEP_3) | instskip(NEXT) | instid1(VALU_DEP_1)
	v_add_co_u32 v6, s2, v3, v9
	v_add_co_ci_u32_e64 v4, s2, 0, v4, s2
	s_delay_alu instid0(VALU_DEP_2) | instskip(NEXT) | instid1(VALU_DEP_1)
	v_add_co_u32 v3, s2, 0, v6
	v_add_co_ci_u32_e64 v4, s2, v8, v4, s2
; %bb.2:
	s_or_b32 exec_lo, exec_lo, s3
	v_mov_b32_dpp v9, v6 row_shr:2 row_mask:0xf bank_mask:0xf
	s_delay_alu instid0(VALU_DEP_2) | instskip(SKIP_1) | instid1(VALU_DEP_1)
	v_mov_b32_dpp v8, v4 row_shr:2 row_mask:0xf bank_mask:0xf
	v_cmp_lt_u32_e64 s2, 1, v7
	s_and_saveexec_b32 s4, s2
; %bb.3:
	s_delay_alu instid0(VALU_DEP_3) | instskip(NEXT) | instid1(VALU_DEP_1)
	v_add_co_u32 v6, s3, v3, v9
	v_add_co_ci_u32_e64 v4, s3, 0, v4, s3
	s_delay_alu instid0(VALU_DEP_2) | instskip(NEXT) | instid1(VALU_DEP_1)
	v_add_co_u32 v3, s3, 0, v6
	v_add_co_ci_u32_e64 v4, s3, v8, v4, s3
; %bb.4:
	s_or_b32 exec_lo, exec_lo, s4
	v_mov_b32_dpp v9, v6 row_shr:4 row_mask:0xf bank_mask:0xf
	s_delay_alu instid0(VALU_DEP_2) | instskip(SKIP_1) | instid1(VALU_DEP_1)
	v_mov_b32_dpp v8, v4 row_shr:4 row_mask:0xf bank_mask:0xf
	v_cmp_lt_u32_e64 s3, 3, v7
	s_and_saveexec_b32 s5, s3
	;; [unrolled: 14-line block ×3, first 2 shown]
; %bb.7:
	s_delay_alu instid0(VALU_DEP_3) | instskip(NEXT) | instid1(VALU_DEP_1)
	v_add_co_u32 v6, s5, v3, v9
	v_add_co_ci_u32_e64 v4, s5, 0, v4, s5
	s_delay_alu instid0(VALU_DEP_2) | instskip(NEXT) | instid1(VALU_DEP_1)
	v_add_co_u32 v3, s5, 0, v6
	v_add_co_ci_u32_e64 v4, s5, v8, v4, s5
; %bb.8:
	s_or_b32 exec_lo, exec_lo, s9
	ds_swizzle_b32 v7, v6 offset:swizzle(BROADCAST,32,15)
	ds_swizzle_b32 v6, v4 offset:swizzle(BROADCAST,32,15)
	v_and_b32_e32 v5, 16, v5
	s_mov_b32 s9, exec_lo
	s_delay_alu instid0(VALU_DEP_1)
	v_cmpx_ne_u32_e32 0, v5
	s_cbranch_execz .LBB58_10
; %bb.9:
	s_waitcnt lgkmcnt(1)
	v_add_co_u32 v3, s5, v3, v7
	s_delay_alu instid0(VALU_DEP_1) | instskip(NEXT) | instid1(VALU_DEP_2)
	v_add_co_ci_u32_e64 v4, s5, 0, v4, s5
	v_add_co_u32 v3, s5, v3, 0
	s_waitcnt lgkmcnt(0)
	s_delay_alu instid0(VALU_DEP_2)
	v_add_co_ci_u32_e64 v4, s5, v4, v6, s5
.LBB58_10:
	s_or_b32 exec_lo, exec_lo, s9
	s_load_b64 s[10:11], s[0:1], 0x10
	v_and_b32_e32 v5, 0x1e0, v0
	s_waitcnt lgkmcnt(0)
	v_lshrrev_b32_e32 v7, 5, v0
	s_mov_b32 s1, exec_lo
	s_delay_alu instid0(VALU_DEP_2) | instskip(NEXT) | instid1(VALU_DEP_1)
	v_min_u32_e32 v5, 0x159, v5
	v_add_nc_u32_e32 v5, 31, v5
	s_delay_alu instid0(VALU_DEP_1)
	v_cmpx_eq_u32_e64 v5, v0
	s_cbranch_execz .LBB58_12
; %bb.11:
	v_lshlrev_b32_e32 v5, 3, v7
	ds_store_b64 v5, v[3:4]
.LBB58_12:
	s_or_b32 exec_lo, exec_lo, s1
	s_delay_alu instid0(SALU_CYCLE_1)
	s_mov_b32 s1, exec_lo
	s_waitcnt lgkmcnt(0)
	s_barrier
	buffer_gl0_inv
	v_cmpx_gt_u32_e32 12, v0
	s_cbranch_execz .LBB58_22
; %bb.13:
	v_lshlrev_b32_e32 v8, 3, v0
	ds_load_b64 v[5:6], v8
	s_waitcnt lgkmcnt(0)
	v_mov_b32_e32 v9, v5
	v_mov_b32_dpp v11, v5 row_shr:1 row_mask:0xf bank_mask:0xf
	v_mov_b32_dpp v10, v6 row_shr:1 row_mask:0xf bank_mask:0xf
	s_and_saveexec_b32 s0, vcc_lo
; %bb.14:
	s_delay_alu instid0(VALU_DEP_2) | instskip(SKIP_1) | instid1(VALU_DEP_2)
	v_add_co_u32 v9, vcc_lo, v5, v11
	v_add_co_ci_u32_e32 v6, vcc_lo, 0, v6, vcc_lo
	v_add_co_u32 v5, vcc_lo, 0, v9
	s_delay_alu instid0(VALU_DEP_2)
	v_add_co_ci_u32_e32 v6, vcc_lo, v10, v6, vcc_lo
; %bb.15:
	s_or_b32 exec_lo, exec_lo, s0
	v_mov_b32_dpp v11, v9 row_shr:2 row_mask:0xf bank_mask:0xf
	s_delay_alu instid0(VALU_DEP_2)
	v_mov_b32_dpp v10, v6 row_shr:2 row_mask:0xf bank_mask:0xf
	s_and_saveexec_b32 s0, s2
; %bb.16:
	s_delay_alu instid0(VALU_DEP_2) | instskip(SKIP_1) | instid1(VALU_DEP_2)
	v_add_co_u32 v9, vcc_lo, v5, v11
	v_add_co_ci_u32_e32 v6, vcc_lo, 0, v6, vcc_lo
	v_add_co_u32 v5, vcc_lo, 0, v9
	s_delay_alu instid0(VALU_DEP_2)
	v_add_co_ci_u32_e32 v6, vcc_lo, v10, v6, vcc_lo
; %bb.17:
	s_or_b32 exec_lo, exec_lo, s0
	v_mov_b32_dpp v11, v9 row_shr:4 row_mask:0xf bank_mask:0xf
	s_delay_alu instid0(VALU_DEP_2)
	v_mov_b32_dpp v10, v6 row_shr:4 row_mask:0xf bank_mask:0xf
	s_and_saveexec_b32 s0, s3
	;; [unrolled: 13-line block ×3, first 2 shown]
; %bb.20:
	s_delay_alu instid0(VALU_DEP_2) | instskip(SKIP_1) | instid1(VALU_DEP_2)
	v_add_co_u32 v5, vcc_lo, v5, v10
	v_add_co_ci_u32_e32 v6, vcc_lo, 0, v6, vcc_lo
	v_add_co_u32 v5, vcc_lo, v5, 0
	s_delay_alu instid0(VALU_DEP_2)
	v_add_co_ci_u32_e32 v6, vcc_lo, v6, v9, vcc_lo
; %bb.21:
	s_or_b32 exec_lo, exec_lo, s0
	ds_store_b64 v8, v[5:6]
.LBB58_22:
	s_or_b32 exec_lo, exec_lo, s1
	v_cmp_gt_u32_e32 vcc_lo, 32, v0
	s_mov_b32 s1, exec_lo
	s_waitcnt lgkmcnt(0)
	s_barrier
	buffer_gl0_inv
	v_cmpx_lt_u32_e32 31, v0
	s_cbranch_execz .LBB58_24
; %bb.23:
	v_lshl_add_u32 v5, v7, 3, -8
	ds_load_b64 v[5:6], v5
	s_waitcnt lgkmcnt(0)
	v_add_co_u32 v3, s0, v5, v3
	s_delay_alu instid0(VALU_DEP_1)
	v_add_co_ci_u32_e64 v4, s0, v6, v4, s0
.LBB58_24:
	s_or_b32 exec_lo, exec_lo, s1
	v_dual_mov_b32 v5, s10 :: v_dual_mov_b32 v6, s11
	s_and_saveexec_b32 s0, vcc_lo
	s_cbranch_execz .LBB58_28
; %bb.25:
	v_mov_b32_e32 v7, 0
	s_mov_b32 s1, exec_lo
	ds_load_b64 v[5:6], v7 offset:88
	s_waitcnt lgkmcnt(0)
	v_add_co_u32 v5, vcc_lo, v5, s10
	v_add_co_ci_u32_e32 v6, vcc_lo, s11, v6, vcc_lo
	v_cmpx_eq_u32_e32 0, v0
	s_cbranch_execz .LBB58_27
; %bb.26:
	v_dual_mov_b32 v8, s10 :: v_dual_mov_b32 v9, s11
	ds_store_b64 v7, v[8:9] offset:88
.LBB58_27:
	s_or_b32 exec_lo, exec_lo, s1
.LBB58_28:
	s_delay_alu instid0(SALU_CYCLE_1)
	s_or_b32 exec_lo, exec_lo, s0
	v_mov_b32_e32 v7, 0
	s_waitcnt lgkmcnt(0)
	s_barrier
	buffer_gl0_inv
	s_mov_b32 s9, 0
	ds_load_b64 v[8:9], v7 offset:88
	s_mov_b32 s0, exec_lo
	s_waitcnt lgkmcnt(0)
	v_add_co_u32 v3, vcc_lo, v8, v3
	v_add_co_ci_u32_e32 v4, vcc_lo, v9, v4, vcc_lo
	global_store_b64 v[1:2], v[3:4], off
	v_cmpx_eq_u32_e32 0, v0
	s_cbranch_execz .LBB58_30
; %bb.29:
	s_lshl_b64 s[0:1], s[8:9], 3
	s_delay_alu instid0(SALU_CYCLE_1)
	s_add_u32 s0, s6, s0
	s_addc_u32 s1, s7, s1
	global_store_b64 v7, v[5:6], s[0:1]
.LBB58_30:
	s_nop 0
	s_sendmsg sendmsg(MSG_DEALLOC_VGPRS)
	s_endpgm
	.section	.rodata,"a",@progbits
	.p2align	6, 0x0
	.amdhsa_kernel _Z37inclusive_scan_prefix_callback_kernelILj377ELN6hipcub18BlockScanAlgorithmE0ElEvPT1_S3_S2_
		.amdhsa_group_segment_fixed_size 96
		.amdhsa_private_segment_fixed_size 0
		.amdhsa_kernarg_size 24
		.amdhsa_user_sgpr_count 15
		.amdhsa_user_sgpr_dispatch_ptr 0
		.amdhsa_user_sgpr_queue_ptr 0
		.amdhsa_user_sgpr_kernarg_segment_ptr 1
		.amdhsa_user_sgpr_dispatch_id 0
		.amdhsa_user_sgpr_private_segment_size 0
		.amdhsa_wavefront_size32 1
		.amdhsa_uses_dynamic_stack 0
		.amdhsa_enable_private_segment 0
		.amdhsa_system_sgpr_workgroup_id_x 1
		.amdhsa_system_sgpr_workgroup_id_y 0
		.amdhsa_system_sgpr_workgroup_id_z 0
		.amdhsa_system_sgpr_workgroup_info 0
		.amdhsa_system_vgpr_workitem_id 0
		.amdhsa_next_free_vgpr 12
		.amdhsa_next_free_sgpr 16
		.amdhsa_reserve_vcc 1
		.amdhsa_float_round_mode_32 0
		.amdhsa_float_round_mode_16_64 0
		.amdhsa_float_denorm_mode_32 3
		.amdhsa_float_denorm_mode_16_64 3
		.amdhsa_dx10_clamp 1
		.amdhsa_ieee_mode 1
		.amdhsa_fp16_overflow 0
		.amdhsa_workgroup_processor_mode 1
		.amdhsa_memory_ordered 1
		.amdhsa_forward_progress 0
		.amdhsa_shared_vgpr_count 0
		.amdhsa_exception_fp_ieee_invalid_op 0
		.amdhsa_exception_fp_denorm_src 0
		.amdhsa_exception_fp_ieee_div_zero 0
		.amdhsa_exception_fp_ieee_overflow 0
		.amdhsa_exception_fp_ieee_underflow 0
		.amdhsa_exception_fp_ieee_inexact 0
		.amdhsa_exception_int_div_zero 0
	.end_amdhsa_kernel
	.section	.text._Z37inclusive_scan_prefix_callback_kernelILj377ELN6hipcub18BlockScanAlgorithmE0ElEvPT1_S3_S2_,"axG",@progbits,_Z37inclusive_scan_prefix_callback_kernelILj377ELN6hipcub18BlockScanAlgorithmE0ElEvPT1_S3_S2_,comdat
.Lfunc_end58:
	.size	_Z37inclusive_scan_prefix_callback_kernelILj377ELN6hipcub18BlockScanAlgorithmE0ElEvPT1_S3_S2_, .Lfunc_end58-_Z37inclusive_scan_prefix_callback_kernelILj377ELN6hipcub18BlockScanAlgorithmE0ElEvPT1_S3_S2_
                                        ; -- End function
	.section	.AMDGPU.csdata,"",@progbits
; Kernel info:
; codeLenInByte = 1112
; NumSgprs: 18
; NumVgprs: 12
; ScratchSize: 0
; MemoryBound: 0
; FloatMode: 240
; IeeeMode: 1
; LDSByteSize: 96 bytes/workgroup (compile time only)
; SGPRBlocks: 2
; VGPRBlocks: 1
; NumSGPRsForWavesPerEU: 18
; NumVGPRsForWavesPerEU: 12
; Occupancy: 15
; WaveLimiterHint : 0
; COMPUTE_PGM_RSRC2:SCRATCH_EN: 0
; COMPUTE_PGM_RSRC2:USER_SGPR: 15
; COMPUTE_PGM_RSRC2:TRAP_HANDLER: 0
; COMPUTE_PGM_RSRC2:TGID_X_EN: 1
; COMPUTE_PGM_RSRC2:TGID_Y_EN: 0
; COMPUTE_PGM_RSRC2:TGID_Z_EN: 0
; COMPUTE_PGM_RSRC2:TIDIG_COMP_CNT: 0
	.section	.text._Z37inclusive_scan_prefix_callback_kernelILj256ELN6hipcub18BlockScanAlgorithmE0ElEvPT1_S3_S2_,"axG",@progbits,_Z37inclusive_scan_prefix_callback_kernelILj256ELN6hipcub18BlockScanAlgorithmE0ElEvPT1_S3_S2_,comdat
	.protected	_Z37inclusive_scan_prefix_callback_kernelILj256ELN6hipcub18BlockScanAlgorithmE0ElEvPT1_S3_S2_ ; -- Begin function _Z37inclusive_scan_prefix_callback_kernelILj256ELN6hipcub18BlockScanAlgorithmE0ElEvPT1_S3_S2_
	.globl	_Z37inclusive_scan_prefix_callback_kernelILj256ELN6hipcub18BlockScanAlgorithmE0ElEvPT1_S3_S2_
	.p2align	8
	.type	_Z37inclusive_scan_prefix_callback_kernelILj256ELN6hipcub18BlockScanAlgorithmE0ElEvPT1_S3_S2_,@function
_Z37inclusive_scan_prefix_callback_kernelILj256ELN6hipcub18BlockScanAlgorithmE0ElEvPT1_S3_S2_: ; @_Z37inclusive_scan_prefix_callback_kernelILj256ELN6hipcub18BlockScanAlgorithmE0ElEvPT1_S3_S2_
; %bb.0:
	s_load_b128 s[4:7], s[0:1], 0x0
	s_mov_b32 s2, s15
	v_mov_b32_e32 v2, 0
	v_lshl_or_b32 v1, s2, 8, v0
	v_mbcnt_lo_u32_b32 v7, -1, 0
	s_mov_b32 s3, exec_lo
	s_delay_alu instid0(VALU_DEP_2) | instskip(NEXT) | instid1(VALU_DEP_2)
	v_lshlrev_b64 v[1:2], 3, v[1:2]
	v_and_b32_e32 v6, 15, v7
	s_waitcnt lgkmcnt(0)
	s_delay_alu instid0(VALU_DEP_2) | instskip(NEXT) | instid1(VALU_DEP_3)
	v_add_co_u32 v1, vcc_lo, s4, v1
	v_add_co_ci_u32_e32 v2, vcc_lo, s5, v2, vcc_lo
	global_load_b64 v[3:4], v[1:2], off
	s_waitcnt vmcnt(0)
	v_mov_b32_e32 v5, v3
	v_mov_b32_dpp v9, v3 row_shr:1 row_mask:0xf bank_mask:0xf
	v_mov_b32_dpp v8, v4 row_shr:1 row_mask:0xf bank_mask:0xf
	v_cmpx_ne_u32_e32 0, v6
; %bb.1:
	s_delay_alu instid0(VALU_DEP_3) | instskip(SKIP_1) | instid1(VALU_DEP_2)
	v_add_co_u32 v5, vcc_lo, v3, v9
	v_add_co_ci_u32_e32 v4, vcc_lo, 0, v4, vcc_lo
	v_add_co_u32 v3, vcc_lo, 0, v5
	s_delay_alu instid0(VALU_DEP_2)
	v_add_co_ci_u32_e32 v4, vcc_lo, v8, v4, vcc_lo
; %bb.2:
	s_or_b32 exec_lo, exec_lo, s3
	v_mov_b32_dpp v9, v5 row_shr:2 row_mask:0xf bank_mask:0xf
	s_delay_alu instid0(VALU_DEP_2)
	v_mov_b32_dpp v8, v4 row_shr:2 row_mask:0xf bank_mask:0xf
	s_mov_b32 s3, exec_lo
	v_cmpx_lt_u32_e32 1, v6
; %bb.3:
	s_delay_alu instid0(VALU_DEP_3) | instskip(SKIP_1) | instid1(VALU_DEP_2)
	v_add_co_u32 v5, vcc_lo, v3, v9
	v_add_co_ci_u32_e32 v4, vcc_lo, 0, v4, vcc_lo
	v_add_co_u32 v3, vcc_lo, 0, v5
	s_delay_alu instid0(VALU_DEP_2)
	v_add_co_ci_u32_e32 v4, vcc_lo, v8, v4, vcc_lo
; %bb.4:
	s_or_b32 exec_lo, exec_lo, s3
	v_mov_b32_dpp v9, v5 row_shr:4 row_mask:0xf bank_mask:0xf
	s_delay_alu instid0(VALU_DEP_2)
	v_mov_b32_dpp v8, v4 row_shr:4 row_mask:0xf bank_mask:0xf
	s_mov_b32 s3, exec_lo
	v_cmpx_lt_u32_e32 3, v6
	;; [unrolled: 14-line block ×3, first 2 shown]
; %bb.7:
	s_delay_alu instid0(VALU_DEP_3) | instskip(SKIP_1) | instid1(VALU_DEP_2)
	v_add_co_u32 v5, vcc_lo, v3, v9
	v_add_co_ci_u32_e32 v4, vcc_lo, 0, v4, vcc_lo
	v_add_co_u32 v3, vcc_lo, 0, v5
	s_delay_alu instid0(VALU_DEP_2)
	v_add_co_ci_u32_e32 v4, vcc_lo, v8, v4, vcc_lo
; %bb.8:
	s_or_b32 exec_lo, exec_lo, s3
	ds_swizzle_b32 v6, v5 offset:swizzle(BROADCAST,32,15)
	ds_swizzle_b32 v5, v4 offset:swizzle(BROADCAST,32,15)
	v_and_b32_e32 v8, 16, v7
	s_mov_b32 s3, exec_lo
	s_delay_alu instid0(VALU_DEP_1)
	v_cmpx_ne_u32_e32 0, v8
	s_cbranch_execz .LBB59_10
; %bb.9:
	s_waitcnt lgkmcnt(1)
	v_add_co_u32 v3, vcc_lo, v3, v6
	v_add_co_ci_u32_e32 v4, vcc_lo, 0, v4, vcc_lo
	s_delay_alu instid0(VALU_DEP_2) | instskip(SKIP_1) | instid1(VALU_DEP_2)
	v_add_co_u32 v3, vcc_lo, v3, 0
	s_waitcnt lgkmcnt(0)
	v_add_co_ci_u32_e32 v4, vcc_lo, v4, v5, vcc_lo
.LBB59_10:
	s_or_b32 exec_lo, exec_lo, s3
	s_load_b64 s[4:5], s[0:1], 0x10
	s_waitcnt lgkmcnt(0)
	v_or_b32_e32 v5, 31, v0
	v_lshrrev_b32_e32 v8, 5, v0
	s_mov_b32 s0, exec_lo
	s_delay_alu instid0(VALU_DEP_2)
	v_cmpx_eq_u32_e64 v5, v0
	s_cbranch_execz .LBB59_12
; %bb.11:
	s_delay_alu instid0(VALU_DEP_2)
	v_lshlrev_b32_e32 v5, 3, v8
	ds_store_b64 v5, v[3:4]
.LBB59_12:
	s_or_b32 exec_lo, exec_lo, s0
	s_delay_alu instid0(SALU_CYCLE_1)
	s_mov_b32 s0, exec_lo
	s_waitcnt lgkmcnt(0)
	s_barrier
	buffer_gl0_inv
	v_cmpx_gt_u32_e32 8, v0
	s_cbranch_execz .LBB59_20
; %bb.13:
	v_lshlrev_b32_e32 v9, 3, v0
	v_and_b32_e32 v7, 7, v7
	s_mov_b32 s1, exec_lo
	ds_load_b64 v[5:6], v9
	s_waitcnt lgkmcnt(0)
	v_mov_b32_e32 v10, v5
	v_mov_b32_dpp v12, v5 row_shr:1 row_mask:0xf bank_mask:0xf
	v_mov_b32_dpp v11, v6 row_shr:1 row_mask:0xf bank_mask:0xf
	v_cmpx_ne_u32_e32 0, v7
; %bb.14:
	s_delay_alu instid0(VALU_DEP_3) | instskip(SKIP_1) | instid1(VALU_DEP_2)
	v_add_co_u32 v10, vcc_lo, v5, v12
	v_add_co_ci_u32_e32 v6, vcc_lo, 0, v6, vcc_lo
	v_add_co_u32 v5, vcc_lo, 0, v10
	s_delay_alu instid0(VALU_DEP_2)
	v_add_co_ci_u32_e32 v6, vcc_lo, v11, v6, vcc_lo
; %bb.15:
	s_or_b32 exec_lo, exec_lo, s1
	v_mov_b32_dpp v12, v10 row_shr:2 row_mask:0xf bank_mask:0xf
	s_delay_alu instid0(VALU_DEP_2)
	v_mov_b32_dpp v11, v6 row_shr:2 row_mask:0xf bank_mask:0xf
	s_mov_b32 s1, exec_lo
	v_cmpx_lt_u32_e32 1, v7
; %bb.16:
	s_delay_alu instid0(VALU_DEP_3) | instskip(SKIP_1) | instid1(VALU_DEP_2)
	v_add_co_u32 v10, vcc_lo, v5, v12
	v_add_co_ci_u32_e32 v6, vcc_lo, 0, v6, vcc_lo
	v_add_co_u32 v5, vcc_lo, 0, v10
	s_delay_alu instid0(VALU_DEP_2)
	v_add_co_ci_u32_e32 v6, vcc_lo, v11, v6, vcc_lo
; %bb.17:
	s_or_b32 exec_lo, exec_lo, s1
	v_mov_b32_dpp v11, v10 row_shr:4 row_mask:0xf bank_mask:0xf
	s_delay_alu instid0(VALU_DEP_2)
	v_mov_b32_dpp v10, v6 row_shr:4 row_mask:0xf bank_mask:0xf
	s_mov_b32 s1, exec_lo
	v_cmpx_lt_u32_e32 3, v7
; %bb.18:
	s_delay_alu instid0(VALU_DEP_3) | instskip(SKIP_1) | instid1(VALU_DEP_2)
	v_add_co_u32 v5, vcc_lo, v5, v11
	v_add_co_ci_u32_e32 v6, vcc_lo, 0, v6, vcc_lo
	v_add_co_u32 v5, vcc_lo, v5, 0
	s_delay_alu instid0(VALU_DEP_2)
	v_add_co_ci_u32_e32 v6, vcc_lo, v6, v10, vcc_lo
; %bb.19:
	s_or_b32 exec_lo, exec_lo, s1
	ds_store_b64 v9, v[5:6]
.LBB59_20:
	s_or_b32 exec_lo, exec_lo, s0
	v_cmp_gt_u32_e32 vcc_lo, 32, v0
	s_mov_b32 s1, exec_lo
	s_waitcnt lgkmcnt(0)
	s_barrier
	buffer_gl0_inv
	v_cmpx_lt_u32_e32 31, v0
	s_cbranch_execz .LBB59_22
; %bb.21:
	v_lshl_add_u32 v5, v8, 3, -8
	ds_load_b64 v[5:6], v5
	s_waitcnt lgkmcnt(0)
	v_add_co_u32 v3, s0, v5, v3
	s_delay_alu instid0(VALU_DEP_1)
	v_add_co_ci_u32_e64 v4, s0, v6, v4, s0
.LBB59_22:
	s_or_b32 exec_lo, exec_lo, s1
	v_dual_mov_b32 v6, s5 :: v_dual_mov_b32 v5, s4
	s_and_saveexec_b32 s0, vcc_lo
	s_cbranch_execz .LBB59_26
; %bb.23:
	v_mov_b32_e32 v7, 0
	s_mov_b32 s1, exec_lo
	ds_load_b64 v[5:6], v7 offset:56
	s_waitcnt lgkmcnt(0)
	v_add_co_u32 v5, vcc_lo, v5, s4
	v_add_co_ci_u32_e32 v6, vcc_lo, s5, v6, vcc_lo
	v_cmpx_eq_u32_e32 0, v0
	s_cbranch_execz .LBB59_25
; %bb.24:
	v_dual_mov_b32 v9, s5 :: v_dual_mov_b32 v8, s4
	ds_store_b64 v7, v[8:9] offset:56
.LBB59_25:
	s_or_b32 exec_lo, exec_lo, s1
.LBB59_26:
	s_delay_alu instid0(SALU_CYCLE_1)
	s_or_b32 exec_lo, exec_lo, s0
	v_mov_b32_e32 v7, 0
	s_waitcnt lgkmcnt(0)
	s_barrier
	buffer_gl0_inv
	s_mov_b32 s3, 0
	ds_load_b64 v[8:9], v7 offset:56
	s_mov_b32 s0, exec_lo
	s_waitcnt lgkmcnt(0)
	v_add_co_u32 v3, vcc_lo, v8, v3
	v_add_co_ci_u32_e32 v4, vcc_lo, v9, v4, vcc_lo
	global_store_b64 v[1:2], v[3:4], off
	v_cmpx_eq_u32_e32 0, v0
	s_cbranch_execz .LBB59_28
; %bb.27:
	s_lshl_b64 s[0:1], s[2:3], 3
	s_delay_alu instid0(SALU_CYCLE_1)
	s_add_u32 s0, s6, s0
	s_addc_u32 s1, s7, s1
	global_store_b64 v7, v[5:6], s[0:1]
.LBB59_28:
	s_nop 0
	s_sendmsg sendmsg(MSG_DEALLOC_VGPRS)
	s_endpgm
	.section	.rodata,"a",@progbits
	.p2align	6, 0x0
	.amdhsa_kernel _Z37inclusive_scan_prefix_callback_kernelILj256ELN6hipcub18BlockScanAlgorithmE0ElEvPT1_S3_S2_
		.amdhsa_group_segment_fixed_size 64
		.amdhsa_private_segment_fixed_size 0
		.amdhsa_kernarg_size 24
		.amdhsa_user_sgpr_count 15
		.amdhsa_user_sgpr_dispatch_ptr 0
		.amdhsa_user_sgpr_queue_ptr 0
		.amdhsa_user_sgpr_kernarg_segment_ptr 1
		.amdhsa_user_sgpr_dispatch_id 0
		.amdhsa_user_sgpr_private_segment_size 0
		.amdhsa_wavefront_size32 1
		.amdhsa_uses_dynamic_stack 0
		.amdhsa_enable_private_segment 0
		.amdhsa_system_sgpr_workgroup_id_x 1
		.amdhsa_system_sgpr_workgroup_id_y 0
		.amdhsa_system_sgpr_workgroup_id_z 0
		.amdhsa_system_sgpr_workgroup_info 0
		.amdhsa_system_vgpr_workitem_id 0
		.amdhsa_next_free_vgpr 13
		.amdhsa_next_free_sgpr 16
		.amdhsa_reserve_vcc 1
		.amdhsa_float_round_mode_32 0
		.amdhsa_float_round_mode_16_64 0
		.amdhsa_float_denorm_mode_32 3
		.amdhsa_float_denorm_mode_16_64 3
		.amdhsa_dx10_clamp 1
		.amdhsa_ieee_mode 1
		.amdhsa_fp16_overflow 0
		.amdhsa_workgroup_processor_mode 1
		.amdhsa_memory_ordered 1
		.amdhsa_forward_progress 0
		.amdhsa_shared_vgpr_count 0
		.amdhsa_exception_fp_ieee_invalid_op 0
		.amdhsa_exception_fp_denorm_src 0
		.amdhsa_exception_fp_ieee_div_zero 0
		.amdhsa_exception_fp_ieee_overflow 0
		.amdhsa_exception_fp_ieee_underflow 0
		.amdhsa_exception_fp_ieee_inexact 0
		.amdhsa_exception_int_div_zero 0
	.end_amdhsa_kernel
	.section	.text._Z37inclusive_scan_prefix_callback_kernelILj256ELN6hipcub18BlockScanAlgorithmE0ElEvPT1_S3_S2_,"axG",@progbits,_Z37inclusive_scan_prefix_callback_kernelILj256ELN6hipcub18BlockScanAlgorithmE0ElEvPT1_S3_S2_,comdat
.Lfunc_end59:
	.size	_Z37inclusive_scan_prefix_callback_kernelILj256ELN6hipcub18BlockScanAlgorithmE0ElEvPT1_S3_S2_, .Lfunc_end59-_Z37inclusive_scan_prefix_callback_kernelILj256ELN6hipcub18BlockScanAlgorithmE0ElEvPT1_S3_S2_
                                        ; -- End function
	.section	.AMDGPU.csdata,"",@progbits
; Kernel info:
; codeLenInByte = 992
; NumSgprs: 18
; NumVgprs: 13
; ScratchSize: 0
; MemoryBound: 0
; FloatMode: 240
; IeeeMode: 1
; LDSByteSize: 64 bytes/workgroup (compile time only)
; SGPRBlocks: 2
; VGPRBlocks: 1
; NumSGPRsForWavesPerEU: 18
; NumVGPRsForWavesPerEU: 13
; Occupancy: 16
; WaveLimiterHint : 0
; COMPUTE_PGM_RSRC2:SCRATCH_EN: 0
; COMPUTE_PGM_RSRC2:USER_SGPR: 15
; COMPUTE_PGM_RSRC2:TRAP_HANDLER: 0
; COMPUTE_PGM_RSRC2:TGID_X_EN: 1
; COMPUTE_PGM_RSRC2:TGID_Y_EN: 0
; COMPUTE_PGM_RSRC2:TGID_Z_EN: 0
; COMPUTE_PGM_RSRC2:TIDIG_COMP_CNT: 0
	.section	.text._Z37inclusive_scan_prefix_callback_kernelILj64ELN6hipcub18BlockScanAlgorithmE0ElEvPT1_S3_S2_,"axG",@progbits,_Z37inclusive_scan_prefix_callback_kernelILj64ELN6hipcub18BlockScanAlgorithmE0ElEvPT1_S3_S2_,comdat
	.protected	_Z37inclusive_scan_prefix_callback_kernelILj64ELN6hipcub18BlockScanAlgorithmE0ElEvPT1_S3_S2_ ; -- Begin function _Z37inclusive_scan_prefix_callback_kernelILj64ELN6hipcub18BlockScanAlgorithmE0ElEvPT1_S3_S2_
	.globl	_Z37inclusive_scan_prefix_callback_kernelILj64ELN6hipcub18BlockScanAlgorithmE0ElEvPT1_S3_S2_
	.p2align	8
	.type	_Z37inclusive_scan_prefix_callback_kernelILj64ELN6hipcub18BlockScanAlgorithmE0ElEvPT1_S3_S2_,@function
_Z37inclusive_scan_prefix_callback_kernelILj64ELN6hipcub18BlockScanAlgorithmE0ElEvPT1_S3_S2_: ; @_Z37inclusive_scan_prefix_callback_kernelILj64ELN6hipcub18BlockScanAlgorithmE0ElEvPT1_S3_S2_
; %bb.0:
	s_load_b128 s[4:7], s[0:1], 0x0
	s_mov_b32 s2, s15
	v_mov_b32_e32 v2, 0
	v_lshl_or_b32 v1, s2, 6, v0
	v_mbcnt_lo_u32_b32 v7, -1, 0
	s_mov_b32 s3, exec_lo
	s_delay_alu instid0(VALU_DEP_2) | instskip(NEXT) | instid1(VALU_DEP_2)
	v_lshlrev_b64 v[1:2], 3, v[1:2]
	v_and_b32_e32 v6, 15, v7
	s_waitcnt lgkmcnt(0)
	s_delay_alu instid0(VALU_DEP_2) | instskip(NEXT) | instid1(VALU_DEP_3)
	v_add_co_u32 v1, vcc_lo, s4, v1
	v_add_co_ci_u32_e32 v2, vcc_lo, s5, v2, vcc_lo
	global_load_b64 v[3:4], v[1:2], off
	s_waitcnt vmcnt(0)
	v_mov_b32_e32 v5, v3
	v_mov_b32_dpp v9, v3 row_shr:1 row_mask:0xf bank_mask:0xf
	v_mov_b32_dpp v8, v4 row_shr:1 row_mask:0xf bank_mask:0xf
	v_cmpx_ne_u32_e32 0, v6
; %bb.1:
	s_delay_alu instid0(VALU_DEP_3) | instskip(SKIP_1) | instid1(VALU_DEP_2)
	v_add_co_u32 v5, vcc_lo, v3, v9
	v_add_co_ci_u32_e32 v4, vcc_lo, 0, v4, vcc_lo
	v_add_co_u32 v3, vcc_lo, 0, v5
	s_delay_alu instid0(VALU_DEP_2)
	v_add_co_ci_u32_e32 v4, vcc_lo, v8, v4, vcc_lo
; %bb.2:
	s_or_b32 exec_lo, exec_lo, s3
	v_mov_b32_dpp v9, v5 row_shr:2 row_mask:0xf bank_mask:0xf
	s_delay_alu instid0(VALU_DEP_2)
	v_mov_b32_dpp v8, v4 row_shr:2 row_mask:0xf bank_mask:0xf
	s_mov_b32 s3, exec_lo
	v_cmpx_lt_u32_e32 1, v6
; %bb.3:
	s_delay_alu instid0(VALU_DEP_3) | instskip(SKIP_1) | instid1(VALU_DEP_2)
	v_add_co_u32 v5, vcc_lo, v3, v9
	v_add_co_ci_u32_e32 v4, vcc_lo, 0, v4, vcc_lo
	v_add_co_u32 v3, vcc_lo, 0, v5
	s_delay_alu instid0(VALU_DEP_2)
	v_add_co_ci_u32_e32 v4, vcc_lo, v8, v4, vcc_lo
; %bb.4:
	s_or_b32 exec_lo, exec_lo, s3
	v_mov_b32_dpp v9, v5 row_shr:4 row_mask:0xf bank_mask:0xf
	s_delay_alu instid0(VALU_DEP_2)
	v_mov_b32_dpp v8, v4 row_shr:4 row_mask:0xf bank_mask:0xf
	s_mov_b32 s3, exec_lo
	v_cmpx_lt_u32_e32 3, v6
	;; [unrolled: 14-line block ×3, first 2 shown]
; %bb.7:
	s_delay_alu instid0(VALU_DEP_3) | instskip(SKIP_1) | instid1(VALU_DEP_2)
	v_add_co_u32 v5, vcc_lo, v3, v9
	v_add_co_ci_u32_e32 v4, vcc_lo, 0, v4, vcc_lo
	v_add_co_u32 v3, vcc_lo, 0, v5
	s_delay_alu instid0(VALU_DEP_2)
	v_add_co_ci_u32_e32 v4, vcc_lo, v8, v4, vcc_lo
; %bb.8:
	s_or_b32 exec_lo, exec_lo, s3
	ds_swizzle_b32 v6, v5 offset:swizzle(BROADCAST,32,15)
	ds_swizzle_b32 v5, v4 offset:swizzle(BROADCAST,32,15)
	v_and_b32_e32 v8, 16, v7
	s_mov_b32 s3, exec_lo
	s_delay_alu instid0(VALU_DEP_1)
	v_cmpx_ne_u32_e32 0, v8
	s_cbranch_execz .LBB60_10
; %bb.9:
	s_waitcnt lgkmcnt(1)
	v_add_co_u32 v3, vcc_lo, v3, v6
	v_add_co_ci_u32_e32 v4, vcc_lo, 0, v4, vcc_lo
	s_delay_alu instid0(VALU_DEP_2) | instskip(SKIP_1) | instid1(VALU_DEP_2)
	v_add_co_u32 v3, vcc_lo, v3, 0
	s_waitcnt lgkmcnt(0)
	v_add_co_ci_u32_e32 v4, vcc_lo, v4, v5, vcc_lo
.LBB60_10:
	s_or_b32 exec_lo, exec_lo, s3
	s_load_b64 s[4:5], s[0:1], 0x10
	s_waitcnt lgkmcnt(0)
	v_or_b32_e32 v5, 31, v0
	v_lshrrev_b32_e32 v8, 5, v0
	s_mov_b32 s0, exec_lo
	s_delay_alu instid0(VALU_DEP_2)
	v_cmpx_eq_u32_e64 v5, v0
	s_cbranch_execz .LBB60_12
; %bb.11:
	s_delay_alu instid0(VALU_DEP_2)
	v_lshlrev_b32_e32 v5, 3, v8
	ds_store_b64 v5, v[3:4]
.LBB60_12:
	s_or_b32 exec_lo, exec_lo, s0
	s_delay_alu instid0(SALU_CYCLE_1)
	s_mov_b32 s0, exec_lo
	s_waitcnt lgkmcnt(0)
	s_barrier
	buffer_gl0_inv
	v_cmpx_gt_u32_e32 2, v0
	s_cbranch_execz .LBB60_16
; %bb.13:
	v_lshlrev_b32_e32 v9, 3, v0
	v_and_b32_e32 v11, 1, v7
	s_mov_b32 s1, exec_lo
	ds_load_b64 v[5:6], v9
	s_waitcnt lgkmcnt(0)
	v_mov_b32_dpp v10, v5 row_shr:1 row_mask:0xf bank_mask:0xf
	v_mov_b32_dpp v7, v6 row_shr:1 row_mask:0xf bank_mask:0xf
	v_cmpx_eq_u32_e32 1, v11
; %bb.14:
	s_delay_alu instid0(VALU_DEP_3) | instskip(SKIP_1) | instid1(VALU_DEP_2)
	v_add_co_u32 v5, vcc_lo, v5, v10
	v_add_co_ci_u32_e32 v6, vcc_lo, 0, v6, vcc_lo
	v_add_co_u32 v5, vcc_lo, v5, 0
	s_delay_alu instid0(VALU_DEP_2)
	v_add_co_ci_u32_e32 v6, vcc_lo, v6, v7, vcc_lo
; %bb.15:
	s_or_b32 exec_lo, exec_lo, s1
	ds_store_b64 v9, v[5:6]
.LBB60_16:
	s_or_b32 exec_lo, exec_lo, s0
	v_cmp_gt_u32_e32 vcc_lo, 32, v0
	s_mov_b32 s1, exec_lo
	s_waitcnt lgkmcnt(0)
	s_barrier
	buffer_gl0_inv
	v_cmpx_lt_u32_e32 31, v0
	s_cbranch_execz .LBB60_18
; %bb.17:
	v_lshl_add_u32 v5, v8, 3, -8
	ds_load_b64 v[5:6], v5
	s_waitcnt lgkmcnt(0)
	v_add_co_u32 v3, s0, v5, v3
	s_delay_alu instid0(VALU_DEP_1)
	v_add_co_ci_u32_e64 v4, s0, v6, v4, s0
.LBB60_18:
	s_or_b32 exec_lo, exec_lo, s1
	v_dual_mov_b32 v6, s5 :: v_dual_mov_b32 v5, s4
	s_and_saveexec_b32 s0, vcc_lo
	s_cbranch_execz .LBB60_22
; %bb.19:
	v_mov_b32_e32 v7, 0
	s_mov_b32 s1, exec_lo
	ds_load_b64 v[5:6], v7 offset:8
	s_waitcnt lgkmcnt(0)
	v_add_co_u32 v5, vcc_lo, v5, s4
	v_add_co_ci_u32_e32 v6, vcc_lo, s5, v6, vcc_lo
	v_cmpx_eq_u32_e32 0, v0
	s_cbranch_execz .LBB60_21
; %bb.20:
	v_dual_mov_b32 v9, s5 :: v_dual_mov_b32 v8, s4
	ds_store_b64 v7, v[8:9] offset:8
.LBB60_21:
	s_or_b32 exec_lo, exec_lo, s1
.LBB60_22:
	s_delay_alu instid0(SALU_CYCLE_1)
	s_or_b32 exec_lo, exec_lo, s0
	v_mov_b32_e32 v7, 0
	s_waitcnt lgkmcnt(0)
	s_barrier
	buffer_gl0_inv
	s_mov_b32 s3, 0
	ds_load_b64 v[8:9], v7 offset:8
	s_mov_b32 s0, exec_lo
	s_waitcnt lgkmcnt(0)
	v_add_co_u32 v3, vcc_lo, v8, v3
	v_add_co_ci_u32_e32 v4, vcc_lo, v9, v4, vcc_lo
	global_store_b64 v[1:2], v[3:4], off
	v_cmpx_eq_u32_e32 0, v0
	s_cbranch_execz .LBB60_24
; %bb.23:
	s_lshl_b64 s[0:1], s[2:3], 3
	s_delay_alu instid0(SALU_CYCLE_1)
	s_add_u32 s0, s6, s0
	s_addc_u32 s1, s7, s1
	global_store_b64 v7, v[5:6], s[0:1]
.LBB60_24:
	s_nop 0
	s_sendmsg sendmsg(MSG_DEALLOC_VGPRS)
	s_endpgm
	.section	.rodata,"a",@progbits
	.p2align	6, 0x0
	.amdhsa_kernel _Z37inclusive_scan_prefix_callback_kernelILj64ELN6hipcub18BlockScanAlgorithmE0ElEvPT1_S3_S2_
		.amdhsa_group_segment_fixed_size 16
		.amdhsa_private_segment_fixed_size 0
		.amdhsa_kernarg_size 24
		.amdhsa_user_sgpr_count 15
		.amdhsa_user_sgpr_dispatch_ptr 0
		.amdhsa_user_sgpr_queue_ptr 0
		.amdhsa_user_sgpr_kernarg_segment_ptr 1
		.amdhsa_user_sgpr_dispatch_id 0
		.amdhsa_user_sgpr_private_segment_size 0
		.amdhsa_wavefront_size32 1
		.amdhsa_uses_dynamic_stack 0
		.amdhsa_enable_private_segment 0
		.amdhsa_system_sgpr_workgroup_id_x 1
		.amdhsa_system_sgpr_workgroup_id_y 0
		.amdhsa_system_sgpr_workgroup_id_z 0
		.amdhsa_system_sgpr_workgroup_info 0
		.amdhsa_system_vgpr_workitem_id 0
		.amdhsa_next_free_vgpr 12
		.amdhsa_next_free_sgpr 16
		.amdhsa_reserve_vcc 1
		.amdhsa_float_round_mode_32 0
		.amdhsa_float_round_mode_16_64 0
		.amdhsa_float_denorm_mode_32 3
		.amdhsa_float_denorm_mode_16_64 3
		.amdhsa_dx10_clamp 1
		.amdhsa_ieee_mode 1
		.amdhsa_fp16_overflow 0
		.amdhsa_workgroup_processor_mode 1
		.amdhsa_memory_ordered 1
		.amdhsa_forward_progress 0
		.amdhsa_shared_vgpr_count 0
		.amdhsa_exception_fp_ieee_invalid_op 0
		.amdhsa_exception_fp_denorm_src 0
		.amdhsa_exception_fp_ieee_div_zero 0
		.amdhsa_exception_fp_ieee_overflow 0
		.amdhsa_exception_fp_ieee_underflow 0
		.amdhsa_exception_fp_ieee_inexact 0
		.amdhsa_exception_int_div_zero 0
	.end_amdhsa_kernel
	.section	.text._Z37inclusive_scan_prefix_callback_kernelILj64ELN6hipcub18BlockScanAlgorithmE0ElEvPT1_S3_S2_,"axG",@progbits,_Z37inclusive_scan_prefix_callback_kernelILj64ELN6hipcub18BlockScanAlgorithmE0ElEvPT1_S3_S2_,comdat
.Lfunc_end60:
	.size	_Z37inclusive_scan_prefix_callback_kernelILj64ELN6hipcub18BlockScanAlgorithmE0ElEvPT1_S3_S2_, .Lfunc_end60-_Z37inclusive_scan_prefix_callback_kernelILj64ELN6hipcub18BlockScanAlgorithmE0ElEvPT1_S3_S2_
                                        ; -- End function
	.section	.AMDGPU.csdata,"",@progbits
; Kernel info:
; codeLenInByte = 860
; NumSgprs: 18
; NumVgprs: 12
; ScratchSize: 0
; MemoryBound: 0
; FloatMode: 240
; IeeeMode: 1
; LDSByteSize: 16 bytes/workgroup (compile time only)
; SGPRBlocks: 2
; VGPRBlocks: 1
; NumSGPRsForWavesPerEU: 18
; NumVGPRsForWavesPerEU: 12
; Occupancy: 16
; WaveLimiterHint : 0
; COMPUTE_PGM_RSRC2:SCRATCH_EN: 0
; COMPUTE_PGM_RSRC2:USER_SGPR: 15
; COMPUTE_PGM_RSRC2:TRAP_HANDLER: 0
; COMPUTE_PGM_RSRC2:TGID_X_EN: 1
; COMPUTE_PGM_RSRC2:TGID_Y_EN: 0
; COMPUTE_PGM_RSRC2:TGID_Z_EN: 0
; COMPUTE_PGM_RSRC2:TIDIG_COMP_CNT: 0
	.section	.text._Z37inclusive_scan_prefix_callback_kernelILj377ELN6hipcub18BlockScanAlgorithmE0EjEvPT1_S3_S2_,"axG",@progbits,_Z37inclusive_scan_prefix_callback_kernelILj377ELN6hipcub18BlockScanAlgorithmE0EjEvPT1_S3_S2_,comdat
	.protected	_Z37inclusive_scan_prefix_callback_kernelILj377ELN6hipcub18BlockScanAlgorithmE0EjEvPT1_S3_S2_ ; -- Begin function _Z37inclusive_scan_prefix_callback_kernelILj377ELN6hipcub18BlockScanAlgorithmE0EjEvPT1_S3_S2_
	.globl	_Z37inclusive_scan_prefix_callback_kernelILj377ELN6hipcub18BlockScanAlgorithmE0EjEvPT1_S3_S2_
	.p2align	8
	.type	_Z37inclusive_scan_prefix_callback_kernelILj377ELN6hipcub18BlockScanAlgorithmE0EjEvPT1_S3_S2_,@function
_Z37inclusive_scan_prefix_callback_kernelILj377ELN6hipcub18BlockScanAlgorithmE0EjEvPT1_S3_S2_: ; @_Z37inclusive_scan_prefix_callback_kernelILj377ELN6hipcub18BlockScanAlgorithmE0EjEvPT1_S3_S2_
; %bb.0:
	s_load_b128 s[4:7], s[0:1], 0x0
	s_mov_b32 s8, s15
	v_mbcnt_lo_u32_b32 v4, -1, 0
	v_mad_u64_u32 v[1:2], null, 0x179, s8, v[0:1]
	v_mov_b32_e32 v2, 0
	s_mov_b32 s9, exec_lo
	s_delay_alu instid0(VALU_DEP_3) | instskip(SKIP_1) | instid1(VALU_DEP_3)
	v_and_b32_e32 v5, 15, v4
	v_bfe_i32 v4, v4, 4, 1
	v_lshlrev_b64 v[1:2], 2, v[1:2]
	s_delay_alu instid0(VALU_DEP_3) | instskip(SKIP_2) | instid1(VALU_DEP_3)
	v_cmp_lt_u32_e64 s2, 1, v5
	v_cmp_lt_u32_e64 s3, 3, v5
	s_waitcnt lgkmcnt(0)
	v_add_co_u32 v1, vcc_lo, s4, v1
	s_delay_alu instid0(VALU_DEP_4)
	v_add_co_ci_u32_e32 v2, vcc_lo, s5, v2, vcc_lo
	v_cmp_eq_u32_e32 vcc_lo, 0, v5
	v_cmp_lt_u32_e64 s4, 7, v5
	global_load_b32 v3, v[1:2], off
	s_waitcnt vmcnt(0)
	v_mov_b32_dpp v6, v3 row_shr:1 row_mask:0xf bank_mask:0xf
	s_delay_alu instid0(VALU_DEP_1) | instskip(NEXT) | instid1(VALU_DEP_1)
	v_cndmask_b32_e64 v6, v6, 0, vcc_lo
	v_add_nc_u32_e32 v3, v6, v3
	s_delay_alu instid0(VALU_DEP_1) | instskip(NEXT) | instid1(VALU_DEP_1)
	v_mov_b32_dpp v6, v3 row_shr:2 row_mask:0xf bank_mask:0xf
	v_cndmask_b32_e64 v6, 0, v6, s2
	s_delay_alu instid0(VALU_DEP_1) | instskip(NEXT) | instid1(VALU_DEP_1)
	v_add_nc_u32_e32 v3, v3, v6
	v_mov_b32_dpp v6, v3 row_shr:4 row_mask:0xf bank_mask:0xf
	s_delay_alu instid0(VALU_DEP_1) | instskip(NEXT) | instid1(VALU_DEP_1)
	v_cndmask_b32_e64 v6, 0, v6, s3
	v_add_nc_u32_e32 v3, v3, v6
	s_delay_alu instid0(VALU_DEP_1) | instskip(NEXT) | instid1(VALU_DEP_1)
	v_mov_b32_dpp v6, v3 row_shr:8 row_mask:0xf bank_mask:0xf
	v_cndmask_b32_e64 v5, 0, v6, s4
	v_and_b32_e32 v6, 0x1e0, v0
	s_delay_alu instid0(VALU_DEP_2) | instskip(NEXT) | instid1(VALU_DEP_2)
	v_add_nc_u32_e32 v3, v3, v5
	v_min_u32_e32 v6, 0x159, v6
	ds_swizzle_b32 v5, v3 offset:swizzle(BROADCAST,32,15)
	v_add_nc_u32_e32 v6, 31, v6
	s_waitcnt lgkmcnt(0)
	v_and_b32_e32 v5, v4, v5
	v_lshrrev_b32_e32 v4, 5, v0
	s_delay_alu instid0(VALU_DEP_2)
	v_add_nc_u32_e32 v3, v3, v5
	v_cmpx_eq_u32_e64 v6, v0
	s_cbranch_execz .LBB61_2
; %bb.1:
	s_delay_alu instid0(VALU_DEP_3)
	v_lshlrev_b32_e32 v5, 2, v4
	ds_store_b32 v5, v3
.LBB61_2:
	s_or_b32 exec_lo, exec_lo, s9
	s_delay_alu instid0(SALU_CYCLE_1)
	s_mov_b32 s9, exec_lo
	s_waitcnt lgkmcnt(0)
	s_barrier
	buffer_gl0_inv
	v_cmpx_gt_u32_e32 12, v0
	s_cbranch_execz .LBB61_4
; %bb.3:
	v_lshlrev_b32_e32 v5, 2, v0
	ds_load_b32 v6, v5
	s_waitcnt lgkmcnt(0)
	v_mov_b32_dpp v7, v6 row_shr:1 row_mask:0xf bank_mask:0xf
	s_delay_alu instid0(VALU_DEP_1) | instskip(NEXT) | instid1(VALU_DEP_1)
	v_cndmask_b32_e64 v7, v7, 0, vcc_lo
	v_add_nc_u32_e32 v6, v7, v6
	s_delay_alu instid0(VALU_DEP_1) | instskip(NEXT) | instid1(VALU_DEP_1)
	v_mov_b32_dpp v7, v6 row_shr:2 row_mask:0xf bank_mask:0xf
	v_cndmask_b32_e64 v7, 0, v7, s2
	s_delay_alu instid0(VALU_DEP_1) | instskip(NEXT) | instid1(VALU_DEP_1)
	v_add_nc_u32_e32 v6, v6, v7
	v_mov_b32_dpp v7, v6 row_shr:4 row_mask:0xf bank_mask:0xf
	s_delay_alu instid0(VALU_DEP_1) | instskip(NEXT) | instid1(VALU_DEP_1)
	v_cndmask_b32_e64 v7, 0, v7, s3
	v_add_nc_u32_e32 v6, v6, v7
	s_delay_alu instid0(VALU_DEP_1) | instskip(NEXT) | instid1(VALU_DEP_1)
	v_mov_b32_dpp v7, v6 row_shr:8 row_mask:0xf bank_mask:0xf
	v_cndmask_b32_e64 v7, 0, v7, s4
	s_delay_alu instid0(VALU_DEP_1)
	v_add_nc_u32_e32 v6, v6, v7
	ds_store_b32 v5, v6
.LBB61_4:
	s_or_b32 exec_lo, exec_lo, s9
	v_cmp_gt_u32_e32 vcc_lo, 32, v0
	s_mov_b32 s3, exec_lo
	s_waitcnt lgkmcnt(0)
	s_barrier
	buffer_gl0_inv
	v_cmpx_lt_u32_e32 31, v0
	s_cbranch_execz .LBB61_6
; %bb.5:
	v_lshl_add_u32 v4, v4, 2, -4
	ds_load_b32 v4, v4
	s_waitcnt lgkmcnt(0)
	v_add_nc_u32_e32 v3, v4, v3
.LBB61_6:
	s_or_b32 exec_lo, exec_lo, s3
	s_load_b32 s1, s[0:1], 0x10
	s_waitcnt lgkmcnt(0)
	v_mov_b32_e32 v4, s1
	s_and_saveexec_b32 s0, vcc_lo
	s_cbranch_execz .LBB61_10
; %bb.7:
	v_mov_b32_e32 v5, 0
	s_mov_b32 s2, exec_lo
	ds_load_b32 v4, v5 offset:44
	v_cmpx_eq_u32_e32 0, v0
	s_cbranch_execz .LBB61_9
; %bb.8:
	v_mov_b32_e32 v6, s1
	ds_store_b32 v5, v6 offset:44
.LBB61_9:
	s_or_b32 exec_lo, exec_lo, s2
	s_waitcnt lgkmcnt(0)
	v_add_nc_u32_e32 v4, s1, v4
.LBB61_10:
	s_or_b32 exec_lo, exec_lo, s0
	v_mov_b32_e32 v5, 0
	s_barrier
	buffer_gl0_inv
	s_mov_b32 s9, 0
	ds_load_b32 v6, v5 offset:44
	s_mov_b32 s0, exec_lo
	s_waitcnt lgkmcnt(0)
	v_add_nc_u32_e32 v3, v6, v3
	global_store_b32 v[1:2], v3, off
	v_cmpx_eq_u32_e32 0, v0
	s_cbranch_execz .LBB61_12
; %bb.11:
	s_lshl_b64 s[0:1], s[8:9], 2
	s_delay_alu instid0(SALU_CYCLE_1)
	s_add_u32 s0, s6, s0
	s_addc_u32 s1, s7, s1
	global_store_b32 v5, v4, s[0:1]
.LBB61_12:
	s_nop 0
	s_sendmsg sendmsg(MSG_DEALLOC_VGPRS)
	s_endpgm
	.section	.rodata,"a",@progbits
	.p2align	6, 0x0
	.amdhsa_kernel _Z37inclusive_scan_prefix_callback_kernelILj377ELN6hipcub18BlockScanAlgorithmE0EjEvPT1_S3_S2_
		.amdhsa_group_segment_fixed_size 48
		.amdhsa_private_segment_fixed_size 0
		.amdhsa_kernarg_size 20
		.amdhsa_user_sgpr_count 15
		.amdhsa_user_sgpr_dispatch_ptr 0
		.amdhsa_user_sgpr_queue_ptr 0
		.amdhsa_user_sgpr_kernarg_segment_ptr 1
		.amdhsa_user_sgpr_dispatch_id 0
		.amdhsa_user_sgpr_private_segment_size 0
		.amdhsa_wavefront_size32 1
		.amdhsa_uses_dynamic_stack 0
		.amdhsa_enable_private_segment 0
		.amdhsa_system_sgpr_workgroup_id_x 1
		.amdhsa_system_sgpr_workgroup_id_y 0
		.amdhsa_system_sgpr_workgroup_id_z 0
		.amdhsa_system_sgpr_workgroup_info 0
		.amdhsa_system_vgpr_workitem_id 0
		.amdhsa_next_free_vgpr 8
		.amdhsa_next_free_sgpr 16
		.amdhsa_reserve_vcc 1
		.amdhsa_float_round_mode_32 0
		.amdhsa_float_round_mode_16_64 0
		.amdhsa_float_denorm_mode_32 3
		.amdhsa_float_denorm_mode_16_64 3
		.amdhsa_dx10_clamp 1
		.amdhsa_ieee_mode 1
		.amdhsa_fp16_overflow 0
		.amdhsa_workgroup_processor_mode 1
		.amdhsa_memory_ordered 1
		.amdhsa_forward_progress 0
		.amdhsa_shared_vgpr_count 0
		.amdhsa_exception_fp_ieee_invalid_op 0
		.amdhsa_exception_fp_denorm_src 0
		.amdhsa_exception_fp_ieee_div_zero 0
		.amdhsa_exception_fp_ieee_overflow 0
		.amdhsa_exception_fp_ieee_underflow 0
		.amdhsa_exception_fp_ieee_inexact 0
		.amdhsa_exception_int_div_zero 0
	.end_amdhsa_kernel
	.section	.text._Z37inclusive_scan_prefix_callback_kernelILj377ELN6hipcub18BlockScanAlgorithmE0EjEvPT1_S3_S2_,"axG",@progbits,_Z37inclusive_scan_prefix_callback_kernelILj377ELN6hipcub18BlockScanAlgorithmE0EjEvPT1_S3_S2_,comdat
.Lfunc_end61:
	.size	_Z37inclusive_scan_prefix_callback_kernelILj377ELN6hipcub18BlockScanAlgorithmE0EjEvPT1_S3_S2_, .Lfunc_end61-_Z37inclusive_scan_prefix_callback_kernelILj377ELN6hipcub18BlockScanAlgorithmE0EjEvPT1_S3_S2_
                                        ; -- End function
	.section	.AMDGPU.csdata,"",@progbits
; Kernel info:
; codeLenInByte = 704
; NumSgprs: 18
; NumVgprs: 8
; ScratchSize: 0
; MemoryBound: 0
; FloatMode: 240
; IeeeMode: 1
; LDSByteSize: 48 bytes/workgroup (compile time only)
; SGPRBlocks: 2
; VGPRBlocks: 0
; NumSGPRsForWavesPerEU: 18
; NumVGPRsForWavesPerEU: 8
; Occupancy: 15
; WaveLimiterHint : 0
; COMPUTE_PGM_RSRC2:SCRATCH_EN: 0
; COMPUTE_PGM_RSRC2:USER_SGPR: 15
; COMPUTE_PGM_RSRC2:TRAP_HANDLER: 0
; COMPUTE_PGM_RSRC2:TGID_X_EN: 1
; COMPUTE_PGM_RSRC2:TGID_Y_EN: 0
; COMPUTE_PGM_RSRC2:TGID_Z_EN: 0
; COMPUTE_PGM_RSRC2:TIDIG_COMP_CNT: 0
	.section	.text._Z37inclusive_scan_prefix_callback_kernelILj256ELN6hipcub18BlockScanAlgorithmE0EjEvPT1_S3_S2_,"axG",@progbits,_Z37inclusive_scan_prefix_callback_kernelILj256ELN6hipcub18BlockScanAlgorithmE0EjEvPT1_S3_S2_,comdat
	.protected	_Z37inclusive_scan_prefix_callback_kernelILj256ELN6hipcub18BlockScanAlgorithmE0EjEvPT1_S3_S2_ ; -- Begin function _Z37inclusive_scan_prefix_callback_kernelILj256ELN6hipcub18BlockScanAlgorithmE0EjEvPT1_S3_S2_
	.globl	_Z37inclusive_scan_prefix_callback_kernelILj256ELN6hipcub18BlockScanAlgorithmE0EjEvPT1_S3_S2_
	.p2align	8
	.type	_Z37inclusive_scan_prefix_callback_kernelILj256ELN6hipcub18BlockScanAlgorithmE0EjEvPT1_S3_S2_,@function
_Z37inclusive_scan_prefix_callback_kernelILj256ELN6hipcub18BlockScanAlgorithmE0EjEvPT1_S3_S2_: ; @_Z37inclusive_scan_prefix_callback_kernelILj256ELN6hipcub18BlockScanAlgorithmE0EjEvPT1_S3_S2_
; %bb.0:
	s_load_b128 s[4:7], s[0:1], 0x0
	s_mov_b32 s8, s15
	v_mov_b32_e32 v2, 0
	v_lshl_or_b32 v1, s8, 8, v0
	v_mbcnt_lo_u32_b32 v5, -1, 0
	v_or_b32_e32 v7, 31, v0
	s_mov_b32 s2, exec_lo
	s_delay_alu instid0(VALU_DEP_3) | instskip(NEXT) | instid1(VALU_DEP_3)
	v_lshlrev_b64 v[1:2], 2, v[1:2]
	v_and_b32_e32 v4, 15, v5
	s_waitcnt lgkmcnt(0)
	s_delay_alu instid0(VALU_DEP_2) | instskip(NEXT) | instid1(VALU_DEP_3)
	v_add_co_u32 v1, vcc_lo, s4, v1
	v_add_co_ci_u32_e32 v2, vcc_lo, s5, v2, vcc_lo
	s_delay_alu instid0(VALU_DEP_3) | instskip(SKIP_3) | instid1(VALU_DEP_1)
	v_cmp_ne_u32_e32 vcc_lo, 0, v4
	global_load_b32 v3, v[1:2], off
	s_waitcnt vmcnt(0)
	v_mov_b32_dpp v6, v3 row_shr:1 row_mask:0xf bank_mask:0xf
	v_cndmask_b32_e32 v6, 0, v6, vcc_lo
	v_cmp_lt_u32_e32 vcc_lo, 1, v4
	s_delay_alu instid0(VALU_DEP_2) | instskip(NEXT) | instid1(VALU_DEP_1)
	v_add_nc_u32_e32 v3, v6, v3
	v_mov_b32_dpp v6, v3 row_shr:2 row_mask:0xf bank_mask:0xf
	s_delay_alu instid0(VALU_DEP_1) | instskip(SKIP_1) | instid1(VALU_DEP_2)
	v_cndmask_b32_e32 v6, 0, v6, vcc_lo
	v_cmp_lt_u32_e32 vcc_lo, 3, v4
	v_add_nc_u32_e32 v3, v3, v6
	s_delay_alu instid0(VALU_DEP_1) | instskip(NEXT) | instid1(VALU_DEP_1)
	v_mov_b32_dpp v6, v3 row_shr:4 row_mask:0xf bank_mask:0xf
	v_cndmask_b32_e32 v6, 0, v6, vcc_lo
	v_cmp_lt_u32_e32 vcc_lo, 7, v4
	s_delay_alu instid0(VALU_DEP_2) | instskip(NEXT) | instid1(VALU_DEP_1)
	v_add_nc_u32_e32 v3, v3, v6
	v_mov_b32_dpp v6, v3 row_shr:8 row_mask:0xf bank_mask:0xf
	s_delay_alu instid0(VALU_DEP_1) | instskip(SKIP_1) | instid1(VALU_DEP_2)
	v_cndmask_b32_e32 v4, 0, v6, vcc_lo
	v_bfe_i32 v6, v5, 4, 1
	v_add_nc_u32_e32 v3, v3, v4
	ds_swizzle_b32 v4, v3 offset:swizzle(BROADCAST,32,15)
	s_waitcnt lgkmcnt(0)
	v_and_b32_e32 v6, v6, v4
	v_lshrrev_b32_e32 v4, 5, v0
	s_delay_alu instid0(VALU_DEP_2)
	v_add_nc_u32_e32 v3, v3, v6
	v_cmpx_eq_u32_e64 v7, v0
	s_cbranch_execz .LBB62_2
; %bb.1:
	s_delay_alu instid0(VALU_DEP_3)
	v_lshlrev_b32_e32 v6, 2, v4
	ds_store_b32 v6, v3
.LBB62_2:
	s_or_b32 exec_lo, exec_lo, s2
	s_delay_alu instid0(SALU_CYCLE_1)
	s_mov_b32 s2, exec_lo
	s_waitcnt lgkmcnt(0)
	s_barrier
	buffer_gl0_inv
	v_cmpx_gt_u32_e32 8, v0
	s_cbranch_execz .LBB62_4
; %bb.3:
	v_lshlrev_b32_e32 v6, 2, v0
	ds_load_b32 v7, v6
	s_waitcnt lgkmcnt(0)
	v_mov_b32_dpp v8, v7 row_shr:1 row_mask:0xf bank_mask:0xf
	v_and_b32_e32 v5, 7, v5
	s_delay_alu instid0(VALU_DEP_1) | instskip(NEXT) | instid1(VALU_DEP_3)
	v_cmp_ne_u32_e32 vcc_lo, 0, v5
	v_cndmask_b32_e32 v8, 0, v8, vcc_lo
	v_cmp_lt_u32_e32 vcc_lo, 1, v5
	s_delay_alu instid0(VALU_DEP_2) | instskip(NEXT) | instid1(VALU_DEP_1)
	v_add_nc_u32_e32 v7, v8, v7
	v_mov_b32_dpp v8, v7 row_shr:2 row_mask:0xf bank_mask:0xf
	s_delay_alu instid0(VALU_DEP_1) | instskip(SKIP_1) | instid1(VALU_DEP_2)
	v_cndmask_b32_e32 v8, 0, v8, vcc_lo
	v_cmp_lt_u32_e32 vcc_lo, 3, v5
	v_add_nc_u32_e32 v7, v7, v8
	s_delay_alu instid0(VALU_DEP_1) | instskip(NEXT) | instid1(VALU_DEP_1)
	v_mov_b32_dpp v8, v7 row_shr:4 row_mask:0xf bank_mask:0xf
	v_cndmask_b32_e32 v5, 0, v8, vcc_lo
	s_delay_alu instid0(VALU_DEP_1)
	v_add_nc_u32_e32 v5, v7, v5
	ds_store_b32 v6, v5
.LBB62_4:
	s_or_b32 exec_lo, exec_lo, s2
	v_cmp_gt_u32_e32 vcc_lo, 32, v0
	s_mov_b32 s3, exec_lo
	s_waitcnt lgkmcnt(0)
	s_barrier
	buffer_gl0_inv
	v_cmpx_lt_u32_e32 31, v0
	s_cbranch_execz .LBB62_6
; %bb.5:
	v_lshl_add_u32 v4, v4, 2, -4
	ds_load_b32 v4, v4
	s_waitcnt lgkmcnt(0)
	v_add_nc_u32_e32 v3, v4, v3
.LBB62_6:
	s_or_b32 exec_lo, exec_lo, s3
	s_load_b32 s1, s[0:1], 0x10
	s_waitcnt lgkmcnt(0)
	v_mov_b32_e32 v4, s1
	s_and_saveexec_b32 s0, vcc_lo
	s_cbranch_execz .LBB62_10
; %bb.7:
	v_mov_b32_e32 v5, 0
	s_mov_b32 s2, exec_lo
	ds_load_b32 v4, v5 offset:28
	v_cmpx_eq_u32_e32 0, v0
	s_cbranch_execz .LBB62_9
; %bb.8:
	v_mov_b32_e32 v6, s1
	ds_store_b32 v5, v6 offset:28
.LBB62_9:
	s_or_b32 exec_lo, exec_lo, s2
	s_waitcnt lgkmcnt(0)
	v_add_nc_u32_e32 v4, s1, v4
.LBB62_10:
	s_or_b32 exec_lo, exec_lo, s0
	v_mov_b32_e32 v5, 0
	s_barrier
	buffer_gl0_inv
	s_mov_b32 s9, 0
	ds_load_b32 v6, v5 offset:28
	s_mov_b32 s0, exec_lo
	s_waitcnt lgkmcnt(0)
	v_add_nc_u32_e32 v3, v6, v3
	global_store_b32 v[1:2], v3, off
	v_cmpx_eq_u32_e32 0, v0
	s_cbranch_execz .LBB62_12
; %bb.11:
	s_lshl_b64 s[0:1], s[8:9], 2
	s_delay_alu instid0(SALU_CYCLE_1)
	s_add_u32 s0, s6, s0
	s_addc_u32 s1, s7, s1
	global_store_b32 v5, v4, s[0:1]
.LBB62_12:
	s_nop 0
	s_sendmsg sendmsg(MSG_DEALLOC_VGPRS)
	s_endpgm
	.section	.rodata,"a",@progbits
	.p2align	6, 0x0
	.amdhsa_kernel _Z37inclusive_scan_prefix_callback_kernelILj256ELN6hipcub18BlockScanAlgorithmE0EjEvPT1_S3_S2_
		.amdhsa_group_segment_fixed_size 32
		.amdhsa_private_segment_fixed_size 0
		.amdhsa_kernarg_size 20
		.amdhsa_user_sgpr_count 15
		.amdhsa_user_sgpr_dispatch_ptr 0
		.amdhsa_user_sgpr_queue_ptr 0
		.amdhsa_user_sgpr_kernarg_segment_ptr 1
		.amdhsa_user_sgpr_dispatch_id 0
		.amdhsa_user_sgpr_private_segment_size 0
		.amdhsa_wavefront_size32 1
		.amdhsa_uses_dynamic_stack 0
		.amdhsa_enable_private_segment 0
		.amdhsa_system_sgpr_workgroup_id_x 1
		.amdhsa_system_sgpr_workgroup_id_y 0
		.amdhsa_system_sgpr_workgroup_id_z 0
		.amdhsa_system_sgpr_workgroup_info 0
		.amdhsa_system_vgpr_workitem_id 0
		.amdhsa_next_free_vgpr 9
		.amdhsa_next_free_sgpr 16
		.amdhsa_reserve_vcc 1
		.amdhsa_float_round_mode_32 0
		.amdhsa_float_round_mode_16_64 0
		.amdhsa_float_denorm_mode_32 3
		.amdhsa_float_denorm_mode_16_64 3
		.amdhsa_dx10_clamp 1
		.amdhsa_ieee_mode 1
		.amdhsa_fp16_overflow 0
		.amdhsa_workgroup_processor_mode 1
		.amdhsa_memory_ordered 1
		.amdhsa_forward_progress 0
		.amdhsa_shared_vgpr_count 0
		.amdhsa_exception_fp_ieee_invalid_op 0
		.amdhsa_exception_fp_denorm_src 0
		.amdhsa_exception_fp_ieee_div_zero 0
		.amdhsa_exception_fp_ieee_overflow 0
		.amdhsa_exception_fp_ieee_underflow 0
		.amdhsa_exception_fp_ieee_inexact 0
		.amdhsa_exception_int_div_zero 0
	.end_amdhsa_kernel
	.section	.text._Z37inclusive_scan_prefix_callback_kernelILj256ELN6hipcub18BlockScanAlgorithmE0EjEvPT1_S3_S2_,"axG",@progbits,_Z37inclusive_scan_prefix_callback_kernelILj256ELN6hipcub18BlockScanAlgorithmE0EjEvPT1_S3_S2_,comdat
.Lfunc_end62:
	.size	_Z37inclusive_scan_prefix_callback_kernelILj256ELN6hipcub18BlockScanAlgorithmE0EjEvPT1_S3_S2_, .Lfunc_end62-_Z37inclusive_scan_prefix_callback_kernelILj256ELN6hipcub18BlockScanAlgorithmE0EjEvPT1_S3_S2_
                                        ; -- End function
	.section	.AMDGPU.csdata,"",@progbits
; Kernel info:
; codeLenInByte = 632
; NumSgprs: 18
; NumVgprs: 9
; ScratchSize: 0
; MemoryBound: 0
; FloatMode: 240
; IeeeMode: 1
; LDSByteSize: 32 bytes/workgroup (compile time only)
; SGPRBlocks: 2
; VGPRBlocks: 1
; NumSGPRsForWavesPerEU: 18
; NumVGPRsForWavesPerEU: 9
; Occupancy: 16
; WaveLimiterHint : 0
; COMPUTE_PGM_RSRC2:SCRATCH_EN: 0
; COMPUTE_PGM_RSRC2:USER_SGPR: 15
; COMPUTE_PGM_RSRC2:TRAP_HANDLER: 0
; COMPUTE_PGM_RSRC2:TGID_X_EN: 1
; COMPUTE_PGM_RSRC2:TGID_Y_EN: 0
; COMPUTE_PGM_RSRC2:TGID_Z_EN: 0
; COMPUTE_PGM_RSRC2:TIDIG_COMP_CNT: 0
	.section	.text._Z37inclusive_scan_prefix_callback_kernelILj64ELN6hipcub18BlockScanAlgorithmE0EjEvPT1_S3_S2_,"axG",@progbits,_Z37inclusive_scan_prefix_callback_kernelILj64ELN6hipcub18BlockScanAlgorithmE0EjEvPT1_S3_S2_,comdat
	.protected	_Z37inclusive_scan_prefix_callback_kernelILj64ELN6hipcub18BlockScanAlgorithmE0EjEvPT1_S3_S2_ ; -- Begin function _Z37inclusive_scan_prefix_callback_kernelILj64ELN6hipcub18BlockScanAlgorithmE0EjEvPT1_S3_S2_
	.globl	_Z37inclusive_scan_prefix_callback_kernelILj64ELN6hipcub18BlockScanAlgorithmE0EjEvPT1_S3_S2_
	.p2align	8
	.type	_Z37inclusive_scan_prefix_callback_kernelILj64ELN6hipcub18BlockScanAlgorithmE0EjEvPT1_S3_S2_,@function
_Z37inclusive_scan_prefix_callback_kernelILj64ELN6hipcub18BlockScanAlgorithmE0EjEvPT1_S3_S2_: ; @_Z37inclusive_scan_prefix_callback_kernelILj64ELN6hipcub18BlockScanAlgorithmE0EjEvPT1_S3_S2_
; %bb.0:
	s_load_b128 s[4:7], s[0:1], 0x0
	s_mov_b32 s8, s15
	v_mbcnt_lo_u32_b32 v4, -1, 0
	v_mov_b32_e32 v2, 0
	v_lshl_or_b32 v1, s8, 6, v0
	v_or_b32_e32 v7, 31, v0
	s_mov_b32 s2, exec_lo
	v_and_b32_e32 v5, 15, v4
	s_delay_alu instid0(VALU_DEP_3) | instskip(SKIP_1) | instid1(VALU_DEP_1)
	v_lshlrev_b64 v[1:2], 2, v[1:2]
	s_waitcnt lgkmcnt(0)
	v_add_co_u32 v1, vcc_lo, s4, v1
	s_delay_alu instid0(VALU_DEP_2) | instskip(SKIP_4) | instid1(VALU_DEP_1)
	v_add_co_ci_u32_e32 v2, vcc_lo, s5, v2, vcc_lo
	v_cmp_ne_u32_e32 vcc_lo, 0, v5
	global_load_b32 v3, v[1:2], off
	s_waitcnt vmcnt(0)
	v_mov_b32_dpp v6, v3 row_shr:1 row_mask:0xf bank_mask:0xf
	v_cndmask_b32_e32 v6, 0, v6, vcc_lo
	v_cmp_lt_u32_e32 vcc_lo, 1, v5
	s_delay_alu instid0(VALU_DEP_2) | instskip(NEXT) | instid1(VALU_DEP_1)
	v_add_nc_u32_e32 v3, v6, v3
	v_mov_b32_dpp v6, v3 row_shr:2 row_mask:0xf bank_mask:0xf
	s_delay_alu instid0(VALU_DEP_1) | instskip(SKIP_1) | instid1(VALU_DEP_2)
	v_cndmask_b32_e32 v6, 0, v6, vcc_lo
	v_cmp_lt_u32_e32 vcc_lo, 3, v5
	v_add_nc_u32_e32 v3, v3, v6
	s_delay_alu instid0(VALU_DEP_1) | instskip(NEXT) | instid1(VALU_DEP_1)
	v_mov_b32_dpp v6, v3 row_shr:4 row_mask:0xf bank_mask:0xf
	v_cndmask_b32_e32 v6, 0, v6, vcc_lo
	v_cmp_lt_u32_e32 vcc_lo, 7, v5
	s_delay_alu instid0(VALU_DEP_2) | instskip(NEXT) | instid1(VALU_DEP_1)
	v_add_nc_u32_e32 v3, v3, v6
	v_mov_b32_dpp v6, v3 row_shr:8 row_mask:0xf bank_mask:0xf
	s_delay_alu instid0(VALU_DEP_1) | instskip(SKIP_1) | instid1(VALU_DEP_2)
	v_cndmask_b32_e32 v5, 0, v6, vcc_lo
	v_bfe_i32 v6, v4, 4, 1
	v_add_nc_u32_e32 v3, v3, v5
	ds_swizzle_b32 v5, v3 offset:swizzle(BROADCAST,32,15)
	s_waitcnt lgkmcnt(0)
	v_and_b32_e32 v6, v6, v5
	v_lshrrev_b32_e32 v5, 5, v0
	s_delay_alu instid0(VALU_DEP_2)
	v_add_nc_u32_e32 v3, v3, v6
	v_cmpx_eq_u32_e64 v7, v0
	s_cbranch_execz .LBB63_2
; %bb.1:
	s_delay_alu instid0(VALU_DEP_3)
	v_lshlrev_b32_e32 v6, 2, v5
	ds_store_b32 v6, v3
.LBB63_2:
	s_or_b32 exec_lo, exec_lo, s2
	s_delay_alu instid0(SALU_CYCLE_1)
	s_mov_b32 s2, exec_lo
	s_waitcnt lgkmcnt(0)
	s_barrier
	buffer_gl0_inv
	v_cmpx_gt_u32_e32 2, v0
	s_cbranch_execz .LBB63_4
; %bb.3:
	v_lshlrev_b32_e32 v6, 2, v0
	v_bfe_i32 v4, v4, 0, 1
	ds_load_b32 v7, v6
	s_waitcnt lgkmcnt(0)
	v_mov_b32_dpp v8, v7 row_shr:1 row_mask:0xf bank_mask:0xf
	s_delay_alu instid0(VALU_DEP_1) | instskip(NEXT) | instid1(VALU_DEP_1)
	v_and_b32_e32 v4, v4, v8
	v_add_nc_u32_e32 v4, v4, v7
	ds_store_b32 v6, v4
.LBB63_4:
	s_or_b32 exec_lo, exec_lo, s2
	v_cmp_gt_u32_e32 vcc_lo, 32, v0
	s_mov_b32 s3, exec_lo
	s_waitcnt lgkmcnt(0)
	s_barrier
	buffer_gl0_inv
	v_cmpx_lt_u32_e32 31, v0
	s_cbranch_execz .LBB63_6
; %bb.5:
	v_lshl_add_u32 v4, v5, 2, -4
	ds_load_b32 v4, v4
	s_waitcnt lgkmcnt(0)
	v_add_nc_u32_e32 v3, v4, v3
.LBB63_6:
	s_or_b32 exec_lo, exec_lo, s3
	s_load_b32 s1, s[0:1], 0x10
	s_waitcnt lgkmcnt(0)
	v_mov_b32_e32 v4, s1
	s_and_saveexec_b32 s0, vcc_lo
	s_cbranch_execz .LBB63_10
; %bb.7:
	v_mov_b32_e32 v5, 0
	s_mov_b32 s2, exec_lo
	ds_load_b32 v4, v5 offset:4
	v_cmpx_eq_u32_e32 0, v0
	s_cbranch_execz .LBB63_9
; %bb.8:
	v_mov_b32_e32 v6, s1
	ds_store_b32 v5, v6 offset:4
.LBB63_9:
	s_or_b32 exec_lo, exec_lo, s2
	s_waitcnt lgkmcnt(0)
	v_add_nc_u32_e32 v4, s1, v4
.LBB63_10:
	s_or_b32 exec_lo, exec_lo, s0
	v_mov_b32_e32 v5, 0
	s_barrier
	buffer_gl0_inv
	s_mov_b32 s9, 0
	ds_load_b32 v6, v5 offset:4
	s_mov_b32 s0, exec_lo
	s_waitcnt lgkmcnt(0)
	v_add_nc_u32_e32 v3, v6, v3
	global_store_b32 v[1:2], v3, off
	v_cmpx_eq_u32_e32 0, v0
	s_cbranch_execz .LBB63_12
; %bb.11:
	s_lshl_b64 s[0:1], s[8:9], 2
	s_delay_alu instid0(SALU_CYCLE_1)
	s_add_u32 s0, s6, s0
	s_addc_u32 s1, s7, s1
	global_store_b32 v5, v4, s[0:1]
.LBB63_12:
	s_nop 0
	s_sendmsg sendmsg(MSG_DEALLOC_VGPRS)
	s_endpgm
	.section	.rodata,"a",@progbits
	.p2align	6, 0x0
	.amdhsa_kernel _Z37inclusive_scan_prefix_callback_kernelILj64ELN6hipcub18BlockScanAlgorithmE0EjEvPT1_S3_S2_
		.amdhsa_group_segment_fixed_size 8
		.amdhsa_private_segment_fixed_size 0
		.amdhsa_kernarg_size 20
		.amdhsa_user_sgpr_count 15
		.amdhsa_user_sgpr_dispatch_ptr 0
		.amdhsa_user_sgpr_queue_ptr 0
		.amdhsa_user_sgpr_kernarg_segment_ptr 1
		.amdhsa_user_sgpr_dispatch_id 0
		.amdhsa_user_sgpr_private_segment_size 0
		.amdhsa_wavefront_size32 1
		.amdhsa_uses_dynamic_stack 0
		.amdhsa_enable_private_segment 0
		.amdhsa_system_sgpr_workgroup_id_x 1
		.amdhsa_system_sgpr_workgroup_id_y 0
		.amdhsa_system_sgpr_workgroup_id_z 0
		.amdhsa_system_sgpr_workgroup_info 0
		.amdhsa_system_vgpr_workitem_id 0
		.amdhsa_next_free_vgpr 9
		.amdhsa_next_free_sgpr 16
		.amdhsa_reserve_vcc 1
		.amdhsa_float_round_mode_32 0
		.amdhsa_float_round_mode_16_64 0
		.amdhsa_float_denorm_mode_32 3
		.amdhsa_float_denorm_mode_16_64 3
		.amdhsa_dx10_clamp 1
		.amdhsa_ieee_mode 1
		.amdhsa_fp16_overflow 0
		.amdhsa_workgroup_processor_mode 1
		.amdhsa_memory_ordered 1
		.amdhsa_forward_progress 0
		.amdhsa_shared_vgpr_count 0
		.amdhsa_exception_fp_ieee_invalid_op 0
		.amdhsa_exception_fp_denorm_src 0
		.amdhsa_exception_fp_ieee_div_zero 0
		.amdhsa_exception_fp_ieee_overflow 0
		.amdhsa_exception_fp_ieee_underflow 0
		.amdhsa_exception_fp_ieee_inexact 0
		.amdhsa_exception_int_div_zero 0
	.end_amdhsa_kernel
	.section	.text._Z37inclusive_scan_prefix_callback_kernelILj64ELN6hipcub18BlockScanAlgorithmE0EjEvPT1_S3_S2_,"axG",@progbits,_Z37inclusive_scan_prefix_callback_kernelILj64ELN6hipcub18BlockScanAlgorithmE0EjEvPT1_S3_S2_,comdat
.Lfunc_end63:
	.size	_Z37inclusive_scan_prefix_callback_kernelILj64ELN6hipcub18BlockScanAlgorithmE0EjEvPT1_S3_S2_, .Lfunc_end63-_Z37inclusive_scan_prefix_callback_kernelILj64ELN6hipcub18BlockScanAlgorithmE0EjEvPT1_S3_S2_
                                        ; -- End function
	.section	.AMDGPU.csdata,"",@progbits
; Kernel info:
; codeLenInByte = 572
; NumSgprs: 18
; NumVgprs: 9
; ScratchSize: 0
; MemoryBound: 0
; FloatMode: 240
; IeeeMode: 1
; LDSByteSize: 8 bytes/workgroup (compile time only)
; SGPRBlocks: 2
; VGPRBlocks: 1
; NumSGPRsForWavesPerEU: 18
; NumVGPRsForWavesPerEU: 9
; Occupancy: 16
; WaveLimiterHint : 0
; COMPUTE_PGM_RSRC2:SCRATCH_EN: 0
; COMPUTE_PGM_RSRC2:USER_SGPR: 15
; COMPUTE_PGM_RSRC2:TRAP_HANDLER: 0
; COMPUTE_PGM_RSRC2:TGID_X_EN: 1
; COMPUTE_PGM_RSRC2:TGID_Y_EN: 0
; COMPUTE_PGM_RSRC2:TGID_Z_EN: 0
; COMPUTE_PGM_RSRC2:TIDIG_COMP_CNT: 0
	.section	.text._Z37inclusive_scan_prefix_callback_kernelILj255ELN6hipcub18BlockScanAlgorithmE0EiEvPT1_S3_S2_,"axG",@progbits,_Z37inclusive_scan_prefix_callback_kernelILj255ELN6hipcub18BlockScanAlgorithmE0EiEvPT1_S3_S2_,comdat
	.protected	_Z37inclusive_scan_prefix_callback_kernelILj255ELN6hipcub18BlockScanAlgorithmE0EiEvPT1_S3_S2_ ; -- Begin function _Z37inclusive_scan_prefix_callback_kernelILj255ELN6hipcub18BlockScanAlgorithmE0EiEvPT1_S3_S2_
	.globl	_Z37inclusive_scan_prefix_callback_kernelILj255ELN6hipcub18BlockScanAlgorithmE0EiEvPT1_S3_S2_
	.p2align	8
	.type	_Z37inclusive_scan_prefix_callback_kernelILj255ELN6hipcub18BlockScanAlgorithmE0EiEvPT1_S3_S2_,@function
_Z37inclusive_scan_prefix_callback_kernelILj255ELN6hipcub18BlockScanAlgorithmE0EiEvPT1_S3_S2_: ; @_Z37inclusive_scan_prefix_callback_kernelILj255ELN6hipcub18BlockScanAlgorithmE0EiEvPT1_S3_S2_
; %bb.0:
	s_load_b128 s[4:7], s[0:1], 0x0
	s_mov_b32 s8, s15
	v_mbcnt_lo_u32_b32 v5, -1, 0
	v_mad_u64_u32 v[1:2], null, 0xff, s8, v[0:1]
	v_mov_b32_e32 v2, 0
	s_mov_b32 s2, exec_lo
	s_delay_alu instid0(VALU_DEP_3) | instskip(SKIP_1) | instid1(VALU_DEP_3)
	v_and_b32_e32 v4, 15, v5
	v_bfe_i32 v7, v5, 4, 1
	v_lshlrev_b64 v[1:2], 2, v[1:2]
	s_waitcnt lgkmcnt(0)
	s_delay_alu instid0(VALU_DEP_1) | instskip(NEXT) | instid1(VALU_DEP_2)
	v_add_co_u32 v1, vcc_lo, s4, v1
	v_add_co_ci_u32_e32 v2, vcc_lo, s5, v2, vcc_lo
	v_cmp_ne_u32_e32 vcc_lo, 0, v4
	global_load_b32 v3, v[1:2], off
	s_waitcnt vmcnt(0)
	v_mov_b32_dpp v6, v3 row_shr:1 row_mask:0xf bank_mask:0xf
	s_delay_alu instid0(VALU_DEP_1) | instskip(SKIP_1) | instid1(VALU_DEP_2)
	v_cndmask_b32_e32 v6, 0, v6, vcc_lo
	v_cmp_lt_u32_e32 vcc_lo, 1, v4
	v_add_nc_u32_e32 v3, v6, v3
	s_delay_alu instid0(VALU_DEP_1) | instskip(NEXT) | instid1(VALU_DEP_1)
	v_mov_b32_dpp v6, v3 row_shr:2 row_mask:0xf bank_mask:0xf
	v_cndmask_b32_e32 v6, 0, v6, vcc_lo
	v_cmp_lt_u32_e32 vcc_lo, 3, v4
	s_delay_alu instid0(VALU_DEP_2) | instskip(NEXT) | instid1(VALU_DEP_1)
	v_add_nc_u32_e32 v3, v3, v6
	v_mov_b32_dpp v6, v3 row_shr:4 row_mask:0xf bank_mask:0xf
	s_delay_alu instid0(VALU_DEP_1) | instskip(SKIP_1) | instid1(VALU_DEP_2)
	v_cndmask_b32_e32 v6, 0, v6, vcc_lo
	v_cmp_lt_u32_e32 vcc_lo, 7, v4
	v_add_nc_u32_e32 v3, v3, v6
	s_delay_alu instid0(VALU_DEP_1) | instskip(NEXT) | instid1(VALU_DEP_1)
	v_mov_b32_dpp v6, v3 row_shr:8 row_mask:0xf bank_mask:0xf
	v_cndmask_b32_e32 v4, 0, v6, vcc_lo
	v_and_b32_e32 v6, 0xe0, v0
	s_delay_alu instid0(VALU_DEP_2) | instskip(NEXT) | instid1(VALU_DEP_2)
	v_add_nc_u32_e32 v3, v3, v4
	v_min_u32_e32 v6, 0xdf, v6
	ds_swizzle_b32 v4, v3 offset:swizzle(BROADCAST,32,15)
	v_add_nc_u32_e32 v6, 31, v6
	s_waitcnt lgkmcnt(0)
	v_and_b32_e32 v7, v7, v4
	v_lshrrev_b32_e32 v4, 5, v0
	s_delay_alu instid0(VALU_DEP_2)
	v_add_nc_u32_e32 v3, v3, v7
	v_cmpx_eq_u32_e64 v6, v0
	s_cbranch_execz .LBB64_2
; %bb.1:
	s_delay_alu instid0(VALU_DEP_3)
	v_lshlrev_b32_e32 v6, 2, v4
	ds_store_b32 v6, v3
.LBB64_2:
	s_or_b32 exec_lo, exec_lo, s2
	s_delay_alu instid0(SALU_CYCLE_1)
	s_mov_b32 s2, exec_lo
	s_waitcnt lgkmcnt(0)
	s_barrier
	buffer_gl0_inv
	v_cmpx_gt_u32_e32 8, v0
	s_cbranch_execz .LBB64_4
; %bb.3:
	v_lshlrev_b32_e32 v6, 2, v0
	ds_load_b32 v7, v6
	s_waitcnt lgkmcnt(0)
	v_mov_b32_dpp v8, v7 row_shr:1 row_mask:0xf bank_mask:0xf
	v_and_b32_e32 v5, 7, v5
	s_delay_alu instid0(VALU_DEP_1) | instskip(NEXT) | instid1(VALU_DEP_3)
	v_cmp_ne_u32_e32 vcc_lo, 0, v5
	v_cndmask_b32_e32 v8, 0, v8, vcc_lo
	v_cmp_lt_u32_e32 vcc_lo, 1, v5
	s_delay_alu instid0(VALU_DEP_2) | instskip(NEXT) | instid1(VALU_DEP_1)
	v_add_nc_u32_e32 v7, v8, v7
	v_mov_b32_dpp v8, v7 row_shr:2 row_mask:0xf bank_mask:0xf
	s_delay_alu instid0(VALU_DEP_1) | instskip(SKIP_1) | instid1(VALU_DEP_2)
	v_cndmask_b32_e32 v8, 0, v8, vcc_lo
	v_cmp_lt_u32_e32 vcc_lo, 3, v5
	v_add_nc_u32_e32 v7, v7, v8
	s_delay_alu instid0(VALU_DEP_1) | instskip(NEXT) | instid1(VALU_DEP_1)
	v_mov_b32_dpp v8, v7 row_shr:4 row_mask:0xf bank_mask:0xf
	v_cndmask_b32_e32 v5, 0, v8, vcc_lo
	s_delay_alu instid0(VALU_DEP_1)
	v_add_nc_u32_e32 v5, v7, v5
	ds_store_b32 v6, v5
.LBB64_4:
	s_or_b32 exec_lo, exec_lo, s2
	v_cmp_gt_u32_e32 vcc_lo, 32, v0
	s_mov_b32 s3, exec_lo
	s_waitcnt lgkmcnt(0)
	s_barrier
	buffer_gl0_inv
	v_cmpx_lt_u32_e32 31, v0
	s_cbranch_execz .LBB64_6
; %bb.5:
	v_lshl_add_u32 v4, v4, 2, -4
	ds_load_b32 v4, v4
	s_waitcnt lgkmcnt(0)
	v_add_nc_u32_e32 v3, v4, v3
.LBB64_6:
	s_or_b32 exec_lo, exec_lo, s3
	s_load_b32 s1, s[0:1], 0x10
	s_waitcnt lgkmcnt(0)
	v_mov_b32_e32 v4, s1
	s_and_saveexec_b32 s0, vcc_lo
	s_cbranch_execz .LBB64_10
; %bb.7:
	v_mov_b32_e32 v5, 0
	s_mov_b32 s2, exec_lo
	ds_load_b32 v4, v5 offset:28
	v_cmpx_eq_u32_e32 0, v0
	s_cbranch_execz .LBB64_9
; %bb.8:
	v_mov_b32_e32 v6, s1
	ds_store_b32 v5, v6 offset:28
.LBB64_9:
	s_or_b32 exec_lo, exec_lo, s2
	s_waitcnt lgkmcnt(0)
	v_add_nc_u32_e32 v4, s1, v4
.LBB64_10:
	s_or_b32 exec_lo, exec_lo, s0
	v_mov_b32_e32 v5, 0
	s_barrier
	buffer_gl0_inv
	s_mov_b32 s9, 0
	ds_load_b32 v6, v5 offset:28
	s_mov_b32 s0, exec_lo
	s_waitcnt lgkmcnt(0)
	v_add_nc_u32_e32 v3, v6, v3
	global_store_b32 v[1:2], v3, off
	v_cmpx_eq_u32_e32 0, v0
	s_cbranch_execz .LBB64_12
; %bb.11:
	s_lshl_b64 s[0:1], s[8:9], 2
	s_delay_alu instid0(SALU_CYCLE_1)
	s_add_u32 s0, s6, s0
	s_addc_u32 s1, s7, s1
	global_store_b32 v5, v4, s[0:1]
.LBB64_12:
	s_nop 0
	s_sendmsg sendmsg(MSG_DEALLOC_VGPRS)
	s_endpgm
	.section	.rodata,"a",@progbits
	.p2align	6, 0x0
	.amdhsa_kernel _Z37inclusive_scan_prefix_callback_kernelILj255ELN6hipcub18BlockScanAlgorithmE0EiEvPT1_S3_S2_
		.amdhsa_group_segment_fixed_size 32
		.amdhsa_private_segment_fixed_size 0
		.amdhsa_kernarg_size 20
		.amdhsa_user_sgpr_count 15
		.amdhsa_user_sgpr_dispatch_ptr 0
		.amdhsa_user_sgpr_queue_ptr 0
		.amdhsa_user_sgpr_kernarg_segment_ptr 1
		.amdhsa_user_sgpr_dispatch_id 0
		.amdhsa_user_sgpr_private_segment_size 0
		.amdhsa_wavefront_size32 1
		.amdhsa_uses_dynamic_stack 0
		.amdhsa_enable_private_segment 0
		.amdhsa_system_sgpr_workgroup_id_x 1
		.amdhsa_system_sgpr_workgroup_id_y 0
		.amdhsa_system_sgpr_workgroup_id_z 0
		.amdhsa_system_sgpr_workgroup_info 0
		.amdhsa_system_vgpr_workitem_id 0
		.amdhsa_next_free_vgpr 9
		.amdhsa_next_free_sgpr 16
		.amdhsa_reserve_vcc 1
		.amdhsa_float_round_mode_32 0
		.amdhsa_float_round_mode_16_64 0
		.amdhsa_float_denorm_mode_32 3
		.amdhsa_float_denorm_mode_16_64 3
		.amdhsa_dx10_clamp 1
		.amdhsa_ieee_mode 1
		.amdhsa_fp16_overflow 0
		.amdhsa_workgroup_processor_mode 1
		.amdhsa_memory_ordered 1
		.amdhsa_forward_progress 0
		.amdhsa_shared_vgpr_count 0
		.amdhsa_exception_fp_ieee_invalid_op 0
		.amdhsa_exception_fp_denorm_src 0
		.amdhsa_exception_fp_ieee_div_zero 0
		.amdhsa_exception_fp_ieee_overflow 0
		.amdhsa_exception_fp_ieee_underflow 0
		.amdhsa_exception_fp_ieee_inexact 0
		.amdhsa_exception_int_div_zero 0
	.end_amdhsa_kernel
	.section	.text._Z37inclusive_scan_prefix_callback_kernelILj255ELN6hipcub18BlockScanAlgorithmE0EiEvPT1_S3_S2_,"axG",@progbits,_Z37inclusive_scan_prefix_callback_kernelILj255ELN6hipcub18BlockScanAlgorithmE0EiEvPT1_S3_S2_,comdat
.Lfunc_end64:
	.size	_Z37inclusive_scan_prefix_callback_kernelILj255ELN6hipcub18BlockScanAlgorithmE0EiEvPT1_S3_S2_, .Lfunc_end64-_Z37inclusive_scan_prefix_callback_kernelILj255ELN6hipcub18BlockScanAlgorithmE0EiEvPT1_S3_S2_
                                        ; -- End function
	.section	.AMDGPU.csdata,"",@progbits
; Kernel info:
; codeLenInByte = 652
; NumSgprs: 18
; NumVgprs: 9
; ScratchSize: 0
; MemoryBound: 0
; FloatMode: 240
; IeeeMode: 1
; LDSByteSize: 32 bytes/workgroup (compile time only)
; SGPRBlocks: 2
; VGPRBlocks: 1
; NumSGPRsForWavesPerEU: 18
; NumVGPRsForWavesPerEU: 9
; Occupancy: 16
; WaveLimiterHint : 0
; COMPUTE_PGM_RSRC2:SCRATCH_EN: 0
; COMPUTE_PGM_RSRC2:USER_SGPR: 15
; COMPUTE_PGM_RSRC2:TRAP_HANDLER: 0
; COMPUTE_PGM_RSRC2:TGID_X_EN: 1
; COMPUTE_PGM_RSRC2:TGID_Y_EN: 0
; COMPUTE_PGM_RSRC2:TGID_Z_EN: 0
; COMPUTE_PGM_RSRC2:TIDIG_COMP_CNT: 0
	.section	.text._Z37inclusive_scan_prefix_callback_kernelILj162ELN6hipcub18BlockScanAlgorithmE0EiEvPT1_S3_S2_,"axG",@progbits,_Z37inclusive_scan_prefix_callback_kernelILj162ELN6hipcub18BlockScanAlgorithmE0EiEvPT1_S3_S2_,comdat
	.protected	_Z37inclusive_scan_prefix_callback_kernelILj162ELN6hipcub18BlockScanAlgorithmE0EiEvPT1_S3_S2_ ; -- Begin function _Z37inclusive_scan_prefix_callback_kernelILj162ELN6hipcub18BlockScanAlgorithmE0EiEvPT1_S3_S2_
	.globl	_Z37inclusive_scan_prefix_callback_kernelILj162ELN6hipcub18BlockScanAlgorithmE0EiEvPT1_S3_S2_
	.p2align	8
	.type	_Z37inclusive_scan_prefix_callback_kernelILj162ELN6hipcub18BlockScanAlgorithmE0EiEvPT1_S3_S2_,@function
_Z37inclusive_scan_prefix_callback_kernelILj162ELN6hipcub18BlockScanAlgorithmE0EiEvPT1_S3_S2_: ; @_Z37inclusive_scan_prefix_callback_kernelILj162ELN6hipcub18BlockScanAlgorithmE0EiEvPT1_S3_S2_
; %bb.0:
	s_load_b128 s[4:7], s[0:1], 0x0
	s_mov_b32 s8, s15
	v_mbcnt_lo_u32_b32 v5, -1, 0
	v_mad_u64_u32 v[1:2], null, 0xa2, s8, v[0:1]
	v_mov_b32_e32 v2, 0
	s_mov_b32 s2, exec_lo
	s_delay_alu instid0(VALU_DEP_3) | instskip(SKIP_1) | instid1(VALU_DEP_3)
	v_and_b32_e32 v4, 15, v5
	v_bfe_i32 v7, v5, 4, 1
	v_lshlrev_b64 v[1:2], 2, v[1:2]
	s_waitcnt lgkmcnt(0)
	s_delay_alu instid0(VALU_DEP_1) | instskip(NEXT) | instid1(VALU_DEP_2)
	v_add_co_u32 v1, vcc_lo, s4, v1
	v_add_co_ci_u32_e32 v2, vcc_lo, s5, v2, vcc_lo
	v_cmp_ne_u32_e32 vcc_lo, 0, v4
	global_load_b32 v3, v[1:2], off
	s_waitcnt vmcnt(0)
	v_mov_b32_dpp v6, v3 row_shr:1 row_mask:0xf bank_mask:0xf
	s_delay_alu instid0(VALU_DEP_1) | instskip(SKIP_1) | instid1(VALU_DEP_2)
	v_cndmask_b32_e32 v6, 0, v6, vcc_lo
	v_cmp_lt_u32_e32 vcc_lo, 1, v4
	v_add_nc_u32_e32 v3, v6, v3
	s_delay_alu instid0(VALU_DEP_1) | instskip(NEXT) | instid1(VALU_DEP_1)
	v_mov_b32_dpp v6, v3 row_shr:2 row_mask:0xf bank_mask:0xf
	v_cndmask_b32_e32 v6, 0, v6, vcc_lo
	v_cmp_lt_u32_e32 vcc_lo, 3, v4
	s_delay_alu instid0(VALU_DEP_2) | instskip(NEXT) | instid1(VALU_DEP_1)
	v_add_nc_u32_e32 v3, v3, v6
	v_mov_b32_dpp v6, v3 row_shr:4 row_mask:0xf bank_mask:0xf
	s_delay_alu instid0(VALU_DEP_1) | instskip(SKIP_1) | instid1(VALU_DEP_2)
	v_cndmask_b32_e32 v6, 0, v6, vcc_lo
	v_cmp_lt_u32_e32 vcc_lo, 7, v4
	v_add_nc_u32_e32 v3, v3, v6
	s_delay_alu instid0(VALU_DEP_1) | instskip(NEXT) | instid1(VALU_DEP_1)
	v_mov_b32_dpp v6, v3 row_shr:8 row_mask:0xf bank_mask:0xf
	v_cndmask_b32_e32 v4, 0, v6, vcc_lo
	v_and_b32_e32 v6, 0xe0, v0
	s_delay_alu instid0(VALU_DEP_2) | instskip(NEXT) | instid1(VALU_DEP_2)
	v_add_nc_u32_e32 v3, v3, v4
	v_min_u32_e32 v6, 0x82, v6
	ds_swizzle_b32 v4, v3 offset:swizzle(BROADCAST,32,15)
	v_add_nc_u32_e32 v6, 31, v6
	s_waitcnt lgkmcnt(0)
	v_and_b32_e32 v7, v7, v4
	v_lshrrev_b32_e32 v4, 5, v0
	s_delay_alu instid0(VALU_DEP_2)
	v_add_nc_u32_e32 v3, v3, v7
	v_cmpx_eq_u32_e64 v6, v0
	s_cbranch_execz .LBB65_2
; %bb.1:
	s_delay_alu instid0(VALU_DEP_3)
	v_lshlrev_b32_e32 v6, 2, v4
	ds_store_b32 v6, v3
.LBB65_2:
	s_or_b32 exec_lo, exec_lo, s2
	s_delay_alu instid0(SALU_CYCLE_1)
	s_mov_b32 s2, exec_lo
	s_waitcnt lgkmcnt(0)
	s_barrier
	buffer_gl0_inv
	v_cmpx_gt_u32_e32 6, v0
	s_cbranch_execz .LBB65_4
; %bb.3:
	v_lshlrev_b32_e32 v6, 2, v0
	ds_load_b32 v7, v6
	s_waitcnt lgkmcnt(0)
	v_mov_b32_dpp v8, v7 row_shr:1 row_mask:0xf bank_mask:0xf
	v_and_b32_e32 v5, 7, v5
	s_delay_alu instid0(VALU_DEP_1) | instskip(NEXT) | instid1(VALU_DEP_3)
	v_cmp_ne_u32_e32 vcc_lo, 0, v5
	v_cndmask_b32_e32 v8, 0, v8, vcc_lo
	v_cmp_lt_u32_e32 vcc_lo, 1, v5
	s_delay_alu instid0(VALU_DEP_2) | instskip(NEXT) | instid1(VALU_DEP_1)
	v_add_nc_u32_e32 v7, v8, v7
	v_mov_b32_dpp v8, v7 row_shr:2 row_mask:0xf bank_mask:0xf
	s_delay_alu instid0(VALU_DEP_1) | instskip(SKIP_1) | instid1(VALU_DEP_2)
	v_cndmask_b32_e32 v8, 0, v8, vcc_lo
	v_cmp_lt_u32_e32 vcc_lo, 3, v5
	v_add_nc_u32_e32 v7, v7, v8
	s_delay_alu instid0(VALU_DEP_1) | instskip(NEXT) | instid1(VALU_DEP_1)
	v_mov_b32_dpp v8, v7 row_shr:4 row_mask:0xf bank_mask:0xf
	v_cndmask_b32_e32 v5, 0, v8, vcc_lo
	s_delay_alu instid0(VALU_DEP_1)
	v_add_nc_u32_e32 v5, v7, v5
	ds_store_b32 v6, v5
.LBB65_4:
	s_or_b32 exec_lo, exec_lo, s2
	v_cmp_gt_u32_e32 vcc_lo, 32, v0
	s_mov_b32 s3, exec_lo
	s_waitcnt lgkmcnt(0)
	s_barrier
	buffer_gl0_inv
	v_cmpx_lt_u32_e32 31, v0
	s_cbranch_execz .LBB65_6
; %bb.5:
	v_lshl_add_u32 v4, v4, 2, -4
	ds_load_b32 v4, v4
	s_waitcnt lgkmcnt(0)
	v_add_nc_u32_e32 v3, v4, v3
.LBB65_6:
	s_or_b32 exec_lo, exec_lo, s3
	s_load_b32 s1, s[0:1], 0x10
	s_waitcnt lgkmcnt(0)
	v_mov_b32_e32 v4, s1
	s_and_saveexec_b32 s0, vcc_lo
	s_cbranch_execz .LBB65_10
; %bb.7:
	v_mov_b32_e32 v5, 0
	s_mov_b32 s2, exec_lo
	ds_load_b32 v4, v5 offset:20
	v_cmpx_eq_u32_e32 0, v0
	s_cbranch_execz .LBB65_9
; %bb.8:
	v_mov_b32_e32 v6, s1
	ds_store_b32 v5, v6 offset:20
.LBB65_9:
	s_or_b32 exec_lo, exec_lo, s2
	s_waitcnt lgkmcnt(0)
	v_add_nc_u32_e32 v4, s1, v4
.LBB65_10:
	s_or_b32 exec_lo, exec_lo, s0
	v_mov_b32_e32 v5, 0
	s_barrier
	buffer_gl0_inv
	s_mov_b32 s9, 0
	ds_load_b32 v6, v5 offset:20
	s_mov_b32 s0, exec_lo
	s_waitcnt lgkmcnt(0)
	v_add_nc_u32_e32 v3, v6, v3
	global_store_b32 v[1:2], v3, off
	v_cmpx_eq_u32_e32 0, v0
	s_cbranch_execz .LBB65_12
; %bb.11:
	s_lshl_b64 s[0:1], s[8:9], 2
	s_delay_alu instid0(SALU_CYCLE_1)
	s_add_u32 s0, s6, s0
	s_addc_u32 s1, s7, s1
	global_store_b32 v5, v4, s[0:1]
.LBB65_12:
	s_nop 0
	s_sendmsg sendmsg(MSG_DEALLOC_VGPRS)
	s_endpgm
	.section	.rodata,"a",@progbits
	.p2align	6, 0x0
	.amdhsa_kernel _Z37inclusive_scan_prefix_callback_kernelILj162ELN6hipcub18BlockScanAlgorithmE0EiEvPT1_S3_S2_
		.amdhsa_group_segment_fixed_size 24
		.amdhsa_private_segment_fixed_size 0
		.amdhsa_kernarg_size 20
		.amdhsa_user_sgpr_count 15
		.amdhsa_user_sgpr_dispatch_ptr 0
		.amdhsa_user_sgpr_queue_ptr 0
		.amdhsa_user_sgpr_kernarg_segment_ptr 1
		.amdhsa_user_sgpr_dispatch_id 0
		.amdhsa_user_sgpr_private_segment_size 0
		.amdhsa_wavefront_size32 1
		.amdhsa_uses_dynamic_stack 0
		.amdhsa_enable_private_segment 0
		.amdhsa_system_sgpr_workgroup_id_x 1
		.amdhsa_system_sgpr_workgroup_id_y 0
		.amdhsa_system_sgpr_workgroup_id_z 0
		.amdhsa_system_sgpr_workgroup_info 0
		.amdhsa_system_vgpr_workitem_id 0
		.amdhsa_next_free_vgpr 9
		.amdhsa_next_free_sgpr 16
		.amdhsa_reserve_vcc 1
		.amdhsa_float_round_mode_32 0
		.amdhsa_float_round_mode_16_64 0
		.amdhsa_float_denorm_mode_32 3
		.amdhsa_float_denorm_mode_16_64 3
		.amdhsa_dx10_clamp 1
		.amdhsa_ieee_mode 1
		.amdhsa_fp16_overflow 0
		.amdhsa_workgroup_processor_mode 1
		.amdhsa_memory_ordered 1
		.amdhsa_forward_progress 0
		.amdhsa_shared_vgpr_count 0
		.amdhsa_exception_fp_ieee_invalid_op 0
		.amdhsa_exception_fp_denorm_src 0
		.amdhsa_exception_fp_ieee_div_zero 0
		.amdhsa_exception_fp_ieee_overflow 0
		.amdhsa_exception_fp_ieee_underflow 0
		.amdhsa_exception_fp_ieee_inexact 0
		.amdhsa_exception_int_div_zero 0
	.end_amdhsa_kernel
	.section	.text._Z37inclusive_scan_prefix_callback_kernelILj162ELN6hipcub18BlockScanAlgorithmE0EiEvPT1_S3_S2_,"axG",@progbits,_Z37inclusive_scan_prefix_callback_kernelILj162ELN6hipcub18BlockScanAlgorithmE0EiEvPT1_S3_S2_,comdat
.Lfunc_end65:
	.size	_Z37inclusive_scan_prefix_callback_kernelILj162ELN6hipcub18BlockScanAlgorithmE0EiEvPT1_S3_S2_, .Lfunc_end65-_Z37inclusive_scan_prefix_callback_kernelILj162ELN6hipcub18BlockScanAlgorithmE0EiEvPT1_S3_S2_
                                        ; -- End function
	.section	.AMDGPU.csdata,"",@progbits
; Kernel info:
; codeLenInByte = 652
; NumSgprs: 18
; NumVgprs: 9
; ScratchSize: 0
; MemoryBound: 0
; FloatMode: 240
; IeeeMode: 1
; LDSByteSize: 24 bytes/workgroup (compile time only)
; SGPRBlocks: 2
; VGPRBlocks: 1
; NumSGPRsForWavesPerEU: 18
; NumVGPRsForWavesPerEU: 9
; Occupancy: 15
; WaveLimiterHint : 0
; COMPUTE_PGM_RSRC2:SCRATCH_EN: 0
; COMPUTE_PGM_RSRC2:USER_SGPR: 15
; COMPUTE_PGM_RSRC2:TRAP_HANDLER: 0
; COMPUTE_PGM_RSRC2:TGID_X_EN: 1
; COMPUTE_PGM_RSRC2:TGID_Y_EN: 0
; COMPUTE_PGM_RSRC2:TGID_Z_EN: 0
; COMPUTE_PGM_RSRC2:TIDIG_COMP_CNT: 0
	.section	.text._Z37inclusive_scan_prefix_callback_kernelILj37ELN6hipcub18BlockScanAlgorithmE0EiEvPT1_S3_S2_,"axG",@progbits,_Z37inclusive_scan_prefix_callback_kernelILj37ELN6hipcub18BlockScanAlgorithmE0EiEvPT1_S3_S2_,comdat
	.protected	_Z37inclusive_scan_prefix_callback_kernelILj37ELN6hipcub18BlockScanAlgorithmE0EiEvPT1_S3_S2_ ; -- Begin function _Z37inclusive_scan_prefix_callback_kernelILj37ELN6hipcub18BlockScanAlgorithmE0EiEvPT1_S3_S2_
	.globl	_Z37inclusive_scan_prefix_callback_kernelILj37ELN6hipcub18BlockScanAlgorithmE0EiEvPT1_S3_S2_
	.p2align	8
	.type	_Z37inclusive_scan_prefix_callback_kernelILj37ELN6hipcub18BlockScanAlgorithmE0EiEvPT1_S3_S2_,@function
_Z37inclusive_scan_prefix_callback_kernelILj37ELN6hipcub18BlockScanAlgorithmE0EiEvPT1_S3_S2_: ; @_Z37inclusive_scan_prefix_callback_kernelILj37ELN6hipcub18BlockScanAlgorithmE0EiEvPT1_S3_S2_
; %bb.0:
	s_load_b128 s[4:7], s[0:1], 0x0
	s_mov_b32 s8, s15
	v_mbcnt_lo_u32_b32 v4, -1, 0
	v_mad_u64_u32 v[1:2], null, s8, 37, v[0:1]
	v_mov_b32_e32 v2, 0
	s_mov_b32 s2, exec_lo
	s_delay_alu instid0(VALU_DEP_3) | instskip(SKIP_1) | instid1(VALU_DEP_3)
	v_and_b32_e32 v5, 15, v4
	v_bfe_i32 v7, v4, 4, 1
	v_lshlrev_b64 v[1:2], 2, v[1:2]
	s_waitcnt lgkmcnt(0)
	s_delay_alu instid0(VALU_DEP_1) | instskip(NEXT) | instid1(VALU_DEP_2)
	v_add_co_u32 v1, vcc_lo, s4, v1
	v_add_co_ci_u32_e32 v2, vcc_lo, s5, v2, vcc_lo
	v_cmp_ne_u32_e32 vcc_lo, 0, v5
	global_load_b32 v3, v[1:2], off
	s_waitcnt vmcnt(0)
	v_mov_b32_dpp v6, v3 row_shr:1 row_mask:0xf bank_mask:0xf
	s_delay_alu instid0(VALU_DEP_1) | instskip(SKIP_1) | instid1(VALU_DEP_2)
	v_cndmask_b32_e32 v6, 0, v6, vcc_lo
	v_cmp_lt_u32_e32 vcc_lo, 1, v5
	v_add_nc_u32_e32 v3, v6, v3
	s_delay_alu instid0(VALU_DEP_1) | instskip(NEXT) | instid1(VALU_DEP_1)
	v_mov_b32_dpp v6, v3 row_shr:2 row_mask:0xf bank_mask:0xf
	v_cndmask_b32_e32 v6, 0, v6, vcc_lo
	v_cmp_lt_u32_e32 vcc_lo, 3, v5
	s_delay_alu instid0(VALU_DEP_2) | instskip(NEXT) | instid1(VALU_DEP_1)
	v_add_nc_u32_e32 v3, v3, v6
	v_mov_b32_dpp v6, v3 row_shr:4 row_mask:0xf bank_mask:0xf
	s_delay_alu instid0(VALU_DEP_1) | instskip(SKIP_1) | instid1(VALU_DEP_2)
	v_cndmask_b32_e32 v6, 0, v6, vcc_lo
	v_cmp_lt_u32_e32 vcc_lo, 7, v5
	v_add_nc_u32_e32 v3, v3, v6
	s_delay_alu instid0(VALU_DEP_1) | instskip(NEXT) | instid1(VALU_DEP_1)
	v_mov_b32_dpp v6, v3 row_shr:8 row_mask:0xf bank_mask:0xf
	v_dual_cndmask_b32 v5, 0, v6 :: v_dual_and_b32 v6, 32, v0
	s_delay_alu instid0(VALU_DEP_1) | instskip(NEXT) | instid1(VALU_DEP_2)
	v_add_nc_u32_e32 v3, v3, v5
	v_min_u32_e32 v6, 5, v6
	ds_swizzle_b32 v5, v3 offset:swizzle(BROADCAST,32,15)
	v_add_nc_u32_e32 v6, 31, v6
	s_waitcnt lgkmcnt(0)
	v_and_b32_e32 v7, v7, v5
	v_lshrrev_b32_e32 v5, 5, v0
	s_delay_alu instid0(VALU_DEP_2)
	v_add_nc_u32_e32 v3, v3, v7
	v_cmpx_eq_u32_e64 v6, v0
	s_cbranch_execz .LBB66_2
; %bb.1:
	s_delay_alu instid0(VALU_DEP_3)
	v_lshlrev_b32_e32 v6, 2, v5
	ds_store_b32 v6, v3
.LBB66_2:
	s_or_b32 exec_lo, exec_lo, s2
	s_delay_alu instid0(SALU_CYCLE_1)
	s_mov_b32 s2, exec_lo
	s_waitcnt lgkmcnt(0)
	s_barrier
	buffer_gl0_inv
	v_cmpx_gt_u32_e32 2, v0
	s_cbranch_execz .LBB66_4
; %bb.3:
	v_lshlrev_b32_e32 v6, 2, v0
	v_bfe_i32 v4, v4, 0, 1
	ds_load_b32 v7, v6
	s_waitcnt lgkmcnt(0)
	v_mov_b32_dpp v8, v7 row_shr:1 row_mask:0xf bank_mask:0xf
	s_delay_alu instid0(VALU_DEP_1) | instskip(NEXT) | instid1(VALU_DEP_1)
	v_and_b32_e32 v4, v4, v8
	v_add_nc_u32_e32 v4, v4, v7
	ds_store_b32 v6, v4
.LBB66_4:
	s_or_b32 exec_lo, exec_lo, s2
	v_cmp_gt_u32_e32 vcc_lo, 32, v0
	s_mov_b32 s3, exec_lo
	s_waitcnt lgkmcnt(0)
	s_barrier
	buffer_gl0_inv
	v_cmpx_lt_u32_e32 31, v0
	s_cbranch_execz .LBB66_6
; %bb.5:
	v_lshl_add_u32 v4, v5, 2, -4
	ds_load_b32 v4, v4
	s_waitcnt lgkmcnt(0)
	v_add_nc_u32_e32 v3, v4, v3
.LBB66_6:
	s_or_b32 exec_lo, exec_lo, s3
	s_load_b32 s1, s[0:1], 0x10
	s_waitcnt lgkmcnt(0)
	v_mov_b32_e32 v4, s1
	s_and_saveexec_b32 s0, vcc_lo
	s_cbranch_execz .LBB66_10
; %bb.7:
	v_mov_b32_e32 v5, 0
	s_mov_b32 s2, exec_lo
	ds_load_b32 v4, v5 offset:4
	v_cmpx_eq_u32_e32 0, v0
	s_cbranch_execz .LBB66_9
; %bb.8:
	v_mov_b32_e32 v6, s1
	ds_store_b32 v5, v6 offset:4
.LBB66_9:
	s_or_b32 exec_lo, exec_lo, s2
	s_waitcnt lgkmcnt(0)
	v_add_nc_u32_e32 v4, s1, v4
.LBB66_10:
	s_or_b32 exec_lo, exec_lo, s0
	v_mov_b32_e32 v5, 0
	s_barrier
	buffer_gl0_inv
	s_mov_b32 s9, 0
	ds_load_b32 v6, v5 offset:4
	s_mov_b32 s0, exec_lo
	s_waitcnt lgkmcnt(0)
	v_add_nc_u32_e32 v3, v6, v3
	global_store_b32 v[1:2], v3, off
	v_cmpx_eq_u32_e32 0, v0
	s_cbranch_execz .LBB66_12
; %bb.11:
	s_lshl_b64 s[0:1], s[8:9], 2
	s_delay_alu instid0(SALU_CYCLE_1)
	s_add_u32 s0, s6, s0
	s_addc_u32 s1, s7, s1
	global_store_b32 v5, v4, s[0:1]
.LBB66_12:
	s_nop 0
	s_sendmsg sendmsg(MSG_DEALLOC_VGPRS)
	s_endpgm
	.section	.rodata,"a",@progbits
	.p2align	6, 0x0
	.amdhsa_kernel _Z37inclusive_scan_prefix_callback_kernelILj37ELN6hipcub18BlockScanAlgorithmE0EiEvPT1_S3_S2_
		.amdhsa_group_segment_fixed_size 8
		.amdhsa_private_segment_fixed_size 0
		.amdhsa_kernarg_size 20
		.amdhsa_user_sgpr_count 15
		.amdhsa_user_sgpr_dispatch_ptr 0
		.amdhsa_user_sgpr_queue_ptr 0
		.amdhsa_user_sgpr_kernarg_segment_ptr 1
		.amdhsa_user_sgpr_dispatch_id 0
		.amdhsa_user_sgpr_private_segment_size 0
		.amdhsa_wavefront_size32 1
		.amdhsa_uses_dynamic_stack 0
		.amdhsa_enable_private_segment 0
		.amdhsa_system_sgpr_workgroup_id_x 1
		.amdhsa_system_sgpr_workgroup_id_y 0
		.amdhsa_system_sgpr_workgroup_id_z 0
		.amdhsa_system_sgpr_workgroup_info 0
		.amdhsa_system_vgpr_workitem_id 0
		.amdhsa_next_free_vgpr 9
		.amdhsa_next_free_sgpr 16
		.amdhsa_reserve_vcc 1
		.amdhsa_float_round_mode_32 0
		.amdhsa_float_round_mode_16_64 0
		.amdhsa_float_denorm_mode_32 3
		.amdhsa_float_denorm_mode_16_64 3
		.amdhsa_dx10_clamp 1
		.amdhsa_ieee_mode 1
		.amdhsa_fp16_overflow 0
		.amdhsa_workgroup_processor_mode 1
		.amdhsa_memory_ordered 1
		.amdhsa_forward_progress 0
		.amdhsa_shared_vgpr_count 0
		.amdhsa_exception_fp_ieee_invalid_op 0
		.amdhsa_exception_fp_denorm_src 0
		.amdhsa_exception_fp_ieee_div_zero 0
		.amdhsa_exception_fp_ieee_overflow 0
		.amdhsa_exception_fp_ieee_underflow 0
		.amdhsa_exception_fp_ieee_inexact 0
		.amdhsa_exception_int_div_zero 0
	.end_amdhsa_kernel
	.section	.text._Z37inclusive_scan_prefix_callback_kernelILj37ELN6hipcub18BlockScanAlgorithmE0EiEvPT1_S3_S2_,"axG",@progbits,_Z37inclusive_scan_prefix_callback_kernelILj37ELN6hipcub18BlockScanAlgorithmE0EiEvPT1_S3_S2_,comdat
.Lfunc_end66:
	.size	_Z37inclusive_scan_prefix_callback_kernelILj37ELN6hipcub18BlockScanAlgorithmE0EiEvPT1_S3_S2_, .Lfunc_end66-_Z37inclusive_scan_prefix_callback_kernelILj37ELN6hipcub18BlockScanAlgorithmE0EiEvPT1_S3_S2_
                                        ; -- End function
	.section	.AMDGPU.csdata,"",@progbits
; Kernel info:
; codeLenInByte = 584
; NumSgprs: 18
; NumVgprs: 9
; ScratchSize: 0
; MemoryBound: 0
; FloatMode: 240
; IeeeMode: 1
; LDSByteSize: 8 bytes/workgroup (compile time only)
; SGPRBlocks: 2
; VGPRBlocks: 1
; NumSGPRsForWavesPerEU: 18
; NumVGPRsForWavesPerEU: 9
; Occupancy: 16
; WaveLimiterHint : 0
; COMPUTE_PGM_RSRC2:SCRATCH_EN: 0
; COMPUTE_PGM_RSRC2:USER_SGPR: 15
; COMPUTE_PGM_RSRC2:TRAP_HANDLER: 0
; COMPUTE_PGM_RSRC2:TGID_X_EN: 1
; COMPUTE_PGM_RSRC2:TGID_Y_EN: 0
; COMPUTE_PGM_RSRC2:TGID_Z_EN: 0
; COMPUTE_PGM_RSRC2:TIDIG_COMP_CNT: 0
	.section	.text._Z37inclusive_scan_prefix_callback_kernelILj65ELN6hipcub18BlockScanAlgorithmE0EiEvPT1_S3_S2_,"axG",@progbits,_Z37inclusive_scan_prefix_callback_kernelILj65ELN6hipcub18BlockScanAlgorithmE0EiEvPT1_S3_S2_,comdat
	.protected	_Z37inclusive_scan_prefix_callback_kernelILj65ELN6hipcub18BlockScanAlgorithmE0EiEvPT1_S3_S2_ ; -- Begin function _Z37inclusive_scan_prefix_callback_kernelILj65ELN6hipcub18BlockScanAlgorithmE0EiEvPT1_S3_S2_
	.globl	_Z37inclusive_scan_prefix_callback_kernelILj65ELN6hipcub18BlockScanAlgorithmE0EiEvPT1_S3_S2_
	.p2align	8
	.type	_Z37inclusive_scan_prefix_callback_kernelILj65ELN6hipcub18BlockScanAlgorithmE0EiEvPT1_S3_S2_,@function
_Z37inclusive_scan_prefix_callback_kernelILj65ELN6hipcub18BlockScanAlgorithmE0EiEvPT1_S3_S2_: ; @_Z37inclusive_scan_prefix_callback_kernelILj65ELN6hipcub18BlockScanAlgorithmE0EiEvPT1_S3_S2_
; %bb.0:
	s_load_b128 s[4:7], s[0:1], 0x0
	s_mov_b32 s8, s15
	v_mbcnt_lo_u32_b32 v5, -1, 0
	v_mad_u64_u32 v[1:2], null, 0x41, s8, v[0:1]
	v_mov_b32_e32 v2, 0
	s_mov_b32 s2, exec_lo
	s_delay_alu instid0(VALU_DEP_3) | instskip(SKIP_1) | instid1(VALU_DEP_3)
	v_and_b32_e32 v4, 15, v5
	v_bfe_i32 v7, v5, 4, 1
	v_lshlrev_b64 v[1:2], 2, v[1:2]
	s_waitcnt lgkmcnt(0)
	s_delay_alu instid0(VALU_DEP_1) | instskip(NEXT) | instid1(VALU_DEP_2)
	v_add_co_u32 v1, vcc_lo, s4, v1
	v_add_co_ci_u32_e32 v2, vcc_lo, s5, v2, vcc_lo
	v_cmp_ne_u32_e32 vcc_lo, 0, v4
	global_load_b32 v3, v[1:2], off
	s_waitcnt vmcnt(0)
	v_mov_b32_dpp v6, v3 row_shr:1 row_mask:0xf bank_mask:0xf
	s_delay_alu instid0(VALU_DEP_1) | instskip(SKIP_1) | instid1(VALU_DEP_2)
	v_cndmask_b32_e32 v6, 0, v6, vcc_lo
	v_cmp_lt_u32_e32 vcc_lo, 1, v4
	v_add_nc_u32_e32 v3, v6, v3
	s_delay_alu instid0(VALU_DEP_1) | instskip(NEXT) | instid1(VALU_DEP_1)
	v_mov_b32_dpp v6, v3 row_shr:2 row_mask:0xf bank_mask:0xf
	v_cndmask_b32_e32 v6, 0, v6, vcc_lo
	v_cmp_lt_u32_e32 vcc_lo, 3, v4
	s_delay_alu instid0(VALU_DEP_2) | instskip(NEXT) | instid1(VALU_DEP_1)
	v_add_nc_u32_e32 v3, v3, v6
	v_mov_b32_dpp v6, v3 row_shr:4 row_mask:0xf bank_mask:0xf
	s_delay_alu instid0(VALU_DEP_1) | instskip(SKIP_1) | instid1(VALU_DEP_2)
	v_cndmask_b32_e32 v6, 0, v6, vcc_lo
	v_cmp_lt_u32_e32 vcc_lo, 7, v4
	v_add_nc_u32_e32 v3, v3, v6
	s_delay_alu instid0(VALU_DEP_1) | instskip(NEXT) | instid1(VALU_DEP_1)
	v_mov_b32_dpp v6, v3 row_shr:8 row_mask:0xf bank_mask:0xf
	v_cndmask_b32_e32 v4, 0, v6, vcc_lo
	v_and_b32_e32 v6, 0x60, v0
	s_delay_alu instid0(VALU_DEP_2) | instskip(NEXT) | instid1(VALU_DEP_2)
	v_add_nc_u32_e32 v3, v3, v4
	v_min_u32_e32 v6, 33, v6
	ds_swizzle_b32 v4, v3 offset:swizzle(BROADCAST,32,15)
	v_add_nc_u32_e32 v6, 31, v6
	s_waitcnt lgkmcnt(0)
	v_and_b32_e32 v7, v7, v4
	v_lshrrev_b32_e32 v4, 5, v0
	s_delay_alu instid0(VALU_DEP_2)
	v_add_nc_u32_e32 v3, v3, v7
	v_cmpx_eq_u32_e64 v6, v0
	s_cbranch_execz .LBB67_2
; %bb.1:
	s_delay_alu instid0(VALU_DEP_3)
	v_lshlrev_b32_e32 v6, 2, v4
	ds_store_b32 v6, v3
.LBB67_2:
	s_or_b32 exec_lo, exec_lo, s2
	s_delay_alu instid0(SALU_CYCLE_1)
	s_mov_b32 s2, exec_lo
	s_waitcnt lgkmcnt(0)
	s_barrier
	buffer_gl0_inv
	v_cmpx_gt_u32_e32 3, v0
	s_cbranch_execz .LBB67_4
; %bb.3:
	v_lshlrev_b32_e32 v6, 2, v0
	ds_load_b32 v7, v6
	s_waitcnt lgkmcnt(0)
	v_mov_b32_dpp v8, v7 row_shr:1 row_mask:0xf bank_mask:0xf
	v_and_b32_e32 v5, 3, v5
	s_delay_alu instid0(VALU_DEP_1) | instskip(NEXT) | instid1(VALU_DEP_3)
	v_cmp_ne_u32_e32 vcc_lo, 0, v5
	v_cndmask_b32_e32 v8, 0, v8, vcc_lo
	v_cmp_lt_u32_e32 vcc_lo, 1, v5
	s_delay_alu instid0(VALU_DEP_2) | instskip(NEXT) | instid1(VALU_DEP_1)
	v_add_nc_u32_e32 v7, v8, v7
	v_mov_b32_dpp v8, v7 row_shr:2 row_mask:0xf bank_mask:0xf
	s_delay_alu instid0(VALU_DEP_1) | instskip(NEXT) | instid1(VALU_DEP_1)
	v_cndmask_b32_e32 v5, 0, v8, vcc_lo
	v_add_nc_u32_e32 v5, v7, v5
	ds_store_b32 v6, v5
.LBB67_4:
	s_or_b32 exec_lo, exec_lo, s2
	v_cmp_gt_u32_e32 vcc_lo, 32, v0
	s_mov_b32 s3, exec_lo
	s_waitcnt lgkmcnt(0)
	s_barrier
	buffer_gl0_inv
	v_cmpx_lt_u32_e32 31, v0
	s_cbranch_execz .LBB67_6
; %bb.5:
	v_lshl_add_u32 v4, v4, 2, -4
	ds_load_b32 v4, v4
	s_waitcnt lgkmcnt(0)
	v_add_nc_u32_e32 v3, v4, v3
.LBB67_6:
	s_or_b32 exec_lo, exec_lo, s3
	s_load_b32 s1, s[0:1], 0x10
	s_waitcnt lgkmcnt(0)
	v_mov_b32_e32 v4, s1
	s_and_saveexec_b32 s0, vcc_lo
	s_cbranch_execz .LBB67_10
; %bb.7:
	v_mov_b32_e32 v5, 0
	s_mov_b32 s2, exec_lo
	ds_load_b32 v4, v5 offset:8
	v_cmpx_eq_u32_e32 0, v0
	s_cbranch_execz .LBB67_9
; %bb.8:
	v_mov_b32_e32 v6, s1
	ds_store_b32 v5, v6 offset:8
.LBB67_9:
	s_or_b32 exec_lo, exec_lo, s2
	s_waitcnt lgkmcnt(0)
	v_add_nc_u32_e32 v4, s1, v4
.LBB67_10:
	s_or_b32 exec_lo, exec_lo, s0
	v_mov_b32_e32 v5, 0
	s_barrier
	buffer_gl0_inv
	s_mov_b32 s9, 0
	ds_load_b32 v6, v5 offset:8
	s_mov_b32 s0, exec_lo
	s_waitcnt lgkmcnt(0)
	v_add_nc_u32_e32 v3, v6, v3
	global_store_b32 v[1:2], v3, off
	v_cmpx_eq_u32_e32 0, v0
	s_cbranch_execz .LBB67_12
; %bb.11:
	s_lshl_b64 s[0:1], s[8:9], 2
	s_delay_alu instid0(SALU_CYCLE_1)
	s_add_u32 s0, s6, s0
	s_addc_u32 s1, s7, s1
	global_store_b32 v5, v4, s[0:1]
.LBB67_12:
	s_nop 0
	s_sendmsg sendmsg(MSG_DEALLOC_VGPRS)
	s_endpgm
	.section	.rodata,"a",@progbits
	.p2align	6, 0x0
	.amdhsa_kernel _Z37inclusive_scan_prefix_callback_kernelILj65ELN6hipcub18BlockScanAlgorithmE0EiEvPT1_S3_S2_
		.amdhsa_group_segment_fixed_size 12
		.amdhsa_private_segment_fixed_size 0
		.amdhsa_kernarg_size 20
		.amdhsa_user_sgpr_count 15
		.amdhsa_user_sgpr_dispatch_ptr 0
		.amdhsa_user_sgpr_queue_ptr 0
		.amdhsa_user_sgpr_kernarg_segment_ptr 1
		.amdhsa_user_sgpr_dispatch_id 0
		.amdhsa_user_sgpr_private_segment_size 0
		.amdhsa_wavefront_size32 1
		.amdhsa_uses_dynamic_stack 0
		.amdhsa_enable_private_segment 0
		.amdhsa_system_sgpr_workgroup_id_x 1
		.amdhsa_system_sgpr_workgroup_id_y 0
		.amdhsa_system_sgpr_workgroup_id_z 0
		.amdhsa_system_sgpr_workgroup_info 0
		.amdhsa_system_vgpr_workitem_id 0
		.amdhsa_next_free_vgpr 9
		.amdhsa_next_free_sgpr 16
		.amdhsa_reserve_vcc 1
		.amdhsa_float_round_mode_32 0
		.amdhsa_float_round_mode_16_64 0
		.amdhsa_float_denorm_mode_32 3
		.amdhsa_float_denorm_mode_16_64 3
		.amdhsa_dx10_clamp 1
		.amdhsa_ieee_mode 1
		.amdhsa_fp16_overflow 0
		.amdhsa_workgroup_processor_mode 1
		.amdhsa_memory_ordered 1
		.amdhsa_forward_progress 0
		.amdhsa_shared_vgpr_count 0
		.amdhsa_exception_fp_ieee_invalid_op 0
		.amdhsa_exception_fp_denorm_src 0
		.amdhsa_exception_fp_ieee_div_zero 0
		.amdhsa_exception_fp_ieee_overflow 0
		.amdhsa_exception_fp_ieee_underflow 0
		.amdhsa_exception_fp_ieee_inexact 0
		.amdhsa_exception_int_div_zero 0
	.end_amdhsa_kernel
	.section	.text._Z37inclusive_scan_prefix_callback_kernelILj65ELN6hipcub18BlockScanAlgorithmE0EiEvPT1_S3_S2_,"axG",@progbits,_Z37inclusive_scan_prefix_callback_kernelILj65ELN6hipcub18BlockScanAlgorithmE0EiEvPT1_S3_S2_,comdat
.Lfunc_end67:
	.size	_Z37inclusive_scan_prefix_callback_kernelILj65ELN6hipcub18BlockScanAlgorithmE0EiEvPT1_S3_S2_, .Lfunc_end67-_Z37inclusive_scan_prefix_callback_kernelILj65ELN6hipcub18BlockScanAlgorithmE0EiEvPT1_S3_S2_
                                        ; -- End function
	.section	.AMDGPU.csdata,"",@progbits
; Kernel info:
; codeLenInByte = 620
; NumSgprs: 18
; NumVgprs: 9
; ScratchSize: 0
; MemoryBound: 0
; FloatMode: 240
; IeeeMode: 1
; LDSByteSize: 12 bytes/workgroup (compile time only)
; SGPRBlocks: 2
; VGPRBlocks: 1
; NumSGPRsForWavesPerEU: 18
; NumVGPRsForWavesPerEU: 9
; Occupancy: 16
; WaveLimiterHint : 0
; COMPUTE_PGM_RSRC2:SCRATCH_EN: 0
; COMPUTE_PGM_RSRC2:USER_SGPR: 15
; COMPUTE_PGM_RSRC2:TRAP_HANDLER: 0
; COMPUTE_PGM_RSRC2:TGID_X_EN: 1
; COMPUTE_PGM_RSRC2:TGID_Y_EN: 0
; COMPUTE_PGM_RSRC2:TGID_Z_EN: 0
; COMPUTE_PGM_RSRC2:TIDIG_COMP_CNT: 0
	.section	.text._Z37inclusive_scan_prefix_callback_kernelILj512ELN6hipcub18BlockScanAlgorithmE0EiEvPT1_S3_S2_,"axG",@progbits,_Z37inclusive_scan_prefix_callback_kernelILj512ELN6hipcub18BlockScanAlgorithmE0EiEvPT1_S3_S2_,comdat
	.protected	_Z37inclusive_scan_prefix_callback_kernelILj512ELN6hipcub18BlockScanAlgorithmE0EiEvPT1_S3_S2_ ; -- Begin function _Z37inclusive_scan_prefix_callback_kernelILj512ELN6hipcub18BlockScanAlgorithmE0EiEvPT1_S3_S2_
	.globl	_Z37inclusive_scan_prefix_callback_kernelILj512ELN6hipcub18BlockScanAlgorithmE0EiEvPT1_S3_S2_
	.p2align	8
	.type	_Z37inclusive_scan_prefix_callback_kernelILj512ELN6hipcub18BlockScanAlgorithmE0EiEvPT1_S3_S2_,@function
_Z37inclusive_scan_prefix_callback_kernelILj512ELN6hipcub18BlockScanAlgorithmE0EiEvPT1_S3_S2_: ; @_Z37inclusive_scan_prefix_callback_kernelILj512ELN6hipcub18BlockScanAlgorithmE0EiEvPT1_S3_S2_
; %bb.0:
	s_load_b128 s[4:7], s[0:1], 0x0
	s_mov_b32 s8, s15
	v_mbcnt_lo_u32_b32 v4, -1, 0
	v_mov_b32_e32 v2, 0
	v_lshl_or_b32 v1, s8, 9, v0
	s_mov_b32 s9, exec_lo
	s_delay_alu instid0(VALU_DEP_3) | instskip(SKIP_1) | instid1(VALU_DEP_3)
	v_and_b32_e32 v5, 15, v4
	v_bfe_i32 v4, v4, 4, 1
	v_lshlrev_b64 v[1:2], 2, v[1:2]
	s_delay_alu instid0(VALU_DEP_3) | instskip(SKIP_2) | instid1(VALU_DEP_3)
	v_cmp_lt_u32_e64 s2, 1, v5
	v_cmp_lt_u32_e64 s3, 3, v5
	s_waitcnt lgkmcnt(0)
	v_add_co_u32 v1, vcc_lo, s4, v1
	s_delay_alu instid0(VALU_DEP_4)
	v_add_co_ci_u32_e32 v2, vcc_lo, s5, v2, vcc_lo
	v_cmp_eq_u32_e32 vcc_lo, 0, v5
	v_cmp_lt_u32_e64 s4, 7, v5
	global_load_b32 v3, v[1:2], off
	s_waitcnt vmcnt(0)
	v_mov_b32_dpp v6, v3 row_shr:1 row_mask:0xf bank_mask:0xf
	s_delay_alu instid0(VALU_DEP_1) | instskip(NEXT) | instid1(VALU_DEP_1)
	v_cndmask_b32_e64 v6, v6, 0, vcc_lo
	v_add_nc_u32_e32 v3, v6, v3
	s_delay_alu instid0(VALU_DEP_1) | instskip(NEXT) | instid1(VALU_DEP_1)
	v_mov_b32_dpp v6, v3 row_shr:2 row_mask:0xf bank_mask:0xf
	v_cndmask_b32_e64 v6, 0, v6, s2
	s_delay_alu instid0(VALU_DEP_1) | instskip(NEXT) | instid1(VALU_DEP_1)
	v_add_nc_u32_e32 v3, v3, v6
	v_mov_b32_dpp v6, v3 row_shr:4 row_mask:0xf bank_mask:0xf
	s_delay_alu instid0(VALU_DEP_1) | instskip(NEXT) | instid1(VALU_DEP_1)
	v_cndmask_b32_e64 v6, 0, v6, s3
	v_add_nc_u32_e32 v3, v3, v6
	s_delay_alu instid0(VALU_DEP_1) | instskip(NEXT) | instid1(VALU_DEP_1)
	v_mov_b32_dpp v6, v3 row_shr:8 row_mask:0xf bank_mask:0xf
	v_cndmask_b32_e64 v5, 0, v6, s4
	v_or_b32_e32 v6, 31, v0
	s_delay_alu instid0(VALU_DEP_2) | instskip(SKIP_4) | instid1(VALU_DEP_2)
	v_add_nc_u32_e32 v3, v3, v5
	ds_swizzle_b32 v5, v3 offset:swizzle(BROADCAST,32,15)
	s_waitcnt lgkmcnt(0)
	v_and_b32_e32 v5, v4, v5
	v_lshrrev_b32_e32 v4, 5, v0
	v_add_nc_u32_e32 v3, v3, v5
	v_cmpx_eq_u32_e64 v6, v0
	s_cbranch_execz .LBB68_2
; %bb.1:
	s_delay_alu instid0(VALU_DEP_3)
	v_lshlrev_b32_e32 v5, 2, v4
	ds_store_b32 v5, v3
.LBB68_2:
	s_or_b32 exec_lo, exec_lo, s9
	s_delay_alu instid0(SALU_CYCLE_1)
	s_mov_b32 s9, exec_lo
	s_waitcnt lgkmcnt(0)
	s_barrier
	buffer_gl0_inv
	v_cmpx_gt_u32_e32 16, v0
	s_cbranch_execz .LBB68_4
; %bb.3:
	v_lshlrev_b32_e32 v5, 2, v0
	ds_load_b32 v6, v5
	s_waitcnt lgkmcnt(0)
	v_mov_b32_dpp v7, v6 row_shr:1 row_mask:0xf bank_mask:0xf
	s_delay_alu instid0(VALU_DEP_1) | instskip(NEXT) | instid1(VALU_DEP_1)
	v_cndmask_b32_e64 v7, v7, 0, vcc_lo
	v_add_nc_u32_e32 v6, v7, v6
	s_delay_alu instid0(VALU_DEP_1) | instskip(NEXT) | instid1(VALU_DEP_1)
	v_mov_b32_dpp v7, v6 row_shr:2 row_mask:0xf bank_mask:0xf
	v_cndmask_b32_e64 v7, 0, v7, s2
	s_delay_alu instid0(VALU_DEP_1) | instskip(NEXT) | instid1(VALU_DEP_1)
	v_add_nc_u32_e32 v6, v6, v7
	v_mov_b32_dpp v7, v6 row_shr:4 row_mask:0xf bank_mask:0xf
	s_delay_alu instid0(VALU_DEP_1) | instskip(NEXT) | instid1(VALU_DEP_1)
	v_cndmask_b32_e64 v7, 0, v7, s3
	v_add_nc_u32_e32 v6, v6, v7
	s_delay_alu instid0(VALU_DEP_1) | instskip(NEXT) | instid1(VALU_DEP_1)
	v_mov_b32_dpp v7, v6 row_shr:8 row_mask:0xf bank_mask:0xf
	v_cndmask_b32_e64 v7, 0, v7, s4
	s_delay_alu instid0(VALU_DEP_1)
	v_add_nc_u32_e32 v6, v6, v7
	ds_store_b32 v5, v6
.LBB68_4:
	s_or_b32 exec_lo, exec_lo, s9
	v_cmp_gt_u32_e32 vcc_lo, 32, v0
	s_mov_b32 s3, exec_lo
	s_waitcnt lgkmcnt(0)
	s_barrier
	buffer_gl0_inv
	v_cmpx_lt_u32_e32 31, v0
	s_cbranch_execz .LBB68_6
; %bb.5:
	v_lshl_add_u32 v4, v4, 2, -4
	ds_load_b32 v4, v4
	s_waitcnt lgkmcnt(0)
	v_add_nc_u32_e32 v3, v4, v3
.LBB68_6:
	s_or_b32 exec_lo, exec_lo, s3
	s_load_b32 s1, s[0:1], 0x10
	s_waitcnt lgkmcnt(0)
	v_mov_b32_e32 v4, s1
	s_and_saveexec_b32 s0, vcc_lo
	s_cbranch_execz .LBB68_10
; %bb.7:
	v_mov_b32_e32 v5, 0
	s_mov_b32 s2, exec_lo
	ds_load_b32 v4, v5 offset:60
	v_cmpx_eq_u32_e32 0, v0
	s_cbranch_execz .LBB68_9
; %bb.8:
	v_mov_b32_e32 v6, s1
	ds_store_b32 v5, v6 offset:60
.LBB68_9:
	s_or_b32 exec_lo, exec_lo, s2
	s_waitcnt lgkmcnt(0)
	v_add_nc_u32_e32 v4, s1, v4
.LBB68_10:
	s_or_b32 exec_lo, exec_lo, s0
	v_mov_b32_e32 v5, 0
	s_barrier
	buffer_gl0_inv
	s_mov_b32 s9, 0
	ds_load_b32 v6, v5 offset:60
	s_mov_b32 s0, exec_lo
	s_waitcnt lgkmcnt(0)
	v_add_nc_u32_e32 v3, v6, v3
	global_store_b32 v[1:2], v3, off
	v_cmpx_eq_u32_e32 0, v0
	s_cbranch_execz .LBB68_12
; %bb.11:
	s_lshl_b64 s[0:1], s[8:9], 2
	s_delay_alu instid0(SALU_CYCLE_1)
	s_add_u32 s0, s6, s0
	s_addc_u32 s1, s7, s1
	global_store_b32 v5, v4, s[0:1]
.LBB68_12:
	s_nop 0
	s_sendmsg sendmsg(MSG_DEALLOC_VGPRS)
	s_endpgm
	.section	.rodata,"a",@progbits
	.p2align	6, 0x0
	.amdhsa_kernel _Z37inclusive_scan_prefix_callback_kernelILj512ELN6hipcub18BlockScanAlgorithmE0EiEvPT1_S3_S2_
		.amdhsa_group_segment_fixed_size 64
		.amdhsa_private_segment_fixed_size 0
		.amdhsa_kernarg_size 20
		.amdhsa_user_sgpr_count 15
		.amdhsa_user_sgpr_dispatch_ptr 0
		.amdhsa_user_sgpr_queue_ptr 0
		.amdhsa_user_sgpr_kernarg_segment_ptr 1
		.amdhsa_user_sgpr_dispatch_id 0
		.amdhsa_user_sgpr_private_segment_size 0
		.amdhsa_wavefront_size32 1
		.amdhsa_uses_dynamic_stack 0
		.amdhsa_enable_private_segment 0
		.amdhsa_system_sgpr_workgroup_id_x 1
		.amdhsa_system_sgpr_workgroup_id_y 0
		.amdhsa_system_sgpr_workgroup_id_z 0
		.amdhsa_system_sgpr_workgroup_info 0
		.amdhsa_system_vgpr_workitem_id 0
		.amdhsa_next_free_vgpr 8
		.amdhsa_next_free_sgpr 16
		.amdhsa_reserve_vcc 1
		.amdhsa_float_round_mode_32 0
		.amdhsa_float_round_mode_16_64 0
		.amdhsa_float_denorm_mode_32 3
		.amdhsa_float_denorm_mode_16_64 3
		.amdhsa_dx10_clamp 1
		.amdhsa_ieee_mode 1
		.amdhsa_fp16_overflow 0
		.amdhsa_workgroup_processor_mode 1
		.amdhsa_memory_ordered 1
		.amdhsa_forward_progress 0
		.amdhsa_shared_vgpr_count 0
		.amdhsa_exception_fp_ieee_invalid_op 0
		.amdhsa_exception_fp_denorm_src 0
		.amdhsa_exception_fp_ieee_div_zero 0
		.amdhsa_exception_fp_ieee_overflow 0
		.amdhsa_exception_fp_ieee_underflow 0
		.amdhsa_exception_fp_ieee_inexact 0
		.amdhsa_exception_int_div_zero 0
	.end_amdhsa_kernel
	.section	.text._Z37inclusive_scan_prefix_callback_kernelILj512ELN6hipcub18BlockScanAlgorithmE0EiEvPT1_S3_S2_,"axG",@progbits,_Z37inclusive_scan_prefix_callback_kernelILj512ELN6hipcub18BlockScanAlgorithmE0EiEvPT1_S3_S2_,comdat
.Lfunc_end68:
	.size	_Z37inclusive_scan_prefix_callback_kernelILj512ELN6hipcub18BlockScanAlgorithmE0EiEvPT1_S3_S2_, .Lfunc_end68-_Z37inclusive_scan_prefix_callback_kernelILj512ELN6hipcub18BlockScanAlgorithmE0EiEvPT1_S3_S2_
                                        ; -- End function
	.section	.AMDGPU.csdata,"",@progbits
; Kernel info:
; codeLenInByte = 680
; NumSgprs: 18
; NumVgprs: 8
; ScratchSize: 0
; MemoryBound: 0
; FloatMode: 240
; IeeeMode: 1
; LDSByteSize: 64 bytes/workgroup (compile time only)
; SGPRBlocks: 2
; VGPRBlocks: 0
; NumSGPRsForWavesPerEU: 18
; NumVGPRsForWavesPerEU: 8
; Occupancy: 16
; WaveLimiterHint : 0
; COMPUTE_PGM_RSRC2:SCRATCH_EN: 0
; COMPUTE_PGM_RSRC2:USER_SGPR: 15
; COMPUTE_PGM_RSRC2:TRAP_HANDLER: 0
; COMPUTE_PGM_RSRC2:TGID_X_EN: 1
; COMPUTE_PGM_RSRC2:TGID_Y_EN: 0
; COMPUTE_PGM_RSRC2:TGID_Z_EN: 0
; COMPUTE_PGM_RSRC2:TIDIG_COMP_CNT: 0
	.section	.text._Z37inclusive_scan_prefix_callback_kernelILj256ELN6hipcub18BlockScanAlgorithmE0EiEvPT1_S3_S2_,"axG",@progbits,_Z37inclusive_scan_prefix_callback_kernelILj256ELN6hipcub18BlockScanAlgorithmE0EiEvPT1_S3_S2_,comdat
	.protected	_Z37inclusive_scan_prefix_callback_kernelILj256ELN6hipcub18BlockScanAlgorithmE0EiEvPT1_S3_S2_ ; -- Begin function _Z37inclusive_scan_prefix_callback_kernelILj256ELN6hipcub18BlockScanAlgorithmE0EiEvPT1_S3_S2_
	.globl	_Z37inclusive_scan_prefix_callback_kernelILj256ELN6hipcub18BlockScanAlgorithmE0EiEvPT1_S3_S2_
	.p2align	8
	.type	_Z37inclusive_scan_prefix_callback_kernelILj256ELN6hipcub18BlockScanAlgorithmE0EiEvPT1_S3_S2_,@function
_Z37inclusive_scan_prefix_callback_kernelILj256ELN6hipcub18BlockScanAlgorithmE0EiEvPT1_S3_S2_: ; @_Z37inclusive_scan_prefix_callback_kernelILj256ELN6hipcub18BlockScanAlgorithmE0EiEvPT1_S3_S2_
; %bb.0:
	s_load_b128 s[4:7], s[0:1], 0x0
	s_mov_b32 s8, s15
	v_mov_b32_e32 v2, 0
	v_lshl_or_b32 v1, s8, 8, v0
	v_mbcnt_lo_u32_b32 v5, -1, 0
	v_or_b32_e32 v7, 31, v0
	s_mov_b32 s2, exec_lo
	s_delay_alu instid0(VALU_DEP_3) | instskip(NEXT) | instid1(VALU_DEP_3)
	v_lshlrev_b64 v[1:2], 2, v[1:2]
	v_and_b32_e32 v4, 15, v5
	s_waitcnt lgkmcnt(0)
	s_delay_alu instid0(VALU_DEP_2) | instskip(NEXT) | instid1(VALU_DEP_3)
	v_add_co_u32 v1, vcc_lo, s4, v1
	v_add_co_ci_u32_e32 v2, vcc_lo, s5, v2, vcc_lo
	s_delay_alu instid0(VALU_DEP_3) | instskip(SKIP_3) | instid1(VALU_DEP_1)
	v_cmp_ne_u32_e32 vcc_lo, 0, v4
	global_load_b32 v3, v[1:2], off
	s_waitcnt vmcnt(0)
	v_mov_b32_dpp v6, v3 row_shr:1 row_mask:0xf bank_mask:0xf
	v_cndmask_b32_e32 v6, 0, v6, vcc_lo
	v_cmp_lt_u32_e32 vcc_lo, 1, v4
	s_delay_alu instid0(VALU_DEP_2) | instskip(NEXT) | instid1(VALU_DEP_1)
	v_add_nc_u32_e32 v3, v6, v3
	v_mov_b32_dpp v6, v3 row_shr:2 row_mask:0xf bank_mask:0xf
	s_delay_alu instid0(VALU_DEP_1) | instskip(SKIP_1) | instid1(VALU_DEP_2)
	v_cndmask_b32_e32 v6, 0, v6, vcc_lo
	v_cmp_lt_u32_e32 vcc_lo, 3, v4
	v_add_nc_u32_e32 v3, v3, v6
	s_delay_alu instid0(VALU_DEP_1) | instskip(NEXT) | instid1(VALU_DEP_1)
	v_mov_b32_dpp v6, v3 row_shr:4 row_mask:0xf bank_mask:0xf
	v_cndmask_b32_e32 v6, 0, v6, vcc_lo
	v_cmp_lt_u32_e32 vcc_lo, 7, v4
	s_delay_alu instid0(VALU_DEP_2) | instskip(NEXT) | instid1(VALU_DEP_1)
	v_add_nc_u32_e32 v3, v3, v6
	v_mov_b32_dpp v6, v3 row_shr:8 row_mask:0xf bank_mask:0xf
	s_delay_alu instid0(VALU_DEP_1) | instskip(SKIP_1) | instid1(VALU_DEP_2)
	v_cndmask_b32_e32 v4, 0, v6, vcc_lo
	v_bfe_i32 v6, v5, 4, 1
	v_add_nc_u32_e32 v3, v3, v4
	ds_swizzle_b32 v4, v3 offset:swizzle(BROADCAST,32,15)
	s_waitcnt lgkmcnt(0)
	v_and_b32_e32 v6, v6, v4
	v_lshrrev_b32_e32 v4, 5, v0
	s_delay_alu instid0(VALU_DEP_2)
	v_add_nc_u32_e32 v3, v3, v6
	v_cmpx_eq_u32_e64 v7, v0
	s_cbranch_execz .LBB69_2
; %bb.1:
	s_delay_alu instid0(VALU_DEP_3)
	v_lshlrev_b32_e32 v6, 2, v4
	ds_store_b32 v6, v3
.LBB69_2:
	s_or_b32 exec_lo, exec_lo, s2
	s_delay_alu instid0(SALU_CYCLE_1)
	s_mov_b32 s2, exec_lo
	s_waitcnt lgkmcnt(0)
	s_barrier
	buffer_gl0_inv
	v_cmpx_gt_u32_e32 8, v0
	s_cbranch_execz .LBB69_4
; %bb.3:
	v_lshlrev_b32_e32 v6, 2, v0
	ds_load_b32 v7, v6
	s_waitcnt lgkmcnt(0)
	v_mov_b32_dpp v8, v7 row_shr:1 row_mask:0xf bank_mask:0xf
	v_and_b32_e32 v5, 7, v5
	s_delay_alu instid0(VALU_DEP_1) | instskip(NEXT) | instid1(VALU_DEP_3)
	v_cmp_ne_u32_e32 vcc_lo, 0, v5
	v_cndmask_b32_e32 v8, 0, v8, vcc_lo
	v_cmp_lt_u32_e32 vcc_lo, 1, v5
	s_delay_alu instid0(VALU_DEP_2) | instskip(NEXT) | instid1(VALU_DEP_1)
	v_add_nc_u32_e32 v7, v8, v7
	v_mov_b32_dpp v8, v7 row_shr:2 row_mask:0xf bank_mask:0xf
	s_delay_alu instid0(VALU_DEP_1) | instskip(SKIP_1) | instid1(VALU_DEP_2)
	v_cndmask_b32_e32 v8, 0, v8, vcc_lo
	v_cmp_lt_u32_e32 vcc_lo, 3, v5
	v_add_nc_u32_e32 v7, v7, v8
	s_delay_alu instid0(VALU_DEP_1) | instskip(NEXT) | instid1(VALU_DEP_1)
	v_mov_b32_dpp v8, v7 row_shr:4 row_mask:0xf bank_mask:0xf
	v_cndmask_b32_e32 v5, 0, v8, vcc_lo
	s_delay_alu instid0(VALU_DEP_1)
	v_add_nc_u32_e32 v5, v7, v5
	ds_store_b32 v6, v5
.LBB69_4:
	s_or_b32 exec_lo, exec_lo, s2
	v_cmp_gt_u32_e32 vcc_lo, 32, v0
	s_mov_b32 s3, exec_lo
	s_waitcnt lgkmcnt(0)
	s_barrier
	buffer_gl0_inv
	v_cmpx_lt_u32_e32 31, v0
	s_cbranch_execz .LBB69_6
; %bb.5:
	v_lshl_add_u32 v4, v4, 2, -4
	ds_load_b32 v4, v4
	s_waitcnt lgkmcnt(0)
	v_add_nc_u32_e32 v3, v4, v3
.LBB69_6:
	s_or_b32 exec_lo, exec_lo, s3
	s_load_b32 s1, s[0:1], 0x10
	s_waitcnt lgkmcnt(0)
	v_mov_b32_e32 v4, s1
	s_and_saveexec_b32 s0, vcc_lo
	s_cbranch_execz .LBB69_10
; %bb.7:
	v_mov_b32_e32 v5, 0
	s_mov_b32 s2, exec_lo
	ds_load_b32 v4, v5 offset:28
	v_cmpx_eq_u32_e32 0, v0
	s_cbranch_execz .LBB69_9
; %bb.8:
	v_mov_b32_e32 v6, s1
	ds_store_b32 v5, v6 offset:28
.LBB69_9:
	s_or_b32 exec_lo, exec_lo, s2
	s_waitcnt lgkmcnt(0)
	v_add_nc_u32_e32 v4, s1, v4
.LBB69_10:
	s_or_b32 exec_lo, exec_lo, s0
	v_mov_b32_e32 v5, 0
	s_barrier
	buffer_gl0_inv
	s_mov_b32 s9, 0
	ds_load_b32 v6, v5 offset:28
	s_mov_b32 s0, exec_lo
	s_waitcnt lgkmcnt(0)
	v_add_nc_u32_e32 v3, v6, v3
	global_store_b32 v[1:2], v3, off
	v_cmpx_eq_u32_e32 0, v0
	s_cbranch_execz .LBB69_12
; %bb.11:
	s_lshl_b64 s[0:1], s[8:9], 2
	s_delay_alu instid0(SALU_CYCLE_1)
	s_add_u32 s0, s6, s0
	s_addc_u32 s1, s7, s1
	global_store_b32 v5, v4, s[0:1]
.LBB69_12:
	s_nop 0
	s_sendmsg sendmsg(MSG_DEALLOC_VGPRS)
	s_endpgm
	.section	.rodata,"a",@progbits
	.p2align	6, 0x0
	.amdhsa_kernel _Z37inclusive_scan_prefix_callback_kernelILj256ELN6hipcub18BlockScanAlgorithmE0EiEvPT1_S3_S2_
		.amdhsa_group_segment_fixed_size 32
		.amdhsa_private_segment_fixed_size 0
		.amdhsa_kernarg_size 20
		.amdhsa_user_sgpr_count 15
		.amdhsa_user_sgpr_dispatch_ptr 0
		.amdhsa_user_sgpr_queue_ptr 0
		.amdhsa_user_sgpr_kernarg_segment_ptr 1
		.amdhsa_user_sgpr_dispatch_id 0
		.amdhsa_user_sgpr_private_segment_size 0
		.amdhsa_wavefront_size32 1
		.amdhsa_uses_dynamic_stack 0
		.amdhsa_enable_private_segment 0
		.amdhsa_system_sgpr_workgroup_id_x 1
		.amdhsa_system_sgpr_workgroup_id_y 0
		.amdhsa_system_sgpr_workgroup_id_z 0
		.amdhsa_system_sgpr_workgroup_info 0
		.amdhsa_system_vgpr_workitem_id 0
		.amdhsa_next_free_vgpr 9
		.amdhsa_next_free_sgpr 16
		.amdhsa_reserve_vcc 1
		.amdhsa_float_round_mode_32 0
		.amdhsa_float_round_mode_16_64 0
		.amdhsa_float_denorm_mode_32 3
		.amdhsa_float_denorm_mode_16_64 3
		.amdhsa_dx10_clamp 1
		.amdhsa_ieee_mode 1
		.amdhsa_fp16_overflow 0
		.amdhsa_workgroup_processor_mode 1
		.amdhsa_memory_ordered 1
		.amdhsa_forward_progress 0
		.amdhsa_shared_vgpr_count 0
		.amdhsa_exception_fp_ieee_invalid_op 0
		.amdhsa_exception_fp_denorm_src 0
		.amdhsa_exception_fp_ieee_div_zero 0
		.amdhsa_exception_fp_ieee_overflow 0
		.amdhsa_exception_fp_ieee_underflow 0
		.amdhsa_exception_fp_ieee_inexact 0
		.amdhsa_exception_int_div_zero 0
	.end_amdhsa_kernel
	.section	.text._Z37inclusive_scan_prefix_callback_kernelILj256ELN6hipcub18BlockScanAlgorithmE0EiEvPT1_S3_S2_,"axG",@progbits,_Z37inclusive_scan_prefix_callback_kernelILj256ELN6hipcub18BlockScanAlgorithmE0EiEvPT1_S3_S2_,comdat
.Lfunc_end69:
	.size	_Z37inclusive_scan_prefix_callback_kernelILj256ELN6hipcub18BlockScanAlgorithmE0EiEvPT1_S3_S2_, .Lfunc_end69-_Z37inclusive_scan_prefix_callback_kernelILj256ELN6hipcub18BlockScanAlgorithmE0EiEvPT1_S3_S2_
                                        ; -- End function
	.section	.AMDGPU.csdata,"",@progbits
; Kernel info:
; codeLenInByte = 632
; NumSgprs: 18
; NumVgprs: 9
; ScratchSize: 0
; MemoryBound: 0
; FloatMode: 240
; IeeeMode: 1
; LDSByteSize: 32 bytes/workgroup (compile time only)
; SGPRBlocks: 2
; VGPRBlocks: 1
; NumSGPRsForWavesPerEU: 18
; NumVGPRsForWavesPerEU: 9
; Occupancy: 16
; WaveLimiterHint : 0
; COMPUTE_PGM_RSRC2:SCRATCH_EN: 0
; COMPUTE_PGM_RSRC2:USER_SGPR: 15
; COMPUTE_PGM_RSRC2:TRAP_HANDLER: 0
; COMPUTE_PGM_RSRC2:TGID_X_EN: 1
; COMPUTE_PGM_RSRC2:TGID_Y_EN: 0
; COMPUTE_PGM_RSRC2:TGID_Z_EN: 0
; COMPUTE_PGM_RSRC2:TIDIG_COMP_CNT: 0
	.section	.text._Z37inclusive_scan_prefix_callback_kernelILj128ELN6hipcub18BlockScanAlgorithmE0EiEvPT1_S3_S2_,"axG",@progbits,_Z37inclusive_scan_prefix_callback_kernelILj128ELN6hipcub18BlockScanAlgorithmE0EiEvPT1_S3_S2_,comdat
	.protected	_Z37inclusive_scan_prefix_callback_kernelILj128ELN6hipcub18BlockScanAlgorithmE0EiEvPT1_S3_S2_ ; -- Begin function _Z37inclusive_scan_prefix_callback_kernelILj128ELN6hipcub18BlockScanAlgorithmE0EiEvPT1_S3_S2_
	.globl	_Z37inclusive_scan_prefix_callback_kernelILj128ELN6hipcub18BlockScanAlgorithmE0EiEvPT1_S3_S2_
	.p2align	8
	.type	_Z37inclusive_scan_prefix_callback_kernelILj128ELN6hipcub18BlockScanAlgorithmE0EiEvPT1_S3_S2_,@function
_Z37inclusive_scan_prefix_callback_kernelILj128ELN6hipcub18BlockScanAlgorithmE0EiEvPT1_S3_S2_: ; @_Z37inclusive_scan_prefix_callback_kernelILj128ELN6hipcub18BlockScanAlgorithmE0EiEvPT1_S3_S2_
; %bb.0:
	s_load_b128 s[4:7], s[0:1], 0x0
	s_mov_b32 s8, s15
	v_mov_b32_e32 v2, 0
	v_lshl_or_b32 v1, s8, 7, v0
	v_mbcnt_lo_u32_b32 v5, -1, 0
	v_or_b32_e32 v7, 31, v0
	s_mov_b32 s2, exec_lo
	s_delay_alu instid0(VALU_DEP_3) | instskip(NEXT) | instid1(VALU_DEP_3)
	v_lshlrev_b64 v[1:2], 2, v[1:2]
	v_and_b32_e32 v4, 15, v5
	s_waitcnt lgkmcnt(0)
	s_delay_alu instid0(VALU_DEP_2) | instskip(NEXT) | instid1(VALU_DEP_3)
	v_add_co_u32 v1, vcc_lo, s4, v1
	v_add_co_ci_u32_e32 v2, vcc_lo, s5, v2, vcc_lo
	s_delay_alu instid0(VALU_DEP_3) | instskip(SKIP_3) | instid1(VALU_DEP_1)
	v_cmp_ne_u32_e32 vcc_lo, 0, v4
	global_load_b32 v3, v[1:2], off
	s_waitcnt vmcnt(0)
	v_mov_b32_dpp v6, v3 row_shr:1 row_mask:0xf bank_mask:0xf
	v_cndmask_b32_e32 v6, 0, v6, vcc_lo
	v_cmp_lt_u32_e32 vcc_lo, 1, v4
	s_delay_alu instid0(VALU_DEP_2) | instskip(NEXT) | instid1(VALU_DEP_1)
	v_add_nc_u32_e32 v3, v6, v3
	v_mov_b32_dpp v6, v3 row_shr:2 row_mask:0xf bank_mask:0xf
	s_delay_alu instid0(VALU_DEP_1) | instskip(SKIP_1) | instid1(VALU_DEP_2)
	v_cndmask_b32_e32 v6, 0, v6, vcc_lo
	v_cmp_lt_u32_e32 vcc_lo, 3, v4
	v_add_nc_u32_e32 v3, v3, v6
	s_delay_alu instid0(VALU_DEP_1) | instskip(NEXT) | instid1(VALU_DEP_1)
	v_mov_b32_dpp v6, v3 row_shr:4 row_mask:0xf bank_mask:0xf
	v_cndmask_b32_e32 v6, 0, v6, vcc_lo
	v_cmp_lt_u32_e32 vcc_lo, 7, v4
	s_delay_alu instid0(VALU_DEP_2) | instskip(NEXT) | instid1(VALU_DEP_1)
	v_add_nc_u32_e32 v3, v3, v6
	v_mov_b32_dpp v6, v3 row_shr:8 row_mask:0xf bank_mask:0xf
	s_delay_alu instid0(VALU_DEP_1) | instskip(SKIP_1) | instid1(VALU_DEP_2)
	v_cndmask_b32_e32 v4, 0, v6, vcc_lo
	v_bfe_i32 v6, v5, 4, 1
	v_add_nc_u32_e32 v3, v3, v4
	ds_swizzle_b32 v4, v3 offset:swizzle(BROADCAST,32,15)
	s_waitcnt lgkmcnt(0)
	v_and_b32_e32 v6, v6, v4
	v_lshrrev_b32_e32 v4, 5, v0
	s_delay_alu instid0(VALU_DEP_2)
	v_add_nc_u32_e32 v3, v3, v6
	v_cmpx_eq_u32_e64 v7, v0
	s_cbranch_execz .LBB70_2
; %bb.1:
	s_delay_alu instid0(VALU_DEP_3)
	v_lshlrev_b32_e32 v6, 2, v4
	ds_store_b32 v6, v3
.LBB70_2:
	s_or_b32 exec_lo, exec_lo, s2
	s_delay_alu instid0(SALU_CYCLE_1)
	s_mov_b32 s2, exec_lo
	s_waitcnt lgkmcnt(0)
	s_barrier
	buffer_gl0_inv
	v_cmpx_gt_u32_e32 4, v0
	s_cbranch_execz .LBB70_4
; %bb.3:
	v_lshlrev_b32_e32 v6, 2, v0
	ds_load_b32 v7, v6
	s_waitcnt lgkmcnt(0)
	v_mov_b32_dpp v8, v7 row_shr:1 row_mask:0xf bank_mask:0xf
	v_and_b32_e32 v5, 3, v5
	s_delay_alu instid0(VALU_DEP_1) | instskip(NEXT) | instid1(VALU_DEP_3)
	v_cmp_ne_u32_e32 vcc_lo, 0, v5
	v_cndmask_b32_e32 v8, 0, v8, vcc_lo
	v_cmp_lt_u32_e32 vcc_lo, 1, v5
	s_delay_alu instid0(VALU_DEP_2) | instskip(NEXT) | instid1(VALU_DEP_1)
	v_add_nc_u32_e32 v7, v8, v7
	v_mov_b32_dpp v8, v7 row_shr:2 row_mask:0xf bank_mask:0xf
	s_delay_alu instid0(VALU_DEP_1) | instskip(NEXT) | instid1(VALU_DEP_1)
	v_cndmask_b32_e32 v5, 0, v8, vcc_lo
	v_add_nc_u32_e32 v5, v7, v5
	ds_store_b32 v6, v5
.LBB70_4:
	s_or_b32 exec_lo, exec_lo, s2
	v_cmp_gt_u32_e32 vcc_lo, 32, v0
	s_mov_b32 s3, exec_lo
	s_waitcnt lgkmcnt(0)
	s_barrier
	buffer_gl0_inv
	v_cmpx_lt_u32_e32 31, v0
	s_cbranch_execz .LBB70_6
; %bb.5:
	v_lshl_add_u32 v4, v4, 2, -4
	ds_load_b32 v4, v4
	s_waitcnt lgkmcnt(0)
	v_add_nc_u32_e32 v3, v4, v3
.LBB70_6:
	s_or_b32 exec_lo, exec_lo, s3
	s_load_b32 s1, s[0:1], 0x10
	s_waitcnt lgkmcnt(0)
	v_mov_b32_e32 v4, s1
	s_and_saveexec_b32 s0, vcc_lo
	s_cbranch_execz .LBB70_10
; %bb.7:
	v_mov_b32_e32 v5, 0
	s_mov_b32 s2, exec_lo
	ds_load_b32 v4, v5 offset:12
	v_cmpx_eq_u32_e32 0, v0
	s_cbranch_execz .LBB70_9
; %bb.8:
	v_mov_b32_e32 v6, s1
	ds_store_b32 v5, v6 offset:12
.LBB70_9:
	s_or_b32 exec_lo, exec_lo, s2
	s_waitcnt lgkmcnt(0)
	v_add_nc_u32_e32 v4, s1, v4
.LBB70_10:
	s_or_b32 exec_lo, exec_lo, s0
	v_mov_b32_e32 v5, 0
	s_barrier
	buffer_gl0_inv
	s_mov_b32 s9, 0
	ds_load_b32 v6, v5 offset:12
	s_mov_b32 s0, exec_lo
	s_waitcnt lgkmcnt(0)
	v_add_nc_u32_e32 v3, v6, v3
	global_store_b32 v[1:2], v3, off
	v_cmpx_eq_u32_e32 0, v0
	s_cbranch_execz .LBB70_12
; %bb.11:
	s_lshl_b64 s[0:1], s[8:9], 2
	s_delay_alu instid0(SALU_CYCLE_1)
	s_add_u32 s0, s6, s0
	s_addc_u32 s1, s7, s1
	global_store_b32 v5, v4, s[0:1]
.LBB70_12:
	s_nop 0
	s_sendmsg sendmsg(MSG_DEALLOC_VGPRS)
	s_endpgm
	.section	.rodata,"a",@progbits
	.p2align	6, 0x0
	.amdhsa_kernel _Z37inclusive_scan_prefix_callback_kernelILj128ELN6hipcub18BlockScanAlgorithmE0EiEvPT1_S3_S2_
		.amdhsa_group_segment_fixed_size 16
		.amdhsa_private_segment_fixed_size 0
		.amdhsa_kernarg_size 20
		.amdhsa_user_sgpr_count 15
		.amdhsa_user_sgpr_dispatch_ptr 0
		.amdhsa_user_sgpr_queue_ptr 0
		.amdhsa_user_sgpr_kernarg_segment_ptr 1
		.amdhsa_user_sgpr_dispatch_id 0
		.amdhsa_user_sgpr_private_segment_size 0
		.amdhsa_wavefront_size32 1
		.amdhsa_uses_dynamic_stack 0
		.amdhsa_enable_private_segment 0
		.amdhsa_system_sgpr_workgroup_id_x 1
		.amdhsa_system_sgpr_workgroup_id_y 0
		.amdhsa_system_sgpr_workgroup_id_z 0
		.amdhsa_system_sgpr_workgroup_info 0
		.amdhsa_system_vgpr_workitem_id 0
		.amdhsa_next_free_vgpr 9
		.amdhsa_next_free_sgpr 16
		.amdhsa_reserve_vcc 1
		.amdhsa_float_round_mode_32 0
		.amdhsa_float_round_mode_16_64 0
		.amdhsa_float_denorm_mode_32 3
		.amdhsa_float_denorm_mode_16_64 3
		.amdhsa_dx10_clamp 1
		.amdhsa_ieee_mode 1
		.amdhsa_fp16_overflow 0
		.amdhsa_workgroup_processor_mode 1
		.amdhsa_memory_ordered 1
		.amdhsa_forward_progress 0
		.amdhsa_shared_vgpr_count 0
		.amdhsa_exception_fp_ieee_invalid_op 0
		.amdhsa_exception_fp_denorm_src 0
		.amdhsa_exception_fp_ieee_div_zero 0
		.amdhsa_exception_fp_ieee_overflow 0
		.amdhsa_exception_fp_ieee_underflow 0
		.amdhsa_exception_fp_ieee_inexact 0
		.amdhsa_exception_int_div_zero 0
	.end_amdhsa_kernel
	.section	.text._Z37inclusive_scan_prefix_callback_kernelILj128ELN6hipcub18BlockScanAlgorithmE0EiEvPT1_S3_S2_,"axG",@progbits,_Z37inclusive_scan_prefix_callback_kernelILj128ELN6hipcub18BlockScanAlgorithmE0EiEvPT1_S3_S2_,comdat
.Lfunc_end70:
	.size	_Z37inclusive_scan_prefix_callback_kernelILj128ELN6hipcub18BlockScanAlgorithmE0EiEvPT1_S3_S2_, .Lfunc_end70-_Z37inclusive_scan_prefix_callback_kernelILj128ELN6hipcub18BlockScanAlgorithmE0EiEvPT1_S3_S2_
                                        ; -- End function
	.section	.AMDGPU.csdata,"",@progbits
; Kernel info:
; codeLenInByte = 604
; NumSgprs: 18
; NumVgprs: 9
; ScratchSize: 0
; MemoryBound: 0
; FloatMode: 240
; IeeeMode: 1
; LDSByteSize: 16 bytes/workgroup (compile time only)
; SGPRBlocks: 2
; VGPRBlocks: 1
; NumSGPRsForWavesPerEU: 18
; NumVGPRsForWavesPerEU: 9
; Occupancy: 16
; WaveLimiterHint : 0
; COMPUTE_PGM_RSRC2:SCRATCH_EN: 0
; COMPUTE_PGM_RSRC2:USER_SGPR: 15
; COMPUTE_PGM_RSRC2:TRAP_HANDLER: 0
; COMPUTE_PGM_RSRC2:TGID_X_EN: 1
; COMPUTE_PGM_RSRC2:TGID_Y_EN: 0
; COMPUTE_PGM_RSRC2:TGID_Z_EN: 0
; COMPUTE_PGM_RSRC2:TIDIG_COMP_CNT: 0
	.section	.text._Z37inclusive_scan_prefix_callback_kernelILj64ELN6hipcub18BlockScanAlgorithmE0EiEvPT1_S3_S2_,"axG",@progbits,_Z37inclusive_scan_prefix_callback_kernelILj64ELN6hipcub18BlockScanAlgorithmE0EiEvPT1_S3_S2_,comdat
	.protected	_Z37inclusive_scan_prefix_callback_kernelILj64ELN6hipcub18BlockScanAlgorithmE0EiEvPT1_S3_S2_ ; -- Begin function _Z37inclusive_scan_prefix_callback_kernelILj64ELN6hipcub18BlockScanAlgorithmE0EiEvPT1_S3_S2_
	.globl	_Z37inclusive_scan_prefix_callback_kernelILj64ELN6hipcub18BlockScanAlgorithmE0EiEvPT1_S3_S2_
	.p2align	8
	.type	_Z37inclusive_scan_prefix_callback_kernelILj64ELN6hipcub18BlockScanAlgorithmE0EiEvPT1_S3_S2_,@function
_Z37inclusive_scan_prefix_callback_kernelILj64ELN6hipcub18BlockScanAlgorithmE0EiEvPT1_S3_S2_: ; @_Z37inclusive_scan_prefix_callback_kernelILj64ELN6hipcub18BlockScanAlgorithmE0EiEvPT1_S3_S2_
; %bb.0:
	s_load_b128 s[4:7], s[0:1], 0x0
	s_mov_b32 s8, s15
	v_mbcnt_lo_u32_b32 v4, -1, 0
	v_mov_b32_e32 v2, 0
	v_lshl_or_b32 v1, s8, 6, v0
	v_or_b32_e32 v7, 31, v0
	s_mov_b32 s2, exec_lo
	v_and_b32_e32 v5, 15, v4
	s_delay_alu instid0(VALU_DEP_3) | instskip(SKIP_1) | instid1(VALU_DEP_1)
	v_lshlrev_b64 v[1:2], 2, v[1:2]
	s_waitcnt lgkmcnt(0)
	v_add_co_u32 v1, vcc_lo, s4, v1
	s_delay_alu instid0(VALU_DEP_2) | instskip(SKIP_4) | instid1(VALU_DEP_1)
	v_add_co_ci_u32_e32 v2, vcc_lo, s5, v2, vcc_lo
	v_cmp_ne_u32_e32 vcc_lo, 0, v5
	global_load_b32 v3, v[1:2], off
	s_waitcnt vmcnt(0)
	v_mov_b32_dpp v6, v3 row_shr:1 row_mask:0xf bank_mask:0xf
	v_cndmask_b32_e32 v6, 0, v6, vcc_lo
	v_cmp_lt_u32_e32 vcc_lo, 1, v5
	s_delay_alu instid0(VALU_DEP_2) | instskip(NEXT) | instid1(VALU_DEP_1)
	v_add_nc_u32_e32 v3, v6, v3
	v_mov_b32_dpp v6, v3 row_shr:2 row_mask:0xf bank_mask:0xf
	s_delay_alu instid0(VALU_DEP_1) | instskip(SKIP_1) | instid1(VALU_DEP_2)
	v_cndmask_b32_e32 v6, 0, v6, vcc_lo
	v_cmp_lt_u32_e32 vcc_lo, 3, v5
	v_add_nc_u32_e32 v3, v3, v6
	s_delay_alu instid0(VALU_DEP_1) | instskip(NEXT) | instid1(VALU_DEP_1)
	v_mov_b32_dpp v6, v3 row_shr:4 row_mask:0xf bank_mask:0xf
	v_cndmask_b32_e32 v6, 0, v6, vcc_lo
	v_cmp_lt_u32_e32 vcc_lo, 7, v5
	s_delay_alu instid0(VALU_DEP_2) | instskip(NEXT) | instid1(VALU_DEP_1)
	v_add_nc_u32_e32 v3, v3, v6
	v_mov_b32_dpp v6, v3 row_shr:8 row_mask:0xf bank_mask:0xf
	s_delay_alu instid0(VALU_DEP_1) | instskip(SKIP_1) | instid1(VALU_DEP_2)
	v_cndmask_b32_e32 v5, 0, v6, vcc_lo
	v_bfe_i32 v6, v4, 4, 1
	v_add_nc_u32_e32 v3, v3, v5
	ds_swizzle_b32 v5, v3 offset:swizzle(BROADCAST,32,15)
	s_waitcnt lgkmcnt(0)
	v_and_b32_e32 v6, v6, v5
	v_lshrrev_b32_e32 v5, 5, v0
	s_delay_alu instid0(VALU_DEP_2)
	v_add_nc_u32_e32 v3, v3, v6
	v_cmpx_eq_u32_e64 v7, v0
	s_cbranch_execz .LBB71_2
; %bb.1:
	s_delay_alu instid0(VALU_DEP_3)
	v_lshlrev_b32_e32 v6, 2, v5
	ds_store_b32 v6, v3
.LBB71_2:
	s_or_b32 exec_lo, exec_lo, s2
	s_delay_alu instid0(SALU_CYCLE_1)
	s_mov_b32 s2, exec_lo
	s_waitcnt lgkmcnt(0)
	s_barrier
	buffer_gl0_inv
	v_cmpx_gt_u32_e32 2, v0
	s_cbranch_execz .LBB71_4
; %bb.3:
	v_lshlrev_b32_e32 v6, 2, v0
	v_bfe_i32 v4, v4, 0, 1
	ds_load_b32 v7, v6
	s_waitcnt lgkmcnt(0)
	v_mov_b32_dpp v8, v7 row_shr:1 row_mask:0xf bank_mask:0xf
	s_delay_alu instid0(VALU_DEP_1) | instskip(NEXT) | instid1(VALU_DEP_1)
	v_and_b32_e32 v4, v4, v8
	v_add_nc_u32_e32 v4, v4, v7
	ds_store_b32 v6, v4
.LBB71_4:
	s_or_b32 exec_lo, exec_lo, s2
	v_cmp_gt_u32_e32 vcc_lo, 32, v0
	s_mov_b32 s3, exec_lo
	s_waitcnt lgkmcnt(0)
	s_barrier
	buffer_gl0_inv
	v_cmpx_lt_u32_e32 31, v0
	s_cbranch_execz .LBB71_6
; %bb.5:
	v_lshl_add_u32 v4, v5, 2, -4
	ds_load_b32 v4, v4
	s_waitcnt lgkmcnt(0)
	v_add_nc_u32_e32 v3, v4, v3
.LBB71_6:
	s_or_b32 exec_lo, exec_lo, s3
	s_load_b32 s1, s[0:1], 0x10
	s_waitcnt lgkmcnt(0)
	v_mov_b32_e32 v4, s1
	s_and_saveexec_b32 s0, vcc_lo
	s_cbranch_execz .LBB71_10
; %bb.7:
	v_mov_b32_e32 v5, 0
	s_mov_b32 s2, exec_lo
	ds_load_b32 v4, v5 offset:4
	v_cmpx_eq_u32_e32 0, v0
	s_cbranch_execz .LBB71_9
; %bb.8:
	v_mov_b32_e32 v6, s1
	ds_store_b32 v5, v6 offset:4
.LBB71_9:
	s_or_b32 exec_lo, exec_lo, s2
	s_waitcnt lgkmcnt(0)
	v_add_nc_u32_e32 v4, s1, v4
.LBB71_10:
	s_or_b32 exec_lo, exec_lo, s0
	v_mov_b32_e32 v5, 0
	s_barrier
	buffer_gl0_inv
	s_mov_b32 s9, 0
	ds_load_b32 v6, v5 offset:4
	s_mov_b32 s0, exec_lo
	s_waitcnt lgkmcnt(0)
	v_add_nc_u32_e32 v3, v6, v3
	global_store_b32 v[1:2], v3, off
	v_cmpx_eq_u32_e32 0, v0
	s_cbranch_execz .LBB71_12
; %bb.11:
	s_lshl_b64 s[0:1], s[8:9], 2
	s_delay_alu instid0(SALU_CYCLE_1)
	s_add_u32 s0, s6, s0
	s_addc_u32 s1, s7, s1
	global_store_b32 v5, v4, s[0:1]
.LBB71_12:
	s_nop 0
	s_sendmsg sendmsg(MSG_DEALLOC_VGPRS)
	s_endpgm
	.section	.rodata,"a",@progbits
	.p2align	6, 0x0
	.amdhsa_kernel _Z37inclusive_scan_prefix_callback_kernelILj64ELN6hipcub18BlockScanAlgorithmE0EiEvPT1_S3_S2_
		.amdhsa_group_segment_fixed_size 8
		.amdhsa_private_segment_fixed_size 0
		.amdhsa_kernarg_size 20
		.amdhsa_user_sgpr_count 15
		.amdhsa_user_sgpr_dispatch_ptr 0
		.amdhsa_user_sgpr_queue_ptr 0
		.amdhsa_user_sgpr_kernarg_segment_ptr 1
		.amdhsa_user_sgpr_dispatch_id 0
		.amdhsa_user_sgpr_private_segment_size 0
		.amdhsa_wavefront_size32 1
		.amdhsa_uses_dynamic_stack 0
		.amdhsa_enable_private_segment 0
		.amdhsa_system_sgpr_workgroup_id_x 1
		.amdhsa_system_sgpr_workgroup_id_y 0
		.amdhsa_system_sgpr_workgroup_id_z 0
		.amdhsa_system_sgpr_workgroup_info 0
		.amdhsa_system_vgpr_workitem_id 0
		.amdhsa_next_free_vgpr 9
		.amdhsa_next_free_sgpr 16
		.amdhsa_reserve_vcc 1
		.amdhsa_float_round_mode_32 0
		.amdhsa_float_round_mode_16_64 0
		.amdhsa_float_denorm_mode_32 3
		.amdhsa_float_denorm_mode_16_64 3
		.amdhsa_dx10_clamp 1
		.amdhsa_ieee_mode 1
		.amdhsa_fp16_overflow 0
		.amdhsa_workgroup_processor_mode 1
		.amdhsa_memory_ordered 1
		.amdhsa_forward_progress 0
		.amdhsa_shared_vgpr_count 0
		.amdhsa_exception_fp_ieee_invalid_op 0
		.amdhsa_exception_fp_denorm_src 0
		.amdhsa_exception_fp_ieee_div_zero 0
		.amdhsa_exception_fp_ieee_overflow 0
		.amdhsa_exception_fp_ieee_underflow 0
		.amdhsa_exception_fp_ieee_inexact 0
		.amdhsa_exception_int_div_zero 0
	.end_amdhsa_kernel
	.section	.text._Z37inclusive_scan_prefix_callback_kernelILj64ELN6hipcub18BlockScanAlgorithmE0EiEvPT1_S3_S2_,"axG",@progbits,_Z37inclusive_scan_prefix_callback_kernelILj64ELN6hipcub18BlockScanAlgorithmE0EiEvPT1_S3_S2_,comdat
.Lfunc_end71:
	.size	_Z37inclusive_scan_prefix_callback_kernelILj64ELN6hipcub18BlockScanAlgorithmE0EiEvPT1_S3_S2_, .Lfunc_end71-_Z37inclusive_scan_prefix_callback_kernelILj64ELN6hipcub18BlockScanAlgorithmE0EiEvPT1_S3_S2_
                                        ; -- End function
	.section	.AMDGPU.csdata,"",@progbits
; Kernel info:
; codeLenInByte = 572
; NumSgprs: 18
; NumVgprs: 9
; ScratchSize: 0
; MemoryBound: 0
; FloatMode: 240
; IeeeMode: 1
; LDSByteSize: 8 bytes/workgroup (compile time only)
; SGPRBlocks: 2
; VGPRBlocks: 1
; NumSGPRsForWavesPerEU: 18
; NumVGPRsForWavesPerEU: 9
; Occupancy: 16
; WaveLimiterHint : 0
; COMPUTE_PGM_RSRC2:SCRATCH_EN: 0
; COMPUTE_PGM_RSRC2:USER_SGPR: 15
; COMPUTE_PGM_RSRC2:TRAP_HANDLER: 0
; COMPUTE_PGM_RSRC2:TGID_X_EN: 1
; COMPUTE_PGM_RSRC2:TGID_Y_EN: 0
; COMPUTE_PGM_RSRC2:TGID_Z_EN: 0
; COMPUTE_PGM_RSRC2:TIDIG_COMP_CNT: 0
	.section	.text._Z21exclusive_scan_kernelILj377ELN6hipcub18BlockScanAlgorithmE1EhEvPT1_S2_,"axG",@progbits,_Z21exclusive_scan_kernelILj377ELN6hipcub18BlockScanAlgorithmE1EhEvPT1_S2_,comdat
	.protected	_Z21exclusive_scan_kernelILj377ELN6hipcub18BlockScanAlgorithmE1EhEvPT1_S2_ ; -- Begin function _Z21exclusive_scan_kernelILj377ELN6hipcub18BlockScanAlgorithmE1EhEvPT1_S2_
	.globl	_Z21exclusive_scan_kernelILj377ELN6hipcub18BlockScanAlgorithmE1EhEvPT1_S2_
	.p2align	8
	.type	_Z21exclusive_scan_kernelILj377ELN6hipcub18BlockScanAlgorithmE1EhEvPT1_S2_,@function
_Z21exclusive_scan_kernelILj377ELN6hipcub18BlockScanAlgorithmE1EhEvPT1_S2_: ; @_Z21exclusive_scan_kernelILj377ELN6hipcub18BlockScanAlgorithmE1EhEvPT1_S2_
; %bb.0:
	s_load_b64 s[2:3], s[0:1], 0x0
	v_mad_u64_u32 v[1:2], null, 0x179, s15, v[0:1]
	s_waitcnt lgkmcnt(0)
	global_load_u8 v3, v1, s[2:3]
	v_add_co_u32 v1, s2, s2, v1
	s_delay_alu instid0(VALU_DEP_1)
	v_add_co_ci_u32_e64 v2, null, s3, 0, s2
	s_mov_b32 s2, exec_lo
	s_waitcnt vmcnt(0)
	ds_store_b8 v0, v3
	s_waitcnt lgkmcnt(0)
	s_barrier
	buffer_gl0_inv
	v_cmpx_gt_u32_e32 32, v0
	s_cbranch_execz .LBB72_2
; %bb.1:
	v_mul_u32_u24_e32 v7, 12, v0
	v_mbcnt_lo_u32_b32 v18, -1, 0
	ds_load_b96 v[4:6], v7
	v_add_nc_u32_e32 v21, -1, v18
	s_waitcnt lgkmcnt(0)
	v_lshrrev_b32_e32 v8, 8, v4
	v_lshrrev_b32_e32 v9, 16, v4
	;; [unrolled: 1-line block ×5, first 2 shown]
	v_add_nc_u16 v10, v8, v4
	v_lshrrev_b32_e32 v14, 24, v5
	v_lshrrev_b32_e32 v15, 8, v6
	;; [unrolled: 1-line block ×4, first 2 shown]
	v_add_nc_u16 v10, v10, v9
	s_delay_alu instid0(VALU_DEP_1) | instskip(NEXT) | instid1(VALU_DEP_1)
	v_add_nc_u16 v10, v10, v11
	v_add_nc_u16 v10, v10, v5
	s_delay_alu instid0(VALU_DEP_1) | instskip(NEXT) | instid1(VALU_DEP_1)
	v_add_nc_u16 v10, v10, v12
	;; [unrolled: 3-line block ×5, first 2 shown]
	v_and_b32_e32 v19, 0xff, v10
	s_delay_alu instid0(VALU_DEP_1) | instskip(SKIP_1) | instid1(VALU_DEP_1)
	v_mov_b32_dpp v19, v19 row_shr:1 row_mask:0xf bank_mask:0xf
	v_and_b32_e32 v20, 15, v18
	v_cmp_ne_u32_e32 vcc_lo, 0, v20
	s_delay_alu instid0(VALU_DEP_3) | instskip(SKIP_1) | instid1(VALU_DEP_2)
	v_cndmask_b32_e32 v19, 0, v19, vcc_lo
	v_cmp_lt_u32_e32 vcc_lo, 1, v20
	v_add_nc_u16 v10, v19, v10
	s_delay_alu instid0(VALU_DEP_1) | instskip(NEXT) | instid1(VALU_DEP_1)
	v_and_b32_e32 v19, 0xff, v10
	v_mov_b32_dpp v19, v19 row_shr:2 row_mask:0xf bank_mask:0xf
	s_delay_alu instid0(VALU_DEP_1) | instskip(SKIP_1) | instid1(VALU_DEP_2)
	v_cndmask_b32_e32 v19, 0, v19, vcc_lo
	v_cmp_lt_u32_e32 vcc_lo, 3, v20
	v_add_nc_u16 v10, v10, v19
	s_delay_alu instid0(VALU_DEP_1) | instskip(NEXT) | instid1(VALU_DEP_1)
	v_and_b32_e32 v19, 0xff, v10
	v_mov_b32_dpp v19, v19 row_shr:4 row_mask:0xf bank_mask:0xf
	s_delay_alu instid0(VALU_DEP_1) | instskip(SKIP_2) | instid1(VALU_DEP_3)
	v_cndmask_b32_e32 v19, 0, v19, vcc_lo
	v_cmp_lt_u32_e32 vcc_lo, 7, v20
	v_and_b32_e32 v20, 16, v18
	v_add_nc_u16 v10, v10, v19
	s_delay_alu instid0(VALU_DEP_1) | instskip(NEXT) | instid1(VALU_DEP_1)
	v_and_b32_e32 v19, 0xff, v10
	v_mov_b32_dpp v19, v19 row_shr:8 row_mask:0xf bank_mask:0xf
	s_delay_alu instid0(VALU_DEP_1) | instskip(SKIP_1) | instid1(VALU_DEP_2)
	v_cndmask_b32_e32 v19, 0, v19, vcc_lo
	v_cmp_ne_u32_e32 vcc_lo, 0, v20
	v_add_nc_u16 v10, v10, v19
	s_delay_alu instid0(VALU_DEP_1) | instskip(SKIP_4) | instid1(VALU_DEP_2)
	v_and_b32_e32 v19, 0xff, v10
	ds_swizzle_b32 v19, v19 offset:swizzle(BROADCAST,32,15)
	s_waitcnt lgkmcnt(0)
	v_cndmask_b32_e32 v19, 0, v19, vcc_lo
	v_cmp_gt_i32_e32 vcc_lo, 0, v21
	v_add_nc_u16 v10, v10, v19
	v_cndmask_b32_e32 v18, v21, v18, vcc_lo
	v_cmp_eq_u32_e32 vcc_lo, 0, v0
	s_delay_alu instid0(VALU_DEP_3) | instskip(NEXT) | instid1(VALU_DEP_3)
	v_and_b32_e32 v10, 0xff, v10
	v_lshlrev_b32_e32 v18, 2, v18
	ds_bpermute_b32 v10, v18, v10
	s_waitcnt lgkmcnt(0)
	v_add_nc_u16 v4, v4, v10
	s_delay_alu instid0(VALU_DEP_1) | instskip(NEXT) | instid1(VALU_DEP_1)
	v_cndmask_b32_e32 v3, v4, v3, vcc_lo
	v_add_nc_u16 v4, v3, v8
	v_and_b32_e32 v3, 0xff, v3
	s_delay_alu instid0(VALU_DEP_2) | instskip(SKIP_1) | instid1(VALU_DEP_2)
	v_add_nc_u16 v8, v4, v9
	v_lshlrev_b16 v4, 8, v4
	v_add_nc_u16 v9, v8, v11
	s_delay_alu instid0(VALU_DEP_2) | instskip(SKIP_1) | instid1(VALU_DEP_3)
	v_or_b32_e32 v3, v3, v4
	v_and_b32_e32 v4, 0xff, v8
	v_add_nc_u16 v5, v9, v5
	v_lshlrev_b16 v9, 8, v9
	s_delay_alu instid0(VALU_DEP_4) | instskip(NEXT) | instid1(VALU_DEP_3)
	v_and_b32_e32 v3, 0xffff, v3
	v_add_nc_u16 v10, v5, v12
	v_and_b32_e32 v5, 0xff, v5
	s_delay_alu instid0(VALU_DEP_4) | instskip(NEXT) | instid1(VALU_DEP_3)
	v_or_b32_e32 v4, v4, v9
	v_add_nc_u16 v11, v10, v13
	v_lshlrev_b16 v10, 8, v10
	s_delay_alu instid0(VALU_DEP_3) | instskip(NEXT) | instid1(VALU_DEP_3)
	v_lshlrev_b32_e32 v4, 16, v4
	v_add_nc_u16 v12, v11, v14
	v_and_b32_e32 v11, 0xff, v11
	s_delay_alu instid0(VALU_DEP_4) | instskip(NEXT) | instid1(VALU_DEP_4)
	v_or_b32_e32 v5, v5, v10
	v_or_b32_e32 v3, v3, v4
	s_delay_alu instid0(VALU_DEP_4) | instskip(SKIP_1) | instid1(VALU_DEP_4)
	v_add_nc_u16 v6, v12, v6
	v_lshlrev_b16 v12, 8, v12
	v_and_b32_e32 v5, 0xffff, v5
	s_delay_alu instid0(VALU_DEP_3) | instskip(SKIP_1) | instid1(VALU_DEP_4)
	v_add_nc_u16 v13, v6, v15
	v_and_b32_e32 v6, 0xff, v6
	v_or_b32_e32 v9, v11, v12
	s_delay_alu instid0(VALU_DEP_3) | instskip(SKIP_1) | instid1(VALU_DEP_3)
	v_add_nc_u16 v8, v13, v16
	v_lshlrev_b16 v13, 8, v13
	v_lshlrev_b32_e32 v9, 16, v9
	s_delay_alu instid0(VALU_DEP_3) | instskip(SKIP_1) | instid1(VALU_DEP_4)
	v_add_nc_u16 v14, v8, v17
	v_and_b32_e32 v8, 0xff, v8
	v_or_b32_e32 v6, v6, v13
	s_delay_alu instid0(VALU_DEP_4) | instskip(NEXT) | instid1(VALU_DEP_4)
	v_or_b32_e32 v4, v5, v9
	v_lshlrev_b16 v14, 8, v14
	s_delay_alu instid0(VALU_DEP_3) | instskip(NEXT) | instid1(VALU_DEP_2)
	v_and_b32_e32 v6, 0xffff, v6
	v_or_b32_e32 v8, v8, v14
	s_delay_alu instid0(VALU_DEP_1) | instskip(NEXT) | instid1(VALU_DEP_1)
	v_lshlrev_b32_e32 v8, 16, v8
	v_or_b32_e32 v5, v6, v8
	ds_store_b96 v7, v[3:5]
.LBB72_2:
	s_or_b32 exec_lo, exec_lo, s2
	s_load_b32 s0, s[0:1], 0x8
	s_mov_b32 s1, exec_lo
	s_waitcnt lgkmcnt(0)
	s_barrier
	buffer_gl0_inv
	v_mov_b32_e32 v3, s0
	v_cmpx_ne_u32_e32 0, v0
	s_cbranch_execz .LBB72_4
; %bb.3:
	v_add_nc_u32_e32 v0, -1, v0
	ds_load_u8 v0, v0
	s_waitcnt lgkmcnt(0)
	v_add_nc_u16 v3, v0, s0
.LBB72_4:
	s_or_b32 exec_lo, exec_lo, s1
	global_store_b8 v[1:2], v3, off
	s_nop 0
	s_sendmsg sendmsg(MSG_DEALLOC_VGPRS)
	s_endpgm
	.section	.rodata,"a",@progbits
	.p2align	6, 0x0
	.amdhsa_kernel _Z21exclusive_scan_kernelILj377ELN6hipcub18BlockScanAlgorithmE1EhEvPT1_S2_
		.amdhsa_group_segment_fixed_size 384
		.amdhsa_private_segment_fixed_size 0
		.amdhsa_kernarg_size 12
		.amdhsa_user_sgpr_count 15
		.amdhsa_user_sgpr_dispatch_ptr 0
		.amdhsa_user_sgpr_queue_ptr 0
		.amdhsa_user_sgpr_kernarg_segment_ptr 1
		.amdhsa_user_sgpr_dispatch_id 0
		.amdhsa_user_sgpr_private_segment_size 0
		.amdhsa_wavefront_size32 1
		.amdhsa_uses_dynamic_stack 0
		.amdhsa_enable_private_segment 0
		.amdhsa_system_sgpr_workgroup_id_x 1
		.amdhsa_system_sgpr_workgroup_id_y 0
		.amdhsa_system_sgpr_workgroup_id_z 0
		.amdhsa_system_sgpr_workgroup_info 0
		.amdhsa_system_vgpr_workitem_id 0
		.amdhsa_next_free_vgpr 22
		.amdhsa_next_free_sgpr 16
		.amdhsa_reserve_vcc 1
		.amdhsa_float_round_mode_32 0
		.amdhsa_float_round_mode_16_64 0
		.amdhsa_float_denorm_mode_32 3
		.amdhsa_float_denorm_mode_16_64 3
		.amdhsa_dx10_clamp 1
		.amdhsa_ieee_mode 1
		.amdhsa_fp16_overflow 0
		.amdhsa_workgroup_processor_mode 1
		.amdhsa_memory_ordered 1
		.amdhsa_forward_progress 0
		.amdhsa_shared_vgpr_count 0
		.amdhsa_exception_fp_ieee_invalid_op 0
		.amdhsa_exception_fp_denorm_src 0
		.amdhsa_exception_fp_ieee_div_zero 0
		.amdhsa_exception_fp_ieee_overflow 0
		.amdhsa_exception_fp_ieee_underflow 0
		.amdhsa_exception_fp_ieee_inexact 0
		.amdhsa_exception_int_div_zero 0
	.end_amdhsa_kernel
	.section	.text._Z21exclusive_scan_kernelILj377ELN6hipcub18BlockScanAlgorithmE1EhEvPT1_S2_,"axG",@progbits,_Z21exclusive_scan_kernelILj377ELN6hipcub18BlockScanAlgorithmE1EhEvPT1_S2_,comdat
.Lfunc_end72:
	.size	_Z21exclusive_scan_kernelILj377ELN6hipcub18BlockScanAlgorithmE1EhEvPT1_S2_, .Lfunc_end72-_Z21exclusive_scan_kernelILj377ELN6hipcub18BlockScanAlgorithmE1EhEvPT1_S2_
                                        ; -- End function
	.section	.AMDGPU.csdata,"",@progbits
; Kernel info:
; codeLenInByte = 936
; NumSgprs: 18
; NumVgprs: 22
; ScratchSize: 0
; MemoryBound: 0
; FloatMode: 240
; IeeeMode: 1
; LDSByteSize: 384 bytes/workgroup (compile time only)
; SGPRBlocks: 2
; VGPRBlocks: 2
; NumSGPRsForWavesPerEU: 18
; NumVGPRsForWavesPerEU: 22
; Occupancy: 15
; WaveLimiterHint : 0
; COMPUTE_PGM_RSRC2:SCRATCH_EN: 0
; COMPUTE_PGM_RSRC2:USER_SGPR: 15
; COMPUTE_PGM_RSRC2:TRAP_HANDLER: 0
; COMPUTE_PGM_RSRC2:TGID_X_EN: 1
; COMPUTE_PGM_RSRC2:TGID_Y_EN: 0
; COMPUTE_PGM_RSRC2:TGID_Z_EN: 0
; COMPUTE_PGM_RSRC2:TIDIG_COMP_CNT: 0
	.section	.text._Z21exclusive_scan_kernelILj377ELN6hipcub18BlockScanAlgorithmE1EiEvPT1_S2_,"axG",@progbits,_Z21exclusive_scan_kernelILj377ELN6hipcub18BlockScanAlgorithmE1EiEvPT1_S2_,comdat
	.protected	_Z21exclusive_scan_kernelILj377ELN6hipcub18BlockScanAlgorithmE1EiEvPT1_S2_ ; -- Begin function _Z21exclusive_scan_kernelILj377ELN6hipcub18BlockScanAlgorithmE1EiEvPT1_S2_
	.globl	_Z21exclusive_scan_kernelILj377ELN6hipcub18BlockScanAlgorithmE1EiEvPT1_S2_
	.p2align	8
	.type	_Z21exclusive_scan_kernelILj377ELN6hipcub18BlockScanAlgorithmE1EiEvPT1_S2_,@function
_Z21exclusive_scan_kernelILj377ELN6hipcub18BlockScanAlgorithmE1EiEvPT1_S2_: ; @_Z21exclusive_scan_kernelILj377ELN6hipcub18BlockScanAlgorithmE1EiEvPT1_S2_
; %bb.0:
	s_load_b64 s[2:3], s[0:1], 0x0
	v_mad_u64_u32 v[1:2], null, 0x179, s15, v[0:1]
	v_dual_mov_b32 v2, 0 :: v_dual_lshlrev_b32 v3, 2, v0
	s_delay_alu instid0(VALU_DEP_1) | instskip(SKIP_1) | instid1(VALU_DEP_1)
	v_lshlrev_b64 v[1:2], 2, v[1:2]
	s_waitcnt lgkmcnt(0)
	v_add_co_u32 v1, vcc_lo, s2, v1
	s_delay_alu instid0(VALU_DEP_2)
	v_add_co_ci_u32_e32 v2, vcc_lo, s3, v2, vcc_lo
	s_mov_b32 s2, exec_lo
	global_load_b32 v4, v[1:2], off
	s_waitcnt vmcnt(0)
	ds_store_b32 v3, v4
	s_waitcnt lgkmcnt(0)
	s_barrier
	buffer_gl0_inv
	v_cmpx_gt_u32_e32 32, v0
	s_cbranch_execz .LBB73_2
; %bb.1:
	v_mul_u32_u24_e32 v5, 12, v0
	v_mbcnt_lo_u32_b32 v19, -1, 0
	s_delay_alu instid0(VALU_DEP_2) | instskip(NEXT) | instid1(VALU_DEP_2)
	v_lshlrev_b32_e32 v17, 2, v5
	v_bfe_i32 v22, v19, 4, 1
	ds_load_2addr_b32 v[5:6], v17 offset1:1
	ds_load_2addr_b32 v[7:8], v17 offset0:2 offset1:3
	ds_load_2addr_b32 v[9:10], v17 offset0:4 offset1:5
	;; [unrolled: 1-line block ×5, first 2 shown]
	s_waitcnt lgkmcnt(5)
	v_add_nc_u32_e32 v18, v6, v5
	s_waitcnt lgkmcnt(4)
	s_delay_alu instid0(VALU_DEP_1) | instskip(SKIP_1) | instid1(VALU_DEP_1)
	v_add3_u32 v18, v18, v7, v8
	s_waitcnt lgkmcnt(3)
	v_add3_u32 v18, v18, v9, v10
	s_waitcnt lgkmcnt(2)
	s_delay_alu instid0(VALU_DEP_1) | instskip(SKIP_1) | instid1(VALU_DEP_1)
	v_add3_u32 v18, v18, v11, v12
	s_waitcnt lgkmcnt(1)
	v_add3_u32 v18, v18, v13, v14
	s_waitcnt lgkmcnt(0)
	s_delay_alu instid0(VALU_DEP_1) | instskip(NEXT) | instid1(VALU_DEP_1)
	v_add3_u32 v18, v18, v15, v16
	v_mov_b32_dpp v21, v18 row_shr:1 row_mask:0xf bank_mask:0xf
	v_and_b32_e32 v20, 15, v19
	s_delay_alu instid0(VALU_DEP_1) | instskip(NEXT) | instid1(VALU_DEP_3)
	v_cmp_ne_u32_e32 vcc_lo, 0, v20
	v_cndmask_b32_e32 v21, 0, v21, vcc_lo
	v_cmp_lt_u32_e32 vcc_lo, 1, v20
	s_delay_alu instid0(VALU_DEP_2) | instskip(NEXT) | instid1(VALU_DEP_1)
	v_add_nc_u32_e32 v18, v21, v18
	v_mov_b32_dpp v21, v18 row_shr:2 row_mask:0xf bank_mask:0xf
	s_delay_alu instid0(VALU_DEP_1) | instskip(SKIP_1) | instid1(VALU_DEP_2)
	v_cndmask_b32_e32 v21, 0, v21, vcc_lo
	v_cmp_lt_u32_e32 vcc_lo, 3, v20
	v_add_nc_u32_e32 v18, v18, v21
	s_delay_alu instid0(VALU_DEP_1) | instskip(NEXT) | instid1(VALU_DEP_1)
	v_mov_b32_dpp v21, v18 row_shr:4 row_mask:0xf bank_mask:0xf
	v_cndmask_b32_e32 v21, 0, v21, vcc_lo
	v_cmp_lt_u32_e32 vcc_lo, 7, v20
	s_delay_alu instid0(VALU_DEP_2) | instskip(NEXT) | instid1(VALU_DEP_1)
	v_add_nc_u32_e32 v18, v18, v21
	v_mov_b32_dpp v21, v18 row_shr:8 row_mask:0xf bank_mask:0xf
	s_delay_alu instid0(VALU_DEP_1) | instskip(NEXT) | instid1(VALU_DEP_1)
	v_dual_cndmask_b32 v20, 0, v21 :: v_dual_add_nc_u32 v21, -1, v19
	v_add_nc_u32_e32 v18, v18, v20
	s_delay_alu instid0(VALU_DEP_2) | instskip(SKIP_3) | instid1(VALU_DEP_2)
	v_cmp_gt_i32_e32 vcc_lo, 0, v21
	ds_swizzle_b32 v20, v18 offset:swizzle(BROADCAST,32,15)
	v_cndmask_b32_e32 v19, v21, v19, vcc_lo
	v_cmp_eq_u32_e32 vcc_lo, 0, v0
	v_lshlrev_b32_e32 v19, 2, v19
	s_waitcnt lgkmcnt(0)
	v_and_b32_e32 v20, v22, v20
	s_delay_alu instid0(VALU_DEP_1) | instskip(SKIP_3) | instid1(VALU_DEP_1)
	v_add_nc_u32_e32 v18, v18, v20
	ds_bpermute_b32 v18, v19, v18
	s_waitcnt lgkmcnt(0)
	v_add_nc_u32_e32 v5, v18, v5
	v_cndmask_b32_e32 v4, v5, v4, vcc_lo
	s_delay_alu instid0(VALU_DEP_1) | instskip(NEXT) | instid1(VALU_DEP_1)
	v_add_nc_u32_e32 v5, v4, v6
	v_add_nc_u32_e32 v6, v5, v7
	s_delay_alu instid0(VALU_DEP_1) | instskip(NEXT) | instid1(VALU_DEP_1)
	v_add_nc_u32_e32 v7, v6, v8
	v_add_nc_u32_e32 v8, v7, v9
	;; [unrolled: 3-line block ×5, first 2 shown]
	s_delay_alu instid0(VALU_DEP_1)
	v_add_nc_u32_e32 v15, v14, v16
	ds_store_2addr_b32 v17, v4, v5 offset1:1
	ds_store_2addr_b32 v17, v6, v7 offset0:2 offset1:3
	ds_store_2addr_b32 v17, v8, v9 offset0:4 offset1:5
	;; [unrolled: 1-line block ×5, first 2 shown]
.LBB73_2:
	s_or_b32 exec_lo, exec_lo, s2
	s_load_b32 s0, s[0:1], 0x8
	v_cmp_ne_u32_e32 vcc_lo, 0, v0
	s_waitcnt lgkmcnt(0)
	s_barrier
	buffer_gl0_inv
	v_mov_b32_e32 v0, s0
	s_and_saveexec_b32 s1, vcc_lo
	s_cbranch_execz .LBB73_4
; %bb.3:
	v_add_nc_u32_e32 v0, -4, v3
	ds_load_b32 v0, v0
	s_waitcnt lgkmcnt(0)
	v_add_nc_u32_e32 v0, s0, v0
.LBB73_4:
	s_or_b32 exec_lo, exec_lo, s1
	global_store_b32 v[1:2], v0, off
	s_nop 0
	s_sendmsg sendmsg(MSG_DEALLOC_VGPRS)
	s_endpgm
	.section	.rodata,"a",@progbits
	.p2align	6, 0x0
	.amdhsa_kernel _Z21exclusive_scan_kernelILj377ELN6hipcub18BlockScanAlgorithmE1EiEvPT1_S2_
		.amdhsa_group_segment_fixed_size 1536
		.amdhsa_private_segment_fixed_size 0
		.amdhsa_kernarg_size 12
		.amdhsa_user_sgpr_count 15
		.amdhsa_user_sgpr_dispatch_ptr 0
		.amdhsa_user_sgpr_queue_ptr 0
		.amdhsa_user_sgpr_kernarg_segment_ptr 1
		.amdhsa_user_sgpr_dispatch_id 0
		.amdhsa_user_sgpr_private_segment_size 0
		.amdhsa_wavefront_size32 1
		.amdhsa_uses_dynamic_stack 0
		.amdhsa_enable_private_segment 0
		.amdhsa_system_sgpr_workgroup_id_x 1
		.amdhsa_system_sgpr_workgroup_id_y 0
		.amdhsa_system_sgpr_workgroup_id_z 0
		.amdhsa_system_sgpr_workgroup_info 0
		.amdhsa_system_vgpr_workitem_id 0
		.amdhsa_next_free_vgpr 23
		.amdhsa_next_free_sgpr 16
		.amdhsa_reserve_vcc 1
		.amdhsa_float_round_mode_32 0
		.amdhsa_float_round_mode_16_64 0
		.amdhsa_float_denorm_mode_32 3
		.amdhsa_float_denorm_mode_16_64 3
		.amdhsa_dx10_clamp 1
		.amdhsa_ieee_mode 1
		.amdhsa_fp16_overflow 0
		.amdhsa_workgroup_processor_mode 1
		.amdhsa_memory_ordered 1
		.amdhsa_forward_progress 0
		.amdhsa_shared_vgpr_count 0
		.amdhsa_exception_fp_ieee_invalid_op 0
		.amdhsa_exception_fp_denorm_src 0
		.amdhsa_exception_fp_ieee_div_zero 0
		.amdhsa_exception_fp_ieee_overflow 0
		.amdhsa_exception_fp_ieee_underflow 0
		.amdhsa_exception_fp_ieee_inexact 0
		.amdhsa_exception_int_div_zero 0
	.end_amdhsa_kernel
	.section	.text._Z21exclusive_scan_kernelILj377ELN6hipcub18BlockScanAlgorithmE1EiEvPT1_S2_,"axG",@progbits,_Z21exclusive_scan_kernelILj377ELN6hipcub18BlockScanAlgorithmE1EiEvPT1_S2_,comdat
.Lfunc_end73:
	.size	_Z21exclusive_scan_kernelILj377ELN6hipcub18BlockScanAlgorithmE1EiEvPT1_S2_, .Lfunc_end73-_Z21exclusive_scan_kernelILj377ELN6hipcub18BlockScanAlgorithmE1EiEvPT1_S2_
                                        ; -- End function
	.section	.AMDGPU.csdata,"",@progbits
; Kernel info:
; codeLenInByte = 644
; NumSgprs: 18
; NumVgprs: 23
; ScratchSize: 0
; MemoryBound: 0
; FloatMode: 240
; IeeeMode: 1
; LDSByteSize: 1536 bytes/workgroup (compile time only)
; SGPRBlocks: 2
; VGPRBlocks: 2
; NumSGPRsForWavesPerEU: 18
; NumVGPRsForWavesPerEU: 23
; Occupancy: 15
; WaveLimiterHint : 0
; COMPUTE_PGM_RSRC2:SCRATCH_EN: 0
; COMPUTE_PGM_RSRC2:USER_SGPR: 15
; COMPUTE_PGM_RSRC2:TRAP_HANDLER: 0
; COMPUTE_PGM_RSRC2:TGID_X_EN: 1
; COMPUTE_PGM_RSRC2:TGID_Y_EN: 0
; COMPUTE_PGM_RSRC2:TGID_Z_EN: 0
; COMPUTE_PGM_RSRC2:TIDIG_COMP_CNT: 0
	.section	.text._Z21exclusive_scan_kernelILj255ELN6hipcub18BlockScanAlgorithmE1EjEvPT1_S2_,"axG",@progbits,_Z21exclusive_scan_kernelILj255ELN6hipcub18BlockScanAlgorithmE1EjEvPT1_S2_,comdat
	.protected	_Z21exclusive_scan_kernelILj255ELN6hipcub18BlockScanAlgorithmE1EjEvPT1_S2_ ; -- Begin function _Z21exclusive_scan_kernelILj255ELN6hipcub18BlockScanAlgorithmE1EjEvPT1_S2_
	.globl	_Z21exclusive_scan_kernelILj255ELN6hipcub18BlockScanAlgorithmE1EjEvPT1_S2_
	.p2align	8
	.type	_Z21exclusive_scan_kernelILj255ELN6hipcub18BlockScanAlgorithmE1EjEvPT1_S2_,@function
_Z21exclusive_scan_kernelILj255ELN6hipcub18BlockScanAlgorithmE1EjEvPT1_S2_: ; @_Z21exclusive_scan_kernelILj255ELN6hipcub18BlockScanAlgorithmE1EjEvPT1_S2_
; %bb.0:
	s_load_b64 s[2:3], s[0:1], 0x0
	v_mad_u64_u32 v[1:2], null, 0xff, s15, v[0:1]
	v_mov_b32_e32 v2, 0
	v_lshrrev_b32_e32 v4, 5, v0
	s_delay_alu instid0(VALU_DEP_1) | instskip(NEXT) | instid1(VALU_DEP_3)
	v_add_lshl_u32 v4, v4, v0, 2
	v_lshlrev_b64 v[1:2], 2, v[1:2]
	s_waitcnt lgkmcnt(0)
	s_delay_alu instid0(VALU_DEP_1) | instskip(NEXT) | instid1(VALU_DEP_2)
	v_add_co_u32 v1, vcc_lo, s2, v1
	v_add_co_ci_u32_e32 v2, vcc_lo, s3, v2, vcc_lo
	s_mov_b32 s2, exec_lo
	global_load_b32 v3, v[1:2], off
	s_waitcnt vmcnt(0)
	ds_store_b32 v4, v3
	s_waitcnt lgkmcnt(0)
	s_barrier
	buffer_gl0_inv
	v_cmpx_gt_u32_e32 32, v0
	s_cbranch_execz .LBB74_2
; %bb.1:
	v_and_b32_e32 v4, 0xfc, v0
	v_mbcnt_lo_u32_b32 v14, -1, 0
	s_delay_alu instid0(VALU_DEP_2) | instskip(NEXT) | instid1(VALU_DEP_2)
	v_lshl_or_b32 v12, v0, 5, v4
	v_add_nc_u32_e32 v17, -1, v14
	ds_load_2addr_b32 v[4:5], v12 offset1:1
	ds_load_2addr_b32 v[6:7], v12 offset0:2 offset1:3
	ds_load_2addr_b32 v[8:9], v12 offset0:4 offset1:5
	;; [unrolled: 1-line block ×3, first 2 shown]
	s_waitcnt lgkmcnt(3)
	v_add_nc_u32_e32 v13, v5, v4
	s_waitcnt lgkmcnt(2)
	s_delay_alu instid0(VALU_DEP_1) | instskip(SKIP_1) | instid1(VALU_DEP_1)
	v_add3_u32 v13, v13, v6, v7
	s_waitcnt lgkmcnt(1)
	v_add3_u32 v13, v13, v8, v9
	s_waitcnt lgkmcnt(0)
	s_delay_alu instid0(VALU_DEP_1) | instskip(NEXT) | instid1(VALU_DEP_1)
	v_add3_u32 v13, v13, v10, v11
	v_mov_b32_dpp v16, v13 row_shr:1 row_mask:0xf bank_mask:0xf
	v_and_b32_e32 v15, 15, v14
	s_delay_alu instid0(VALU_DEP_1) | instskip(NEXT) | instid1(VALU_DEP_3)
	v_cmp_ne_u32_e32 vcc_lo, 0, v15
	v_cndmask_b32_e32 v16, 0, v16, vcc_lo
	v_cmp_lt_u32_e32 vcc_lo, 1, v15
	s_delay_alu instid0(VALU_DEP_2) | instskip(NEXT) | instid1(VALU_DEP_1)
	v_add_nc_u32_e32 v13, v16, v13
	v_mov_b32_dpp v16, v13 row_shr:2 row_mask:0xf bank_mask:0xf
	s_delay_alu instid0(VALU_DEP_1) | instskip(SKIP_1) | instid1(VALU_DEP_2)
	v_cndmask_b32_e32 v16, 0, v16, vcc_lo
	v_cmp_lt_u32_e32 vcc_lo, 3, v15
	v_add_nc_u32_e32 v13, v13, v16
	s_delay_alu instid0(VALU_DEP_1) | instskip(NEXT) | instid1(VALU_DEP_1)
	v_mov_b32_dpp v16, v13 row_shr:4 row_mask:0xf bank_mask:0xf
	v_cndmask_b32_e32 v16, 0, v16, vcc_lo
	v_cmp_lt_u32_e32 vcc_lo, 7, v15
	s_delay_alu instid0(VALU_DEP_2) | instskip(NEXT) | instid1(VALU_DEP_1)
	v_add_nc_u32_e32 v13, v13, v16
	v_mov_b32_dpp v16, v13 row_shr:8 row_mask:0xf bank_mask:0xf
	s_delay_alu instid0(VALU_DEP_1) | instskip(SKIP_3) | instid1(VALU_DEP_4)
	v_cndmask_b32_e32 v15, 0, v16, vcc_lo
	v_cmp_gt_i32_e32 vcc_lo, 0, v17
	v_bfe_i32 v16, v14, 4, 1
	v_cndmask_b32_e32 v14, v17, v14, vcc_lo
	v_add_nc_u32_e32 v13, v13, v15
	v_cmp_eq_u32_e32 vcc_lo, 0, v0
	s_delay_alu instid0(VALU_DEP_3) | instskip(SKIP_3) | instid1(VALU_DEP_1)
	v_lshlrev_b32_e32 v14, 2, v14
	ds_swizzle_b32 v15, v13 offset:swizzle(BROADCAST,32,15)
	s_waitcnt lgkmcnt(0)
	v_and_b32_e32 v15, v16, v15
	v_add_nc_u32_e32 v13, v13, v15
	ds_bpermute_b32 v13, v14, v13
	s_waitcnt lgkmcnt(0)
	v_add_nc_u32_e32 v4, v13, v4
	s_delay_alu instid0(VALU_DEP_1) | instskip(NEXT) | instid1(VALU_DEP_1)
	v_cndmask_b32_e32 v3, v4, v3, vcc_lo
	v_add_nc_u32_e32 v4, v3, v5
	s_delay_alu instid0(VALU_DEP_1) | instskip(NEXT) | instid1(VALU_DEP_1)
	v_add_nc_u32_e32 v5, v4, v6
	v_add_nc_u32_e32 v6, v5, v7
	s_delay_alu instid0(VALU_DEP_1) | instskip(NEXT) | instid1(VALU_DEP_1)
	v_add_nc_u32_e32 v7, v6, v8
	;; [unrolled: 3-line block ×3, first 2 shown]
	v_add_nc_u32_e32 v10, v9, v11
	ds_store_2addr_b32 v12, v3, v4 offset1:1
	ds_store_2addr_b32 v12, v5, v6 offset0:2 offset1:3
	ds_store_2addr_b32 v12, v7, v8 offset0:4 offset1:5
	;; [unrolled: 1-line block ×3, first 2 shown]
.LBB74_2:
	s_or_b32 exec_lo, exec_lo, s2
	s_load_b32 s0, s[0:1], 0x8
	s_mov_b32 s1, exec_lo
	s_waitcnt lgkmcnt(0)
	s_barrier
	buffer_gl0_inv
	v_mov_b32_e32 v3, s0
	v_cmpx_ne_u32_e32 0, v0
	s_cbranch_execz .LBB74_4
; %bb.3:
	v_add_nc_u32_e32 v0, -1, v0
	s_delay_alu instid0(VALU_DEP_1) | instskip(NEXT) | instid1(VALU_DEP_1)
	v_lshrrev_b32_e32 v3, 5, v0
	v_add_lshl_u32 v0, v3, v0, 2
	ds_load_b32 v0, v0
	s_waitcnt lgkmcnt(0)
	v_add_nc_u32_e32 v3, s0, v0
.LBB74_4:
	s_or_b32 exec_lo, exec_lo, s1
	global_store_b32 v[1:2], v3, off
	s_nop 0
	s_sendmsg sendmsg(MSG_DEALLOC_VGPRS)
	s_endpgm
	.section	.rodata,"a",@progbits
	.p2align	6, 0x0
	.amdhsa_kernel _Z21exclusive_scan_kernelILj255ELN6hipcub18BlockScanAlgorithmE1EjEvPT1_S2_
		.amdhsa_group_segment_fixed_size 1056
		.amdhsa_private_segment_fixed_size 0
		.amdhsa_kernarg_size 12
		.amdhsa_user_sgpr_count 15
		.amdhsa_user_sgpr_dispatch_ptr 0
		.amdhsa_user_sgpr_queue_ptr 0
		.amdhsa_user_sgpr_kernarg_segment_ptr 1
		.amdhsa_user_sgpr_dispatch_id 0
		.amdhsa_user_sgpr_private_segment_size 0
		.amdhsa_wavefront_size32 1
		.amdhsa_uses_dynamic_stack 0
		.amdhsa_enable_private_segment 0
		.amdhsa_system_sgpr_workgroup_id_x 1
		.amdhsa_system_sgpr_workgroup_id_y 0
		.amdhsa_system_sgpr_workgroup_id_z 0
		.amdhsa_system_sgpr_workgroup_info 0
		.amdhsa_system_vgpr_workitem_id 0
		.amdhsa_next_free_vgpr 18
		.amdhsa_next_free_sgpr 16
		.amdhsa_reserve_vcc 1
		.amdhsa_float_round_mode_32 0
		.amdhsa_float_round_mode_16_64 0
		.amdhsa_float_denorm_mode_32 3
		.amdhsa_float_denorm_mode_16_64 3
		.amdhsa_dx10_clamp 1
		.amdhsa_ieee_mode 1
		.amdhsa_fp16_overflow 0
		.amdhsa_workgroup_processor_mode 1
		.amdhsa_memory_ordered 1
		.amdhsa_forward_progress 0
		.amdhsa_shared_vgpr_count 0
		.amdhsa_exception_fp_ieee_invalid_op 0
		.amdhsa_exception_fp_denorm_src 0
		.amdhsa_exception_fp_ieee_div_zero 0
		.amdhsa_exception_fp_ieee_overflow 0
		.amdhsa_exception_fp_ieee_underflow 0
		.amdhsa_exception_fp_ieee_inexact 0
		.amdhsa_exception_int_div_zero 0
	.end_amdhsa_kernel
	.section	.text._Z21exclusive_scan_kernelILj255ELN6hipcub18BlockScanAlgorithmE1EjEvPT1_S2_,"axG",@progbits,_Z21exclusive_scan_kernelILj255ELN6hipcub18BlockScanAlgorithmE1EjEvPT1_S2_,comdat
.Lfunc_end74:
	.size	_Z21exclusive_scan_kernelILj255ELN6hipcub18BlockScanAlgorithmE1EjEvPT1_S2_, .Lfunc_end74-_Z21exclusive_scan_kernelILj255ELN6hipcub18BlockScanAlgorithmE1EjEvPT1_S2_
                                        ; -- End function
	.section	.AMDGPU.csdata,"",@progbits
; Kernel info:
; codeLenInByte = 588
; NumSgprs: 18
; NumVgprs: 18
; ScratchSize: 0
; MemoryBound: 0
; FloatMode: 240
; IeeeMode: 1
; LDSByteSize: 1056 bytes/workgroup (compile time only)
; SGPRBlocks: 2
; VGPRBlocks: 2
; NumSGPRsForWavesPerEU: 18
; NumVGPRsForWavesPerEU: 18
; Occupancy: 16
; WaveLimiterHint : 0
; COMPUTE_PGM_RSRC2:SCRATCH_EN: 0
; COMPUTE_PGM_RSRC2:USER_SGPR: 15
; COMPUTE_PGM_RSRC2:TRAP_HANDLER: 0
; COMPUTE_PGM_RSRC2:TGID_X_EN: 1
; COMPUTE_PGM_RSRC2:TGID_Y_EN: 0
; COMPUTE_PGM_RSRC2:TGID_Z_EN: 0
; COMPUTE_PGM_RSRC2:TIDIG_COMP_CNT: 0
	.section	.text._Z21exclusive_scan_kernelILj162ELN6hipcub18BlockScanAlgorithmE1EsEvPT1_S2_,"axG",@progbits,_Z21exclusive_scan_kernelILj162ELN6hipcub18BlockScanAlgorithmE1EsEvPT1_S2_,comdat
	.protected	_Z21exclusive_scan_kernelILj162ELN6hipcub18BlockScanAlgorithmE1EsEvPT1_S2_ ; -- Begin function _Z21exclusive_scan_kernelILj162ELN6hipcub18BlockScanAlgorithmE1EsEvPT1_S2_
	.globl	_Z21exclusive_scan_kernelILj162ELN6hipcub18BlockScanAlgorithmE1EsEvPT1_S2_
	.p2align	8
	.type	_Z21exclusive_scan_kernelILj162ELN6hipcub18BlockScanAlgorithmE1EsEvPT1_S2_,@function
_Z21exclusive_scan_kernelILj162ELN6hipcub18BlockScanAlgorithmE1EsEvPT1_S2_: ; @_Z21exclusive_scan_kernelILj162ELN6hipcub18BlockScanAlgorithmE1EsEvPT1_S2_
; %bb.0:
	s_load_b64 s[2:3], s[0:1], 0x0
	v_mad_u64_u32 v[1:2], null, 0xa2, s15, v[0:1]
	v_dual_mov_b32 v2, 0 :: v_dual_lshlrev_b32 v3, 1, v0
	s_delay_alu instid0(VALU_DEP_1) | instskip(SKIP_1) | instid1(VALU_DEP_1)
	v_lshlrev_b64 v[1:2], 1, v[1:2]
	s_waitcnt lgkmcnt(0)
	v_add_co_u32 v1, vcc_lo, s2, v1
	s_delay_alu instid0(VALU_DEP_2)
	v_add_co_ci_u32_e32 v2, vcc_lo, s3, v2, vcc_lo
	s_mov_b32 s2, exec_lo
	global_load_u16 v4, v[1:2], off
	s_waitcnt vmcnt(0)
	ds_store_b16 v3, v4
	s_waitcnt lgkmcnt(0)
	s_barrier
	buffer_gl0_inv
	v_cmpx_gt_u32_e32 32, v0
	s_cbranch_execz .LBB75_2
; %bb.1:
	v_mul_u32_u24_e32 v5, 6, v0
	v_mbcnt_lo_u32_b32 v13, -1, 0
	s_delay_alu instid0(VALU_DEP_2)
	v_lshlrev_b32_e32 v8, 1, v5
	ds_load_b96 v[5:7], v8
	s_waitcnt lgkmcnt(0)
	v_lshrrev_b32_e32 v9, 16, v5
	v_lshrrev_b32_e32 v11, 16, v6
	;; [unrolled: 1-line block ×3, first 2 shown]
	s_delay_alu instid0(VALU_DEP_3) | instskip(NEXT) | instid1(VALU_DEP_1)
	v_add_nc_u16 v10, v9, v5
	v_add_nc_u16 v10, v10, v6
	s_delay_alu instid0(VALU_DEP_1) | instskip(NEXT) | instid1(VALU_DEP_1)
	v_add_nc_u16 v10, v10, v11
	v_add_nc_u16 v10, v10, v7
	s_delay_alu instid0(VALU_DEP_1) | instskip(NEXT) | instid1(VALU_DEP_1)
	v_add_nc_u16 v10, v10, v12
	v_and_b32_e32 v14, 0xffff, v10
	s_delay_alu instid0(VALU_DEP_1) | instskip(SKIP_1) | instid1(VALU_DEP_1)
	v_mov_b32_dpp v14, v14 row_shr:1 row_mask:0xf bank_mask:0xf
	v_and_b32_e32 v15, 15, v13
	v_cmp_ne_u32_e32 vcc_lo, 0, v15
	s_delay_alu instid0(VALU_DEP_3) | instskip(SKIP_1) | instid1(VALU_DEP_2)
	v_cndmask_b32_e32 v14, 0, v14, vcc_lo
	v_cmp_lt_u32_e32 vcc_lo, 1, v15
	v_add_nc_u16 v10, v14, v10
	s_delay_alu instid0(VALU_DEP_1) | instskip(NEXT) | instid1(VALU_DEP_1)
	v_and_b32_e32 v14, 0xffff, v10
	v_mov_b32_dpp v14, v14 row_shr:2 row_mask:0xf bank_mask:0xf
	s_delay_alu instid0(VALU_DEP_1) | instskip(SKIP_1) | instid1(VALU_DEP_2)
	v_cndmask_b32_e32 v14, 0, v14, vcc_lo
	v_cmp_lt_u32_e32 vcc_lo, 3, v15
	v_add_nc_u16 v10, v10, v14
	s_delay_alu instid0(VALU_DEP_1) | instskip(NEXT) | instid1(VALU_DEP_1)
	v_and_b32_e32 v14, 0xffff, v10
	v_mov_b32_dpp v14, v14 row_shr:4 row_mask:0xf bank_mask:0xf
	s_delay_alu instid0(VALU_DEP_1) | instskip(SKIP_2) | instid1(VALU_DEP_3)
	v_cndmask_b32_e32 v14, 0, v14, vcc_lo
	v_cmp_lt_u32_e32 vcc_lo, 7, v15
	v_and_b32_e32 v15, 16, v13
	v_add_nc_u16 v10, v10, v14
	s_delay_alu instid0(VALU_DEP_1) | instskip(NEXT) | instid1(VALU_DEP_1)
	v_and_b32_e32 v14, 0xffff, v10
	v_mov_b32_dpp v14, v14 row_shr:8 row_mask:0xf bank_mask:0xf
	s_delay_alu instid0(VALU_DEP_1) | instskip(SKIP_2) | instid1(VALU_DEP_3)
	v_cndmask_b32_e32 v14, 0, v14, vcc_lo
	v_cmp_ne_u32_e32 vcc_lo, 0, v15
	v_add_nc_u32_e32 v15, -1, v13
	v_add_nc_u16 v10, v10, v14
	s_delay_alu instid0(VALU_DEP_1) | instskip(SKIP_4) | instid1(VALU_DEP_2)
	v_and_b32_e32 v14, 0xffff, v10
	ds_swizzle_b32 v14, v14 offset:swizzle(BROADCAST,32,15)
	s_waitcnt lgkmcnt(0)
	v_cndmask_b32_e32 v14, 0, v14, vcc_lo
	v_cmp_gt_i32_e32 vcc_lo, 0, v15
	v_add_nc_u16 v10, v10, v14
	v_cndmask_b32_e32 v13, v15, v13, vcc_lo
	v_cmp_eq_u32_e32 vcc_lo, 0, v0
	s_delay_alu instid0(VALU_DEP_3) | instskip(NEXT) | instid1(VALU_DEP_3)
	v_and_b32_e32 v10, 0xffff, v10
	v_lshlrev_b32_e32 v13, 2, v13
	ds_bpermute_b32 v10, v13, v10
	s_waitcnt lgkmcnt(0)
	v_add_nc_u16 v5, v5, v10
	s_delay_alu instid0(VALU_DEP_1) | instskip(NEXT) | instid1(VALU_DEP_1)
	v_cndmask_b32_e32 v4, v5, v4, vcc_lo
	v_add_nc_u16 v5, v4, v9
	s_delay_alu instid0(VALU_DEP_1) | instskip(SKIP_1) | instid1(VALU_DEP_2)
	v_add_nc_u16 v6, v5, v6
	v_perm_b32 v4, v5, v4, 0x5040100
	v_add_nc_u16 v9, v6, v11
	s_delay_alu instid0(VALU_DEP_1) | instskip(SKIP_1) | instid1(VALU_DEP_2)
	v_add_nc_u16 v7, v9, v7
	v_perm_b32 v5, v9, v6, 0x5040100
	v_add_nc_u16 v10, v7, v12
	s_delay_alu instid0(VALU_DEP_1)
	v_perm_b32 v6, v10, v7, 0x5040100
	ds_store_b96 v8, v[4:6]
.LBB75_2:
	s_or_b32 exec_lo, exec_lo, s2
	s_load_b32 s0, s[0:1], 0x8
	v_cmp_ne_u32_e32 vcc_lo, 0, v0
	s_waitcnt lgkmcnt(0)
	s_barrier
	buffer_gl0_inv
	v_mov_b32_e32 v0, s0
	s_and_saveexec_b32 s1, vcc_lo
	s_cbranch_execz .LBB75_4
; %bb.3:
	v_add_nc_u32_e32 v0, -2, v3
	ds_load_u16 v0, v0
	s_waitcnt lgkmcnt(0)
	v_add_nc_u16 v0, v0, s0
.LBB75_4:
	s_or_b32 exec_lo, exec_lo, s1
	global_store_b16 v[1:2], v0, off
	s_nop 0
	s_sendmsg sendmsg(MSG_DEALLOC_VGPRS)
	s_endpgm
	.section	.rodata,"a",@progbits
	.p2align	6, 0x0
	.amdhsa_kernel _Z21exclusive_scan_kernelILj162ELN6hipcub18BlockScanAlgorithmE1EsEvPT1_S2_
		.amdhsa_group_segment_fixed_size 384
		.amdhsa_private_segment_fixed_size 0
		.amdhsa_kernarg_size 12
		.amdhsa_user_sgpr_count 15
		.amdhsa_user_sgpr_dispatch_ptr 0
		.amdhsa_user_sgpr_queue_ptr 0
		.amdhsa_user_sgpr_kernarg_segment_ptr 1
		.amdhsa_user_sgpr_dispatch_id 0
		.amdhsa_user_sgpr_private_segment_size 0
		.amdhsa_wavefront_size32 1
		.amdhsa_uses_dynamic_stack 0
		.amdhsa_enable_private_segment 0
		.amdhsa_system_sgpr_workgroup_id_x 1
		.amdhsa_system_sgpr_workgroup_id_y 0
		.amdhsa_system_sgpr_workgroup_id_z 0
		.amdhsa_system_sgpr_workgroup_info 0
		.amdhsa_system_vgpr_workitem_id 0
		.amdhsa_next_free_vgpr 16
		.amdhsa_next_free_sgpr 16
		.amdhsa_reserve_vcc 1
		.amdhsa_float_round_mode_32 0
		.amdhsa_float_round_mode_16_64 0
		.amdhsa_float_denorm_mode_32 3
		.amdhsa_float_denorm_mode_16_64 3
		.amdhsa_dx10_clamp 1
		.amdhsa_ieee_mode 1
		.amdhsa_fp16_overflow 0
		.amdhsa_workgroup_processor_mode 1
		.amdhsa_memory_ordered 1
		.amdhsa_forward_progress 0
		.amdhsa_shared_vgpr_count 0
		.amdhsa_exception_fp_ieee_invalid_op 0
		.amdhsa_exception_fp_denorm_src 0
		.amdhsa_exception_fp_ieee_div_zero 0
		.amdhsa_exception_fp_ieee_overflow 0
		.amdhsa_exception_fp_ieee_underflow 0
		.amdhsa_exception_fp_ieee_inexact 0
		.amdhsa_exception_int_div_zero 0
	.end_amdhsa_kernel
	.section	.text._Z21exclusive_scan_kernelILj162ELN6hipcub18BlockScanAlgorithmE1EsEvPT1_S2_,"axG",@progbits,_Z21exclusive_scan_kernelILj162ELN6hipcub18BlockScanAlgorithmE1EsEvPT1_S2_,comdat
.Lfunc_end75:
	.size	_Z21exclusive_scan_kernelILj162ELN6hipcub18BlockScanAlgorithmE1EsEvPT1_S2_, .Lfunc_end75-_Z21exclusive_scan_kernelILj162ELN6hipcub18BlockScanAlgorithmE1EsEvPT1_S2_
                                        ; -- End function
	.section	.AMDGPU.csdata,"",@progbits
; Kernel info:
; codeLenInByte = 660
; NumSgprs: 18
; NumVgprs: 16
; ScratchSize: 0
; MemoryBound: 0
; FloatMode: 240
; IeeeMode: 1
; LDSByteSize: 384 bytes/workgroup (compile time only)
; SGPRBlocks: 2
; VGPRBlocks: 1
; NumSGPRsForWavesPerEU: 18
; NumVGPRsForWavesPerEU: 16
; Occupancy: 15
; WaveLimiterHint : 0
; COMPUTE_PGM_RSRC2:SCRATCH_EN: 0
; COMPUTE_PGM_RSRC2:USER_SGPR: 15
; COMPUTE_PGM_RSRC2:TRAP_HANDLER: 0
; COMPUTE_PGM_RSRC2:TGID_X_EN: 1
; COMPUTE_PGM_RSRC2:TGID_Y_EN: 0
; COMPUTE_PGM_RSRC2:TGID_Z_EN: 0
; COMPUTE_PGM_RSRC2:TIDIG_COMP_CNT: 0
	.section	.text._Z21exclusive_scan_kernelILj37ELN6hipcub18BlockScanAlgorithmE1ElEvPT1_S2_,"axG",@progbits,_Z21exclusive_scan_kernelILj37ELN6hipcub18BlockScanAlgorithmE1ElEvPT1_S2_,comdat
	.protected	_Z21exclusive_scan_kernelILj37ELN6hipcub18BlockScanAlgorithmE1ElEvPT1_S2_ ; -- Begin function _Z21exclusive_scan_kernelILj37ELN6hipcub18BlockScanAlgorithmE1ElEvPT1_S2_
	.globl	_Z21exclusive_scan_kernelILj37ELN6hipcub18BlockScanAlgorithmE1ElEvPT1_S2_
	.p2align	8
	.type	_Z21exclusive_scan_kernelILj37ELN6hipcub18BlockScanAlgorithmE1ElEvPT1_S2_,@function
_Z21exclusive_scan_kernelILj37ELN6hipcub18BlockScanAlgorithmE1ElEvPT1_S2_: ; @_Z21exclusive_scan_kernelILj37ELN6hipcub18BlockScanAlgorithmE1ElEvPT1_S2_
; %bb.0:
	s_load_b128 s[0:3], s[0:1], 0x0
	v_mad_u64_u32 v[1:2], null, s15, 37, v[0:1]
	v_mov_b32_e32 v2, 0
	s_delay_alu instid0(VALU_DEP_1) | instskip(SKIP_1) | instid1(VALU_DEP_1)
	v_lshlrev_b64 v[1:2], 3, v[1:2]
	s_waitcnt lgkmcnt(0)
	v_add_co_u32 v5, vcc_lo, s0, v1
	s_delay_alu instid0(VALU_DEP_2)
	v_add_co_ci_u32_e32 v6, vcc_lo, s1, v2, vcc_lo
	v_lshrrev_b32_e32 v1, 5, v0
	s_mov_b32 s0, exec_lo
	global_load_b64 v[7:8], v[5:6], off
	v_add_lshl_u32 v1, v1, v0, 3
	s_waitcnt vmcnt(0)
	ds_store_b64 v1, v[7:8]
	s_waitcnt lgkmcnt(0)
	s_barrier
	buffer_gl0_inv
	v_cmpx_gt_u32_e32 32, v0
	s_cbranch_execz .LBB76_10
; %bb.1:
	v_lshrrev_b32_e32 v1, 1, v0
	v_mbcnt_lo_u32_b32 v14, -1, 0
	s_mov_b32 s1, exec_lo
	s_delay_alu instid0(VALU_DEP_2) | instskip(NEXT) | instid1(VALU_DEP_2)
	v_and_b32_e32 v1, 24, v1
	v_and_b32_e32 v15, 15, v14
	s_delay_alu instid0(VALU_DEP_2) | instskip(SKIP_4) | instid1(VALU_DEP_2)
	v_lshl_or_b32 v13, v0, 4, v1
	ds_load_2addr_b64 v[1:4], v13 offset1:1
	s_waitcnt lgkmcnt(0)
	v_add_co_u32 v9, vcc_lo, v3, v1
	v_add_co_ci_u32_e32 v10, vcc_lo, v4, v2, vcc_lo
	v_mov_b32_dpp v17, v9 row_shr:1 row_mask:0xf bank_mask:0xf
	s_delay_alu instid0(VALU_DEP_2)
	v_mov_b32_e32 v12, v10
	v_mov_b32_dpp v16, v10 row_shr:1 row_mask:0xf bank_mask:0xf
	v_mov_b32_e32 v11, v9
	v_cmpx_ne_u32_e32 0, v15
; %bb.2:
	v_add_co_u32 v9, vcc_lo, v9, v17
	v_add_co_ci_u32_e32 v10, vcc_lo, 0, v10, vcc_lo
	s_delay_alu instid0(VALU_DEP_2) | instskip(NEXT) | instid1(VALU_DEP_2)
	v_add_co_u32 v11, vcc_lo, 0, v9
	v_add_co_ci_u32_e32 v12, vcc_lo, v16, v10, vcc_lo
	s_delay_alu instid0(VALU_DEP_1)
	v_mov_b32_e32 v10, v12
; %bb.3:
	s_or_b32 exec_lo, exec_lo, s1
	v_mov_b32_dpp v17, v9 row_shr:2 row_mask:0xf bank_mask:0xf
	s_delay_alu instid0(VALU_DEP_2)
	v_mov_b32_dpp v16, v10 row_shr:2 row_mask:0xf bank_mask:0xf
	s_mov_b32 s1, exec_lo
	v_cmpx_lt_u32_e32 1, v15
; %bb.4:
	s_delay_alu instid0(VALU_DEP_3) | instskip(SKIP_1) | instid1(VALU_DEP_2)
	v_add_co_u32 v9, vcc_lo, v11, v17
	v_add_co_ci_u32_e32 v10, vcc_lo, 0, v12, vcc_lo
	v_add_co_u32 v11, vcc_lo, 0, v9
	s_delay_alu instid0(VALU_DEP_2) | instskip(NEXT) | instid1(VALU_DEP_1)
	v_add_co_ci_u32_e32 v12, vcc_lo, v16, v10, vcc_lo
	v_mov_b32_e32 v10, v12
; %bb.5:
	s_or_b32 exec_lo, exec_lo, s1
	v_mov_b32_dpp v17, v9 row_shr:4 row_mask:0xf bank_mask:0xf
	s_delay_alu instid0(VALU_DEP_2)
	v_mov_b32_dpp v16, v10 row_shr:4 row_mask:0xf bank_mask:0xf
	s_mov_b32 s1, exec_lo
	v_cmpx_lt_u32_e32 3, v15
; %bb.6:
	s_delay_alu instid0(VALU_DEP_3) | instskip(SKIP_1) | instid1(VALU_DEP_2)
	v_add_co_u32 v9, vcc_lo, v11, v17
	v_add_co_ci_u32_e32 v10, vcc_lo, 0, v12, vcc_lo
	v_add_co_u32 v11, vcc_lo, 0, v9
	s_delay_alu instid0(VALU_DEP_2) | instskip(NEXT) | instid1(VALU_DEP_1)
	v_add_co_ci_u32_e32 v12, vcc_lo, v16, v10, vcc_lo
	;; [unrolled: 15-line block ×3, first 2 shown]
	v_mov_b32_e32 v10, v12
; %bb.9:
	s_or_b32 exec_lo, exec_lo, s1
	ds_swizzle_b32 v15, v9 offset:swizzle(BROADCAST,32,15)
	ds_swizzle_b32 v16, v10 offset:swizzle(BROADCAST,32,15)
	v_add_nc_u32_e32 v17, -1, v14
	v_and_b32_e32 v18, 16, v14
	s_delay_alu instid0(VALU_DEP_2)
	v_cmp_gt_i32_e32 vcc_lo, 0, v17
	v_cndmask_b32_e32 v14, v17, v14, vcc_lo
	s_waitcnt lgkmcnt(1)
	v_add_co_u32 v11, vcc_lo, v11, v15
	v_add_co_ci_u32_e32 v12, vcc_lo, 0, v12, vcc_lo
	v_cmp_eq_u32_e32 vcc_lo, 0, v18
	s_delay_alu instid0(VALU_DEP_3) | instskip(SKIP_1) | instid1(VALU_DEP_3)
	v_cndmask_b32_e32 v9, v11, v9, vcc_lo
	s_waitcnt lgkmcnt(0)
	v_add_nc_u32_e32 v11, v16, v12
	v_lshlrev_b32_e32 v14, 2, v14
	s_delay_alu instid0(VALU_DEP_2)
	v_cndmask_b32_e32 v10, v11, v10, vcc_lo
	ds_bpermute_b32 v9, v14, v9
	ds_bpermute_b32 v10, v14, v10
	s_waitcnt lgkmcnt(1)
	v_add_co_u32 v1, vcc_lo, v1, v9
	v_add_co_ci_u32_e32 v2, vcc_lo, 0, v2, vcc_lo
	s_delay_alu instid0(VALU_DEP_2) | instskip(SKIP_1) | instid1(VALU_DEP_2)
	v_add_co_u32 v1, vcc_lo, v1, 0
	s_waitcnt lgkmcnt(0)
	v_add_co_ci_u32_e32 v2, vcc_lo, v2, v10, vcc_lo
	v_cmp_eq_u32_e32 vcc_lo, 0, v0
	s_delay_alu instid0(VALU_DEP_2) | instskip(NEXT) | instid1(VALU_DEP_1)
	v_dual_cndmask_b32 v1, v1, v7 :: v_dual_cndmask_b32 v2, v2, v8
	v_add_co_u32 v3, vcc_lo, v1, v3
	s_delay_alu instid0(VALU_DEP_2)
	v_add_co_ci_u32_e32 v4, vcc_lo, v2, v4, vcc_lo
	ds_store_2addr_b64 v13, v[1:2], v[3:4] offset1:1
.LBB76_10:
	s_or_b32 exec_lo, exec_lo, s0
	v_dual_mov_b32 v1, s2 :: v_dual_mov_b32 v2, s3
	s_mov_b32 s0, exec_lo
	s_waitcnt lgkmcnt(0)
	s_barrier
	buffer_gl0_inv
	v_cmpx_ne_u32_e32 0, v0
	s_cbranch_execz .LBB76_12
; %bb.11:
	v_add_nc_u32_e32 v0, -1, v0
	s_delay_alu instid0(VALU_DEP_1) | instskip(NEXT) | instid1(VALU_DEP_1)
	v_lshrrev_b32_e32 v1, 5, v0
	v_add_lshl_u32 v0, v1, v0, 3
	ds_load_b64 v[1:2], v0
	s_waitcnt lgkmcnt(0)
	v_add_co_u32 v1, vcc_lo, v1, s2
	v_add_co_ci_u32_e32 v2, vcc_lo, s3, v2, vcc_lo
.LBB76_12:
	s_or_b32 exec_lo, exec_lo, s0
	global_store_b64 v[5:6], v[1:2], off
	s_nop 0
	s_sendmsg sendmsg(MSG_DEALLOC_VGPRS)
	s_endpgm
	.section	.rodata,"a",@progbits
	.p2align	6, 0x0
	.amdhsa_kernel _Z21exclusive_scan_kernelILj37ELN6hipcub18BlockScanAlgorithmE1ElEvPT1_S2_
		.amdhsa_group_segment_fixed_size 528
		.amdhsa_private_segment_fixed_size 0
		.amdhsa_kernarg_size 16
		.amdhsa_user_sgpr_count 15
		.amdhsa_user_sgpr_dispatch_ptr 0
		.amdhsa_user_sgpr_queue_ptr 0
		.amdhsa_user_sgpr_kernarg_segment_ptr 1
		.amdhsa_user_sgpr_dispatch_id 0
		.amdhsa_user_sgpr_private_segment_size 0
		.amdhsa_wavefront_size32 1
		.amdhsa_uses_dynamic_stack 0
		.amdhsa_enable_private_segment 0
		.amdhsa_system_sgpr_workgroup_id_x 1
		.amdhsa_system_sgpr_workgroup_id_y 0
		.amdhsa_system_sgpr_workgroup_id_z 0
		.amdhsa_system_sgpr_workgroup_info 0
		.amdhsa_system_vgpr_workitem_id 0
		.amdhsa_next_free_vgpr 19
		.amdhsa_next_free_sgpr 16
		.amdhsa_reserve_vcc 1
		.amdhsa_float_round_mode_32 0
		.amdhsa_float_round_mode_16_64 0
		.amdhsa_float_denorm_mode_32 3
		.amdhsa_float_denorm_mode_16_64 3
		.amdhsa_dx10_clamp 1
		.amdhsa_ieee_mode 1
		.amdhsa_fp16_overflow 0
		.amdhsa_workgroup_processor_mode 1
		.amdhsa_memory_ordered 1
		.amdhsa_forward_progress 0
		.amdhsa_shared_vgpr_count 0
		.amdhsa_exception_fp_ieee_invalid_op 0
		.amdhsa_exception_fp_denorm_src 0
		.amdhsa_exception_fp_ieee_div_zero 0
		.amdhsa_exception_fp_ieee_overflow 0
		.amdhsa_exception_fp_ieee_underflow 0
		.amdhsa_exception_fp_ieee_inexact 0
		.amdhsa_exception_int_div_zero 0
	.end_amdhsa_kernel
	.section	.text._Z21exclusive_scan_kernelILj37ELN6hipcub18BlockScanAlgorithmE1ElEvPT1_S2_,"axG",@progbits,_Z21exclusive_scan_kernelILj37ELN6hipcub18BlockScanAlgorithmE1ElEvPT1_S2_,comdat
.Lfunc_end76:
	.size	_Z21exclusive_scan_kernelILj37ELN6hipcub18BlockScanAlgorithmE1ElEvPT1_S2_, .Lfunc_end76-_Z21exclusive_scan_kernelILj37ELN6hipcub18BlockScanAlgorithmE1ElEvPT1_S2_
                                        ; -- End function
	.section	.AMDGPU.csdata,"",@progbits
; Kernel info:
; codeLenInByte = 736
; NumSgprs: 18
; NumVgprs: 19
; ScratchSize: 0
; MemoryBound: 0
; FloatMode: 240
; IeeeMode: 1
; LDSByteSize: 528 bytes/workgroup (compile time only)
; SGPRBlocks: 2
; VGPRBlocks: 2
; NumSGPRsForWavesPerEU: 18
; NumVGPRsForWavesPerEU: 19
; Occupancy: 16
; WaveLimiterHint : 0
; COMPUTE_PGM_RSRC2:SCRATCH_EN: 0
; COMPUTE_PGM_RSRC2:USER_SGPR: 15
; COMPUTE_PGM_RSRC2:TRAP_HANDLER: 0
; COMPUTE_PGM_RSRC2:TGID_X_EN: 1
; COMPUTE_PGM_RSRC2:TGID_Y_EN: 0
; COMPUTE_PGM_RSRC2:TGID_Z_EN: 0
; COMPUTE_PGM_RSRC2:TIDIG_COMP_CNT: 0
	.section	.text._Z21exclusive_scan_kernelILj65ELN6hipcub18BlockScanAlgorithmE1EmEvPT1_S2_,"axG",@progbits,_Z21exclusive_scan_kernelILj65ELN6hipcub18BlockScanAlgorithmE1EmEvPT1_S2_,comdat
	.protected	_Z21exclusive_scan_kernelILj65ELN6hipcub18BlockScanAlgorithmE1EmEvPT1_S2_ ; -- Begin function _Z21exclusive_scan_kernelILj65ELN6hipcub18BlockScanAlgorithmE1EmEvPT1_S2_
	.globl	_Z21exclusive_scan_kernelILj65ELN6hipcub18BlockScanAlgorithmE1EmEvPT1_S2_
	.p2align	8
	.type	_Z21exclusive_scan_kernelILj65ELN6hipcub18BlockScanAlgorithmE1EmEvPT1_S2_,@function
_Z21exclusive_scan_kernelILj65ELN6hipcub18BlockScanAlgorithmE1EmEvPT1_S2_: ; @_Z21exclusive_scan_kernelILj65ELN6hipcub18BlockScanAlgorithmE1EmEvPT1_S2_
; %bb.0:
	s_load_b128 s[0:3], s[0:1], 0x0
	v_mad_u64_u32 v[1:2], null, 0x41, s15, v[0:1]
	v_dual_mov_b32 v2, 0 :: v_dual_lshlrev_b32 v15, 3, v0
	s_delay_alu instid0(VALU_DEP_1) | instskip(SKIP_1) | instid1(VALU_DEP_1)
	v_lshlrev_b64 v[1:2], 3, v[1:2]
	s_waitcnt lgkmcnt(0)
	v_add_co_u32 v5, vcc_lo, s0, v1
	s_delay_alu instid0(VALU_DEP_2)
	v_add_co_ci_u32_e32 v6, vcc_lo, s1, v2, vcc_lo
	s_mov_b32 s0, exec_lo
	global_load_b64 v[7:8], v[5:6], off
	s_waitcnt vmcnt(0)
	ds_store_b64 v15, v[7:8]
	s_waitcnt lgkmcnt(0)
	s_barrier
	buffer_gl0_inv
	v_cmpx_gt_u32_e32 32, v0
	s_cbranch_execz .LBB77_10
; %bb.1:
	v_mul_u32_u24_e32 v1, 3, v0
	v_mbcnt_lo_u32_b32 v17, -1, 0
	s_mov_b32 s1, exec_lo
	s_delay_alu instid0(VALU_DEP_2) | instskip(NEXT) | instid1(VALU_DEP_2)
	v_lshlrev_b32_e32 v16, 3, v1
	v_and_b32_e32 v18, 15, v17
	ds_load_2addr_b64 v[1:4], v16 offset1:1
	ds_load_b64 v[9:10], v16 offset:16
	s_waitcnt lgkmcnt(1)
	v_add_co_u32 v11, vcc_lo, v3, v1
	v_add_co_ci_u32_e32 v12, vcc_lo, v4, v2, vcc_lo
	s_waitcnt lgkmcnt(0)
	s_delay_alu instid0(VALU_DEP_2) | instskip(NEXT) | instid1(VALU_DEP_2)
	v_add_co_u32 v11, vcc_lo, v11, v9
	v_add_co_ci_u32_e32 v12, vcc_lo, v12, v10, vcc_lo
	s_delay_alu instid0(VALU_DEP_2) | instskip(NEXT) | instid1(VALU_DEP_2)
	v_mov_b32_dpp v20, v11 row_shr:1 row_mask:0xf bank_mask:0xf
	v_dual_mov_b32 v14, v12 :: v_dual_mov_b32 v13, v11
	v_mov_b32_dpp v19, v12 row_shr:1 row_mask:0xf bank_mask:0xf
	v_cmpx_ne_u32_e32 0, v18
; %bb.2:
	s_delay_alu instid0(VALU_DEP_4) | instskip(SKIP_1) | instid1(VALU_DEP_2)
	v_add_co_u32 v11, vcc_lo, v11, v20
	v_add_co_ci_u32_e32 v12, vcc_lo, 0, v12, vcc_lo
	v_add_co_u32 v13, vcc_lo, 0, v11
	s_delay_alu instid0(VALU_DEP_2) | instskip(NEXT) | instid1(VALU_DEP_1)
	v_add_co_ci_u32_e32 v14, vcc_lo, v19, v12, vcc_lo
	v_mov_b32_e32 v12, v14
; %bb.3:
	s_or_b32 exec_lo, exec_lo, s1
	v_mov_b32_dpp v20, v11 row_shr:2 row_mask:0xf bank_mask:0xf
	s_delay_alu instid0(VALU_DEP_2)
	v_mov_b32_dpp v19, v12 row_shr:2 row_mask:0xf bank_mask:0xf
	s_mov_b32 s1, exec_lo
	v_cmpx_lt_u32_e32 1, v18
; %bb.4:
	s_delay_alu instid0(VALU_DEP_3) | instskip(SKIP_1) | instid1(VALU_DEP_2)
	v_add_co_u32 v11, vcc_lo, v13, v20
	v_add_co_ci_u32_e32 v12, vcc_lo, 0, v14, vcc_lo
	v_add_co_u32 v13, vcc_lo, 0, v11
	s_delay_alu instid0(VALU_DEP_2) | instskip(NEXT) | instid1(VALU_DEP_1)
	v_add_co_ci_u32_e32 v14, vcc_lo, v19, v12, vcc_lo
	v_mov_b32_e32 v12, v14
; %bb.5:
	s_or_b32 exec_lo, exec_lo, s1
	v_mov_b32_dpp v20, v11 row_shr:4 row_mask:0xf bank_mask:0xf
	s_delay_alu instid0(VALU_DEP_2)
	v_mov_b32_dpp v19, v12 row_shr:4 row_mask:0xf bank_mask:0xf
	s_mov_b32 s1, exec_lo
	v_cmpx_lt_u32_e32 3, v18
; %bb.6:
	s_delay_alu instid0(VALU_DEP_3) | instskip(SKIP_1) | instid1(VALU_DEP_2)
	;; [unrolled: 15-line block ×3, first 2 shown]
	v_add_co_u32 v11, vcc_lo, v13, v20
	v_add_co_ci_u32_e32 v12, vcc_lo, 0, v14, vcc_lo
	v_add_co_u32 v13, vcc_lo, 0, v11
	s_delay_alu instid0(VALU_DEP_2) | instskip(NEXT) | instid1(VALU_DEP_1)
	v_add_co_ci_u32_e32 v14, vcc_lo, v19, v12, vcc_lo
	v_mov_b32_e32 v12, v14
; %bb.9:
	s_or_b32 exec_lo, exec_lo, s1
	ds_swizzle_b32 v18, v11 offset:swizzle(BROADCAST,32,15)
	ds_swizzle_b32 v19, v12 offset:swizzle(BROADCAST,32,15)
	v_add_nc_u32_e32 v20, -1, v17
	v_and_b32_e32 v21, 16, v17
	s_delay_alu instid0(VALU_DEP_2) | instskip(SKIP_1) | instid1(VALU_DEP_1)
	v_cmp_gt_i32_e32 vcc_lo, 0, v20
	v_cndmask_b32_e32 v17, v20, v17, vcc_lo
	v_lshlrev_b32_e32 v17, 2, v17
	s_waitcnt lgkmcnt(1)
	v_add_co_u32 v13, vcc_lo, v13, v18
	v_add_co_ci_u32_e32 v14, vcc_lo, 0, v14, vcc_lo
	v_cmp_eq_u32_e32 vcc_lo, 0, v21
	s_delay_alu instid0(VALU_DEP_3) | instskip(SKIP_1) | instid1(VALU_DEP_3)
	v_cndmask_b32_e32 v11, v13, v11, vcc_lo
	s_waitcnt lgkmcnt(0)
	v_add_nc_u32_e32 v13, v19, v14
	ds_bpermute_b32 v11, v17, v11
	v_cndmask_b32_e32 v12, v13, v12, vcc_lo
	ds_bpermute_b32 v12, v17, v12
	s_waitcnt lgkmcnt(1)
	v_add_co_u32 v1, vcc_lo, v1, v11
	v_add_co_ci_u32_e32 v2, vcc_lo, 0, v2, vcc_lo
	s_delay_alu instid0(VALU_DEP_2) | instskip(SKIP_1) | instid1(VALU_DEP_2)
	v_add_co_u32 v1, vcc_lo, v1, 0
	s_waitcnt lgkmcnt(0)
	v_add_co_ci_u32_e32 v2, vcc_lo, v2, v12, vcc_lo
	v_cmp_eq_u32_e32 vcc_lo, 0, v0
	s_delay_alu instid0(VALU_DEP_2) | instskip(NEXT) | instid1(VALU_DEP_1)
	v_dual_cndmask_b32 v2, v2, v8 :: v_dual_cndmask_b32 v1, v1, v7
	v_add_co_u32 v3, vcc_lo, v1, v3
	s_delay_alu instid0(VALU_DEP_2) | instskip(NEXT) | instid1(VALU_DEP_2)
	v_add_co_ci_u32_e32 v4, vcc_lo, v2, v4, vcc_lo
	v_add_co_u32 v7, vcc_lo, v3, v9
	s_delay_alu instid0(VALU_DEP_2)
	v_add_co_ci_u32_e32 v8, vcc_lo, v4, v10, vcc_lo
	ds_store_2addr_b64 v16, v[1:2], v[3:4] offset1:1
	ds_store_b64 v16, v[7:8] offset:16
.LBB77_10:
	s_or_b32 exec_lo, exec_lo, s0
	v_cmp_ne_u32_e32 vcc_lo, 0, v0
	v_dual_mov_b32 v0, s2 :: v_dual_mov_b32 v1, s3
	s_waitcnt lgkmcnt(0)
	s_barrier
	buffer_gl0_inv
	s_and_saveexec_b32 s0, vcc_lo
	s_cbranch_execz .LBB77_12
; %bb.11:
	v_add_nc_u32_e32 v0, -8, v15
	ds_load_b64 v[0:1], v0
	s_waitcnt lgkmcnt(0)
	v_add_co_u32 v0, vcc_lo, v0, s2
	v_add_co_ci_u32_e32 v1, vcc_lo, s3, v1, vcc_lo
.LBB77_12:
	s_or_b32 exec_lo, exec_lo, s0
	global_store_b64 v[5:6], v[0:1], off
	s_nop 0
	s_sendmsg sendmsg(MSG_DEALLOC_VGPRS)
	s_endpgm
	.section	.rodata,"a",@progbits
	.p2align	6, 0x0
	.amdhsa_kernel _Z21exclusive_scan_kernelILj65ELN6hipcub18BlockScanAlgorithmE1EmEvPT1_S2_
		.amdhsa_group_segment_fixed_size 768
		.amdhsa_private_segment_fixed_size 0
		.amdhsa_kernarg_size 16
		.amdhsa_user_sgpr_count 15
		.amdhsa_user_sgpr_dispatch_ptr 0
		.amdhsa_user_sgpr_queue_ptr 0
		.amdhsa_user_sgpr_kernarg_segment_ptr 1
		.amdhsa_user_sgpr_dispatch_id 0
		.amdhsa_user_sgpr_private_segment_size 0
		.amdhsa_wavefront_size32 1
		.amdhsa_uses_dynamic_stack 0
		.amdhsa_enable_private_segment 0
		.amdhsa_system_sgpr_workgroup_id_x 1
		.amdhsa_system_sgpr_workgroup_id_y 0
		.amdhsa_system_sgpr_workgroup_id_z 0
		.amdhsa_system_sgpr_workgroup_info 0
		.amdhsa_system_vgpr_workitem_id 0
		.amdhsa_next_free_vgpr 22
		.amdhsa_next_free_sgpr 16
		.amdhsa_reserve_vcc 1
		.amdhsa_float_round_mode_32 0
		.amdhsa_float_round_mode_16_64 0
		.amdhsa_float_denorm_mode_32 3
		.amdhsa_float_denorm_mode_16_64 3
		.amdhsa_dx10_clamp 1
		.amdhsa_ieee_mode 1
		.amdhsa_fp16_overflow 0
		.amdhsa_workgroup_processor_mode 1
		.amdhsa_memory_ordered 1
		.amdhsa_forward_progress 0
		.amdhsa_shared_vgpr_count 0
		.amdhsa_exception_fp_ieee_invalid_op 0
		.amdhsa_exception_fp_denorm_src 0
		.amdhsa_exception_fp_ieee_div_zero 0
		.amdhsa_exception_fp_ieee_overflow 0
		.amdhsa_exception_fp_ieee_underflow 0
		.amdhsa_exception_fp_ieee_inexact 0
		.amdhsa_exception_int_div_zero 0
	.end_amdhsa_kernel
	.section	.text._Z21exclusive_scan_kernelILj65ELN6hipcub18BlockScanAlgorithmE1EmEvPT1_S2_,"axG",@progbits,_Z21exclusive_scan_kernelILj65ELN6hipcub18BlockScanAlgorithmE1EmEvPT1_S2_,comdat
.Lfunc_end77:
	.size	_Z21exclusive_scan_kernelILj65ELN6hipcub18BlockScanAlgorithmE1EmEvPT1_S2_, .Lfunc_end77-_Z21exclusive_scan_kernelILj65ELN6hipcub18BlockScanAlgorithmE1EmEvPT1_S2_
                                        ; -- End function
	.section	.AMDGPU.csdata,"",@progbits
; Kernel info:
; codeLenInByte = 752
; NumSgprs: 18
; NumVgprs: 22
; ScratchSize: 0
; MemoryBound: 0
; FloatMode: 240
; IeeeMode: 1
; LDSByteSize: 768 bytes/workgroup (compile time only)
; SGPRBlocks: 2
; VGPRBlocks: 2
; NumSGPRsForWavesPerEU: 18
; NumVGPRsForWavesPerEU: 22
; Occupancy: 16
; WaveLimiterHint : 0
; COMPUTE_PGM_RSRC2:SCRATCH_EN: 0
; COMPUTE_PGM_RSRC2:USER_SGPR: 15
; COMPUTE_PGM_RSRC2:TRAP_HANDLER: 0
; COMPUTE_PGM_RSRC2:TGID_X_EN: 1
; COMPUTE_PGM_RSRC2:TGID_Y_EN: 0
; COMPUTE_PGM_RSRC2:TGID_Z_EN: 0
; COMPUTE_PGM_RSRC2:TIDIG_COMP_CNT: 0
	.section	.text._Z21exclusive_scan_kernelILj512ELN6hipcub18BlockScanAlgorithmE1EiEvPT1_S2_,"axG",@progbits,_Z21exclusive_scan_kernelILj512ELN6hipcub18BlockScanAlgorithmE1EiEvPT1_S2_,comdat
	.protected	_Z21exclusive_scan_kernelILj512ELN6hipcub18BlockScanAlgorithmE1EiEvPT1_S2_ ; -- Begin function _Z21exclusive_scan_kernelILj512ELN6hipcub18BlockScanAlgorithmE1EiEvPT1_S2_
	.globl	_Z21exclusive_scan_kernelILj512ELN6hipcub18BlockScanAlgorithmE1EiEvPT1_S2_
	.p2align	8
	.type	_Z21exclusive_scan_kernelILj512ELN6hipcub18BlockScanAlgorithmE1EiEvPT1_S2_,@function
_Z21exclusive_scan_kernelILj512ELN6hipcub18BlockScanAlgorithmE1EiEvPT1_S2_: ; @_Z21exclusive_scan_kernelILj512ELN6hipcub18BlockScanAlgorithmE1EiEvPT1_S2_
; %bb.0:
	s_load_b64 s[2:3], s[0:1], 0x0
	v_mov_b32_e32 v2, 0
	v_lshl_or_b32 v1, s15, 9, v0
	v_lshrrev_b32_e32 v4, 5, v0
	s_delay_alu instid0(VALU_DEP_2) | instskip(NEXT) | instid1(VALU_DEP_2)
	v_lshlrev_b64 v[1:2], 2, v[1:2]
	v_add_lshl_u32 v4, v4, v0, 2
	s_waitcnt lgkmcnt(0)
	s_delay_alu instid0(VALU_DEP_2) | instskip(NEXT) | instid1(VALU_DEP_3)
	v_add_co_u32 v1, vcc_lo, s2, v1
	v_add_co_ci_u32_e32 v2, vcc_lo, s3, v2, vcc_lo
	s_mov_b32 s2, exec_lo
	global_load_b32 v3, v[1:2], off
	s_waitcnt vmcnt(0)
	ds_store_b32 v4, v3
	s_waitcnt lgkmcnt(0)
	s_barrier
	buffer_gl0_inv
	v_cmpx_gt_u32_e32 32, v0
	s_cbranch_execz .LBB78_2
; %bb.1:
	v_lshlrev_b32_e32 v4, 1, v0
	v_mbcnt_lo_u32_b32 v22, -1, 0
	s_delay_alu instid0(VALU_DEP_2) | instskip(NEXT) | instid1(VALU_DEP_2)
	v_and_b32_e32 v4, 0x3fc, v4
	v_bfe_i32 v25, v22, 4, 1
	s_delay_alu instid0(VALU_DEP_2)
	v_lshl_or_b32 v20, v0, 6, v4
	ds_load_2addr_b32 v[4:5], v20 offset1:1
	ds_load_2addr_b32 v[6:7], v20 offset0:2 offset1:3
	ds_load_2addr_b32 v[8:9], v20 offset0:4 offset1:5
	;; [unrolled: 1-line block ×4, first 2 shown]
	s_waitcnt lgkmcnt(4)
	v_add_nc_u32_e32 v14, v5, v4
	s_waitcnt lgkmcnt(3)
	s_delay_alu instid0(VALU_DEP_1)
	v_add3_u32 v16, v14, v6, v7
	ds_load_2addr_b32 v[14:15], v20 offset0:10 offset1:11
	s_waitcnt lgkmcnt(3)
	v_add3_u32 v21, v16, v8, v9
	ds_load_2addr_b32 v[16:17], v20 offset0:12 offset1:13
	ds_load_2addr_b32 v[18:19], v20 offset0:14 offset1:15
	s_waitcnt lgkmcnt(4)
	v_add3_u32 v21, v21, v10, v11
	s_waitcnt lgkmcnt(3)
	s_delay_alu instid0(VALU_DEP_1) | instskip(SKIP_1) | instid1(VALU_DEP_1)
	v_add3_u32 v21, v21, v12, v13
	s_waitcnt lgkmcnt(2)
	v_add3_u32 v21, v21, v14, v15
	s_waitcnt lgkmcnt(1)
	s_delay_alu instid0(VALU_DEP_1) | instskip(SKIP_1) | instid1(VALU_DEP_1)
	v_add3_u32 v21, v21, v16, v17
	s_waitcnt lgkmcnt(0)
	v_add3_u32 v21, v21, v18, v19
	s_delay_alu instid0(VALU_DEP_1) | instskip(SKIP_1) | instid1(VALU_DEP_1)
	v_mov_b32_dpp v24, v21 row_shr:1 row_mask:0xf bank_mask:0xf
	v_and_b32_e32 v23, 15, v22
	v_cmp_ne_u32_e32 vcc_lo, 0, v23
	s_delay_alu instid0(VALU_DEP_3) | instskip(SKIP_1) | instid1(VALU_DEP_2)
	v_cndmask_b32_e32 v24, 0, v24, vcc_lo
	v_cmp_lt_u32_e32 vcc_lo, 1, v23
	v_add_nc_u32_e32 v21, v24, v21
	s_delay_alu instid0(VALU_DEP_1) | instskip(NEXT) | instid1(VALU_DEP_1)
	v_mov_b32_dpp v24, v21 row_shr:2 row_mask:0xf bank_mask:0xf
	v_cndmask_b32_e32 v24, 0, v24, vcc_lo
	v_cmp_lt_u32_e32 vcc_lo, 3, v23
	s_delay_alu instid0(VALU_DEP_2) | instskip(NEXT) | instid1(VALU_DEP_1)
	v_add_nc_u32_e32 v21, v21, v24
	v_mov_b32_dpp v24, v21 row_shr:4 row_mask:0xf bank_mask:0xf
	s_delay_alu instid0(VALU_DEP_1) | instskip(SKIP_1) | instid1(VALU_DEP_2)
	v_cndmask_b32_e32 v24, 0, v24, vcc_lo
	v_cmp_lt_u32_e32 vcc_lo, 7, v23
	v_add_nc_u32_e32 v21, v21, v24
	s_delay_alu instid0(VALU_DEP_1) | instskip(NEXT) | instid1(VALU_DEP_1)
	v_mov_b32_dpp v24, v21 row_shr:8 row_mask:0xf bank_mask:0xf
	v_dual_cndmask_b32 v23, 0, v24 :: v_dual_add_nc_u32 v24, -1, v22
	s_delay_alu instid0(VALU_DEP_1) | instskip(NEXT) | instid1(VALU_DEP_2)
	v_add_nc_u32_e32 v21, v21, v23
	v_cmp_gt_i32_e32 vcc_lo, 0, v24
	ds_swizzle_b32 v23, v21 offset:swizzle(BROADCAST,32,15)
	v_cndmask_b32_e32 v22, v24, v22, vcc_lo
	v_cmp_eq_u32_e32 vcc_lo, 0, v0
	s_delay_alu instid0(VALU_DEP_2) | instskip(SKIP_2) | instid1(VALU_DEP_1)
	v_lshlrev_b32_e32 v22, 2, v22
	s_waitcnt lgkmcnt(0)
	v_and_b32_e32 v23, v25, v23
	v_add_nc_u32_e32 v21, v21, v23
	ds_bpermute_b32 v21, v22, v21
	s_waitcnt lgkmcnt(0)
	v_add_nc_u32_e32 v4, v21, v4
	s_delay_alu instid0(VALU_DEP_1) | instskip(NEXT) | instid1(VALU_DEP_1)
	v_cndmask_b32_e32 v3, v4, v3, vcc_lo
	v_add_nc_u32_e32 v4, v3, v5
	s_delay_alu instid0(VALU_DEP_1) | instskip(NEXT) | instid1(VALU_DEP_1)
	v_add_nc_u32_e32 v5, v4, v6
	v_add_nc_u32_e32 v6, v5, v7
	s_delay_alu instid0(VALU_DEP_1) | instskip(NEXT) | instid1(VALU_DEP_1)
	v_add_nc_u32_e32 v7, v6, v8
	;; [unrolled: 3-line block ×7, first 2 shown]
	v_add_nc_u32_e32 v18, v17, v19
	ds_store_2addr_b32 v20, v3, v4 offset1:1
	ds_store_2addr_b32 v20, v5, v6 offset0:2 offset1:3
	ds_store_2addr_b32 v20, v7, v8 offset0:4 offset1:5
	;; [unrolled: 1-line block ×7, first 2 shown]
.LBB78_2:
	s_or_b32 exec_lo, exec_lo, s2
	s_load_b32 s0, s[0:1], 0x8
	s_mov_b32 s1, exec_lo
	s_waitcnt lgkmcnt(0)
	s_barrier
	buffer_gl0_inv
	v_mov_b32_e32 v3, s0
	v_cmpx_ne_u32_e32 0, v0
	s_cbranch_execz .LBB78_4
; %bb.3:
	v_add_nc_u32_e32 v0, -1, v0
	s_delay_alu instid0(VALU_DEP_1) | instskip(NEXT) | instid1(VALU_DEP_1)
	v_lshrrev_b32_e32 v3, 5, v0
	v_add_lshl_u32 v0, v3, v0, 2
	ds_load_b32 v0, v0
	s_waitcnt lgkmcnt(0)
	v_add_nc_u32_e32 v3, s0, v0
.LBB78_4:
	s_or_b32 exec_lo, exec_lo, s1
	global_store_b32 v[1:2], v3, off
	s_nop 0
	s_sendmsg sendmsg(MSG_DEALLOC_VGPRS)
	s_endpgm
	.section	.rodata,"a",@progbits
	.p2align	6, 0x0
	.amdhsa_kernel _Z21exclusive_scan_kernelILj512ELN6hipcub18BlockScanAlgorithmE1EiEvPT1_S2_
		.amdhsa_group_segment_fixed_size 2112
		.amdhsa_private_segment_fixed_size 0
		.amdhsa_kernarg_size 12
		.amdhsa_user_sgpr_count 15
		.amdhsa_user_sgpr_dispatch_ptr 0
		.amdhsa_user_sgpr_queue_ptr 0
		.amdhsa_user_sgpr_kernarg_segment_ptr 1
		.amdhsa_user_sgpr_dispatch_id 0
		.amdhsa_user_sgpr_private_segment_size 0
		.amdhsa_wavefront_size32 1
		.amdhsa_uses_dynamic_stack 0
		.amdhsa_enable_private_segment 0
		.amdhsa_system_sgpr_workgroup_id_x 1
		.amdhsa_system_sgpr_workgroup_id_y 0
		.amdhsa_system_sgpr_workgroup_id_z 0
		.amdhsa_system_sgpr_workgroup_info 0
		.amdhsa_system_vgpr_workitem_id 0
		.amdhsa_next_free_vgpr 26
		.amdhsa_next_free_sgpr 16
		.amdhsa_reserve_vcc 1
		.amdhsa_float_round_mode_32 0
		.amdhsa_float_round_mode_16_64 0
		.amdhsa_float_denorm_mode_32 3
		.amdhsa_float_denorm_mode_16_64 3
		.amdhsa_dx10_clamp 1
		.amdhsa_ieee_mode 1
		.amdhsa_fp16_overflow 0
		.amdhsa_workgroup_processor_mode 1
		.amdhsa_memory_ordered 1
		.amdhsa_forward_progress 0
		.amdhsa_shared_vgpr_count 0
		.amdhsa_exception_fp_ieee_invalid_op 0
		.amdhsa_exception_fp_denorm_src 0
		.amdhsa_exception_fp_ieee_div_zero 0
		.amdhsa_exception_fp_ieee_overflow 0
		.amdhsa_exception_fp_ieee_underflow 0
		.amdhsa_exception_fp_ieee_inexact 0
		.amdhsa_exception_int_div_zero 0
	.end_amdhsa_kernel
	.section	.text._Z21exclusive_scan_kernelILj512ELN6hipcub18BlockScanAlgorithmE1EiEvPT1_S2_,"axG",@progbits,_Z21exclusive_scan_kernelILj512ELN6hipcub18BlockScanAlgorithmE1EiEvPT1_S2_,comdat
.Lfunc_end78:
	.size	_Z21exclusive_scan_kernelILj512ELN6hipcub18BlockScanAlgorithmE1EiEvPT1_S2_, .Lfunc_end78-_Z21exclusive_scan_kernelILj512ELN6hipcub18BlockScanAlgorithmE1EiEvPT1_S2_
                                        ; -- End function
	.section	.AMDGPU.csdata,"",@progbits
; Kernel info:
; codeLenInByte = 760
; NumSgprs: 18
; NumVgprs: 26
; ScratchSize: 0
; MemoryBound: 0
; FloatMode: 240
; IeeeMode: 1
; LDSByteSize: 2112 bytes/workgroup (compile time only)
; SGPRBlocks: 2
; VGPRBlocks: 3
; NumSGPRsForWavesPerEU: 18
; NumVGPRsForWavesPerEU: 26
; Occupancy: 16
; WaveLimiterHint : 0
; COMPUTE_PGM_RSRC2:SCRATCH_EN: 0
; COMPUTE_PGM_RSRC2:USER_SGPR: 15
; COMPUTE_PGM_RSRC2:TRAP_HANDLER: 0
; COMPUTE_PGM_RSRC2:TGID_X_EN: 1
; COMPUTE_PGM_RSRC2:TGID_Y_EN: 0
; COMPUTE_PGM_RSRC2:TGID_Z_EN: 0
; COMPUTE_PGM_RSRC2:TIDIG_COMP_CNT: 0
	.section	.text._Z21exclusive_scan_kernelILj256ELN6hipcub18BlockScanAlgorithmE1EiEvPT1_S2_,"axG",@progbits,_Z21exclusive_scan_kernelILj256ELN6hipcub18BlockScanAlgorithmE1EiEvPT1_S2_,comdat
	.protected	_Z21exclusive_scan_kernelILj256ELN6hipcub18BlockScanAlgorithmE1EiEvPT1_S2_ ; -- Begin function _Z21exclusive_scan_kernelILj256ELN6hipcub18BlockScanAlgorithmE1EiEvPT1_S2_
	.globl	_Z21exclusive_scan_kernelILj256ELN6hipcub18BlockScanAlgorithmE1EiEvPT1_S2_
	.p2align	8
	.type	_Z21exclusive_scan_kernelILj256ELN6hipcub18BlockScanAlgorithmE1EiEvPT1_S2_,@function
_Z21exclusive_scan_kernelILj256ELN6hipcub18BlockScanAlgorithmE1EiEvPT1_S2_: ; @_Z21exclusive_scan_kernelILj256ELN6hipcub18BlockScanAlgorithmE1EiEvPT1_S2_
; %bb.0:
	s_load_b64 s[2:3], s[0:1], 0x0
	v_mov_b32_e32 v2, 0
	v_lshl_or_b32 v1, s15, 8, v0
	v_lshrrev_b32_e32 v4, 5, v0
	s_delay_alu instid0(VALU_DEP_2) | instskip(NEXT) | instid1(VALU_DEP_2)
	v_lshlrev_b64 v[1:2], 2, v[1:2]
	v_add_lshl_u32 v4, v4, v0, 2
	s_waitcnt lgkmcnt(0)
	s_delay_alu instid0(VALU_DEP_2) | instskip(NEXT) | instid1(VALU_DEP_3)
	v_add_co_u32 v1, vcc_lo, s2, v1
	v_add_co_ci_u32_e32 v2, vcc_lo, s3, v2, vcc_lo
	s_mov_b32 s2, exec_lo
	global_load_b32 v3, v[1:2], off
	s_waitcnt vmcnt(0)
	ds_store_b32 v4, v3
	s_waitcnt lgkmcnt(0)
	s_barrier
	buffer_gl0_inv
	v_cmpx_gt_u32_e32 32, v0
	s_cbranch_execz .LBB79_2
; %bb.1:
	v_and_b32_e32 v4, 0xfc, v0
	v_mbcnt_lo_u32_b32 v14, -1, 0
	s_delay_alu instid0(VALU_DEP_2) | instskip(NEXT) | instid1(VALU_DEP_2)
	v_lshl_or_b32 v12, v0, 5, v4
	v_add_nc_u32_e32 v17, -1, v14
	ds_load_2addr_b32 v[4:5], v12 offset1:1
	ds_load_2addr_b32 v[6:7], v12 offset0:2 offset1:3
	ds_load_2addr_b32 v[8:9], v12 offset0:4 offset1:5
	;; [unrolled: 1-line block ×3, first 2 shown]
	s_waitcnt lgkmcnt(3)
	v_add_nc_u32_e32 v13, v5, v4
	s_waitcnt lgkmcnt(2)
	s_delay_alu instid0(VALU_DEP_1) | instskip(SKIP_1) | instid1(VALU_DEP_1)
	v_add3_u32 v13, v13, v6, v7
	s_waitcnt lgkmcnt(1)
	v_add3_u32 v13, v13, v8, v9
	s_waitcnt lgkmcnt(0)
	s_delay_alu instid0(VALU_DEP_1) | instskip(NEXT) | instid1(VALU_DEP_1)
	v_add3_u32 v13, v13, v10, v11
	v_mov_b32_dpp v16, v13 row_shr:1 row_mask:0xf bank_mask:0xf
	v_and_b32_e32 v15, 15, v14
	s_delay_alu instid0(VALU_DEP_1) | instskip(NEXT) | instid1(VALU_DEP_3)
	v_cmp_ne_u32_e32 vcc_lo, 0, v15
	v_cndmask_b32_e32 v16, 0, v16, vcc_lo
	v_cmp_lt_u32_e32 vcc_lo, 1, v15
	s_delay_alu instid0(VALU_DEP_2) | instskip(NEXT) | instid1(VALU_DEP_1)
	v_add_nc_u32_e32 v13, v16, v13
	v_mov_b32_dpp v16, v13 row_shr:2 row_mask:0xf bank_mask:0xf
	s_delay_alu instid0(VALU_DEP_1) | instskip(SKIP_1) | instid1(VALU_DEP_2)
	v_cndmask_b32_e32 v16, 0, v16, vcc_lo
	v_cmp_lt_u32_e32 vcc_lo, 3, v15
	v_add_nc_u32_e32 v13, v13, v16
	s_delay_alu instid0(VALU_DEP_1) | instskip(NEXT) | instid1(VALU_DEP_1)
	v_mov_b32_dpp v16, v13 row_shr:4 row_mask:0xf bank_mask:0xf
	v_cndmask_b32_e32 v16, 0, v16, vcc_lo
	v_cmp_lt_u32_e32 vcc_lo, 7, v15
	s_delay_alu instid0(VALU_DEP_2) | instskip(NEXT) | instid1(VALU_DEP_1)
	v_add_nc_u32_e32 v13, v13, v16
	v_mov_b32_dpp v16, v13 row_shr:8 row_mask:0xf bank_mask:0xf
	s_delay_alu instid0(VALU_DEP_1) | instskip(SKIP_3) | instid1(VALU_DEP_4)
	v_cndmask_b32_e32 v15, 0, v16, vcc_lo
	v_cmp_gt_i32_e32 vcc_lo, 0, v17
	v_bfe_i32 v16, v14, 4, 1
	v_cndmask_b32_e32 v14, v17, v14, vcc_lo
	v_add_nc_u32_e32 v13, v13, v15
	v_cmp_eq_u32_e32 vcc_lo, 0, v0
	s_delay_alu instid0(VALU_DEP_3) | instskip(SKIP_3) | instid1(VALU_DEP_1)
	v_lshlrev_b32_e32 v14, 2, v14
	ds_swizzle_b32 v15, v13 offset:swizzle(BROADCAST,32,15)
	s_waitcnt lgkmcnt(0)
	v_and_b32_e32 v15, v16, v15
	v_add_nc_u32_e32 v13, v13, v15
	ds_bpermute_b32 v13, v14, v13
	s_waitcnt lgkmcnt(0)
	v_add_nc_u32_e32 v4, v13, v4
	s_delay_alu instid0(VALU_DEP_1) | instskip(NEXT) | instid1(VALU_DEP_1)
	v_cndmask_b32_e32 v3, v4, v3, vcc_lo
	v_add_nc_u32_e32 v4, v3, v5
	s_delay_alu instid0(VALU_DEP_1) | instskip(NEXT) | instid1(VALU_DEP_1)
	v_add_nc_u32_e32 v5, v4, v6
	v_add_nc_u32_e32 v6, v5, v7
	s_delay_alu instid0(VALU_DEP_1) | instskip(NEXT) | instid1(VALU_DEP_1)
	v_add_nc_u32_e32 v7, v6, v8
	;; [unrolled: 3-line block ×3, first 2 shown]
	v_add_nc_u32_e32 v10, v9, v11
	ds_store_2addr_b32 v12, v3, v4 offset1:1
	ds_store_2addr_b32 v12, v5, v6 offset0:2 offset1:3
	ds_store_2addr_b32 v12, v7, v8 offset0:4 offset1:5
	;; [unrolled: 1-line block ×3, first 2 shown]
.LBB79_2:
	s_or_b32 exec_lo, exec_lo, s2
	s_load_b32 s0, s[0:1], 0x8
	s_mov_b32 s1, exec_lo
	s_waitcnt lgkmcnt(0)
	s_barrier
	buffer_gl0_inv
	v_mov_b32_e32 v3, s0
	v_cmpx_ne_u32_e32 0, v0
	s_cbranch_execz .LBB79_4
; %bb.3:
	v_add_nc_u32_e32 v0, -1, v0
	s_delay_alu instid0(VALU_DEP_1) | instskip(NEXT) | instid1(VALU_DEP_1)
	v_lshrrev_b32_e32 v3, 5, v0
	v_add_lshl_u32 v0, v3, v0, 2
	ds_load_b32 v0, v0
	s_waitcnt lgkmcnt(0)
	v_add_nc_u32_e32 v3, s0, v0
.LBB79_4:
	s_or_b32 exec_lo, exec_lo, s1
	global_store_b32 v[1:2], v3, off
	s_nop 0
	s_sendmsg sendmsg(MSG_DEALLOC_VGPRS)
	s_endpgm
	.section	.rodata,"a",@progbits
	.p2align	6, 0x0
	.amdhsa_kernel _Z21exclusive_scan_kernelILj256ELN6hipcub18BlockScanAlgorithmE1EiEvPT1_S2_
		.amdhsa_group_segment_fixed_size 1056
		.amdhsa_private_segment_fixed_size 0
		.amdhsa_kernarg_size 12
		.amdhsa_user_sgpr_count 15
		.amdhsa_user_sgpr_dispatch_ptr 0
		.amdhsa_user_sgpr_queue_ptr 0
		.amdhsa_user_sgpr_kernarg_segment_ptr 1
		.amdhsa_user_sgpr_dispatch_id 0
		.amdhsa_user_sgpr_private_segment_size 0
		.amdhsa_wavefront_size32 1
		.amdhsa_uses_dynamic_stack 0
		.amdhsa_enable_private_segment 0
		.amdhsa_system_sgpr_workgroup_id_x 1
		.amdhsa_system_sgpr_workgroup_id_y 0
		.amdhsa_system_sgpr_workgroup_id_z 0
		.amdhsa_system_sgpr_workgroup_info 0
		.amdhsa_system_vgpr_workitem_id 0
		.amdhsa_next_free_vgpr 18
		.amdhsa_next_free_sgpr 16
		.amdhsa_reserve_vcc 1
		.amdhsa_float_round_mode_32 0
		.amdhsa_float_round_mode_16_64 0
		.amdhsa_float_denorm_mode_32 3
		.amdhsa_float_denorm_mode_16_64 3
		.amdhsa_dx10_clamp 1
		.amdhsa_ieee_mode 1
		.amdhsa_fp16_overflow 0
		.amdhsa_workgroup_processor_mode 1
		.amdhsa_memory_ordered 1
		.amdhsa_forward_progress 0
		.amdhsa_shared_vgpr_count 0
		.amdhsa_exception_fp_ieee_invalid_op 0
		.amdhsa_exception_fp_denorm_src 0
		.amdhsa_exception_fp_ieee_div_zero 0
		.amdhsa_exception_fp_ieee_overflow 0
		.amdhsa_exception_fp_ieee_underflow 0
		.amdhsa_exception_fp_ieee_inexact 0
		.amdhsa_exception_int_div_zero 0
	.end_amdhsa_kernel
	.section	.text._Z21exclusive_scan_kernelILj256ELN6hipcub18BlockScanAlgorithmE1EiEvPT1_S2_,"axG",@progbits,_Z21exclusive_scan_kernelILj256ELN6hipcub18BlockScanAlgorithmE1EiEvPT1_S2_,comdat
.Lfunc_end79:
	.size	_Z21exclusive_scan_kernelILj256ELN6hipcub18BlockScanAlgorithmE1EiEvPT1_S2_, .Lfunc_end79-_Z21exclusive_scan_kernelILj256ELN6hipcub18BlockScanAlgorithmE1EiEvPT1_S2_
                                        ; -- End function
	.section	.AMDGPU.csdata,"",@progbits
; Kernel info:
; codeLenInByte = 584
; NumSgprs: 18
; NumVgprs: 18
; ScratchSize: 0
; MemoryBound: 0
; FloatMode: 240
; IeeeMode: 1
; LDSByteSize: 1056 bytes/workgroup (compile time only)
; SGPRBlocks: 2
; VGPRBlocks: 2
; NumSGPRsForWavesPerEU: 18
; NumVGPRsForWavesPerEU: 18
; Occupancy: 16
; WaveLimiterHint : 0
; COMPUTE_PGM_RSRC2:SCRATCH_EN: 0
; COMPUTE_PGM_RSRC2:USER_SGPR: 15
; COMPUTE_PGM_RSRC2:TRAP_HANDLER: 0
; COMPUTE_PGM_RSRC2:TGID_X_EN: 1
; COMPUTE_PGM_RSRC2:TGID_Y_EN: 0
; COMPUTE_PGM_RSRC2:TGID_Z_EN: 0
; COMPUTE_PGM_RSRC2:TIDIG_COMP_CNT: 0
	.section	.text._Z21exclusive_scan_kernelILj128ELN6hipcub18BlockScanAlgorithmE1EiEvPT1_S2_,"axG",@progbits,_Z21exclusive_scan_kernelILj128ELN6hipcub18BlockScanAlgorithmE1EiEvPT1_S2_,comdat
	.protected	_Z21exclusive_scan_kernelILj128ELN6hipcub18BlockScanAlgorithmE1EiEvPT1_S2_ ; -- Begin function _Z21exclusive_scan_kernelILj128ELN6hipcub18BlockScanAlgorithmE1EiEvPT1_S2_
	.globl	_Z21exclusive_scan_kernelILj128ELN6hipcub18BlockScanAlgorithmE1EiEvPT1_S2_
	.p2align	8
	.type	_Z21exclusive_scan_kernelILj128ELN6hipcub18BlockScanAlgorithmE1EiEvPT1_S2_,@function
_Z21exclusive_scan_kernelILj128ELN6hipcub18BlockScanAlgorithmE1EiEvPT1_S2_: ; @_Z21exclusive_scan_kernelILj128ELN6hipcub18BlockScanAlgorithmE1EiEvPT1_S2_
; %bb.0:
	s_load_b64 s[2:3], s[0:1], 0x0
	v_mov_b32_e32 v2, 0
	v_lshl_or_b32 v1, s15, 7, v0
	v_lshrrev_b32_e32 v4, 5, v0
	s_delay_alu instid0(VALU_DEP_2) | instskip(NEXT) | instid1(VALU_DEP_2)
	v_lshlrev_b64 v[1:2], 2, v[1:2]
	v_add_lshl_u32 v4, v4, v0, 2
	s_waitcnt lgkmcnt(0)
	s_delay_alu instid0(VALU_DEP_2) | instskip(NEXT) | instid1(VALU_DEP_3)
	v_add_co_u32 v1, vcc_lo, s2, v1
	v_add_co_ci_u32_e32 v2, vcc_lo, s3, v2, vcc_lo
	s_mov_b32 s2, exec_lo
	global_load_b32 v3, v[1:2], off
	s_waitcnt vmcnt(0)
	ds_store_b32 v4, v3
	s_waitcnt lgkmcnt(0)
	s_barrier
	buffer_gl0_inv
	v_cmpx_gt_u32_e32 32, v0
	s_cbranch_execz .LBB80_2
; %bb.1:
	v_lshrrev_b32_e32 v4, 1, v0
	v_mbcnt_lo_u32_b32 v10, -1, 0
	s_delay_alu instid0(VALU_DEP_2) | instskip(NEXT) | instid1(VALU_DEP_2)
	v_and_b32_e32 v4, 60, v4
	v_add_nc_u32_e32 v13, -1, v10
	s_delay_alu instid0(VALU_DEP_2)
	v_lshl_or_b32 v8, v0, 4, v4
	ds_load_2addr_b32 v[4:5], v8 offset1:1
	ds_load_2addr_b32 v[6:7], v8 offset0:2 offset1:3
	s_waitcnt lgkmcnt(1)
	v_add_nc_u32_e32 v9, v5, v4
	s_waitcnt lgkmcnt(0)
	s_delay_alu instid0(VALU_DEP_1) | instskip(NEXT) | instid1(VALU_DEP_1)
	v_add3_u32 v9, v9, v6, v7
	v_mov_b32_dpp v12, v9 row_shr:1 row_mask:0xf bank_mask:0xf
	v_and_b32_e32 v11, 15, v10
	s_delay_alu instid0(VALU_DEP_1) | instskip(NEXT) | instid1(VALU_DEP_3)
	v_cmp_ne_u32_e32 vcc_lo, 0, v11
	v_cndmask_b32_e32 v12, 0, v12, vcc_lo
	v_cmp_lt_u32_e32 vcc_lo, 1, v11
	s_delay_alu instid0(VALU_DEP_2) | instskip(NEXT) | instid1(VALU_DEP_1)
	v_add_nc_u32_e32 v9, v12, v9
	v_mov_b32_dpp v12, v9 row_shr:2 row_mask:0xf bank_mask:0xf
	s_delay_alu instid0(VALU_DEP_1) | instskip(SKIP_1) | instid1(VALU_DEP_2)
	v_cndmask_b32_e32 v12, 0, v12, vcc_lo
	v_cmp_lt_u32_e32 vcc_lo, 3, v11
	v_add_nc_u32_e32 v9, v9, v12
	s_delay_alu instid0(VALU_DEP_1) | instskip(NEXT) | instid1(VALU_DEP_1)
	v_mov_b32_dpp v12, v9 row_shr:4 row_mask:0xf bank_mask:0xf
	v_cndmask_b32_e32 v12, 0, v12, vcc_lo
	v_cmp_lt_u32_e32 vcc_lo, 7, v11
	s_delay_alu instid0(VALU_DEP_2) | instskip(NEXT) | instid1(VALU_DEP_1)
	v_add_nc_u32_e32 v9, v9, v12
	v_mov_b32_dpp v12, v9 row_shr:8 row_mask:0xf bank_mask:0xf
	s_delay_alu instid0(VALU_DEP_1) | instskip(SKIP_3) | instid1(VALU_DEP_4)
	v_cndmask_b32_e32 v11, 0, v12, vcc_lo
	v_cmp_gt_i32_e32 vcc_lo, 0, v13
	v_bfe_i32 v12, v10, 4, 1
	v_cndmask_b32_e32 v10, v13, v10, vcc_lo
	v_add_nc_u32_e32 v9, v9, v11
	v_cmp_eq_u32_e32 vcc_lo, 0, v0
	s_delay_alu instid0(VALU_DEP_3) | instskip(SKIP_3) | instid1(VALU_DEP_1)
	v_lshlrev_b32_e32 v10, 2, v10
	ds_swizzle_b32 v11, v9 offset:swizzle(BROADCAST,32,15)
	s_waitcnt lgkmcnt(0)
	v_and_b32_e32 v11, v12, v11
	v_add_nc_u32_e32 v9, v9, v11
	ds_bpermute_b32 v9, v10, v9
	s_waitcnt lgkmcnt(0)
	v_add_nc_u32_e32 v4, v9, v4
	s_delay_alu instid0(VALU_DEP_1) | instskip(NEXT) | instid1(VALU_DEP_1)
	v_cndmask_b32_e32 v3, v4, v3, vcc_lo
	v_add_nc_u32_e32 v4, v3, v5
	s_delay_alu instid0(VALU_DEP_1) | instskip(NEXT) | instid1(VALU_DEP_1)
	v_add_nc_u32_e32 v5, v4, v6
	v_add_nc_u32_e32 v6, v5, v7
	ds_store_2addr_b32 v8, v3, v4 offset1:1
	ds_store_2addr_b32 v8, v5, v6 offset0:2 offset1:3
.LBB80_2:
	s_or_b32 exec_lo, exec_lo, s2
	s_load_b32 s0, s[0:1], 0x8
	s_mov_b32 s1, exec_lo
	s_waitcnt lgkmcnt(0)
	s_barrier
	buffer_gl0_inv
	v_mov_b32_e32 v3, s0
	v_cmpx_ne_u32_e32 0, v0
	s_cbranch_execz .LBB80_4
; %bb.3:
	v_add_nc_u32_e32 v0, -1, v0
	s_delay_alu instid0(VALU_DEP_1) | instskip(NEXT) | instid1(VALU_DEP_1)
	v_lshrrev_b32_e32 v3, 5, v0
	v_add_lshl_u32 v0, v3, v0, 2
	ds_load_b32 v0, v0
	s_waitcnt lgkmcnt(0)
	v_add_nc_u32_e32 v3, s0, v0
.LBB80_4:
	s_or_b32 exec_lo, exec_lo, s1
	global_store_b32 v[1:2], v3, off
	s_nop 0
	s_sendmsg sendmsg(MSG_DEALLOC_VGPRS)
	s_endpgm
	.section	.rodata,"a",@progbits
	.p2align	6, 0x0
	.amdhsa_kernel _Z21exclusive_scan_kernelILj128ELN6hipcub18BlockScanAlgorithmE1EiEvPT1_S2_
		.amdhsa_group_segment_fixed_size 528
		.amdhsa_private_segment_fixed_size 0
		.amdhsa_kernarg_size 12
		.amdhsa_user_sgpr_count 15
		.amdhsa_user_sgpr_dispatch_ptr 0
		.amdhsa_user_sgpr_queue_ptr 0
		.amdhsa_user_sgpr_kernarg_segment_ptr 1
		.amdhsa_user_sgpr_dispatch_id 0
		.amdhsa_user_sgpr_private_segment_size 0
		.amdhsa_wavefront_size32 1
		.amdhsa_uses_dynamic_stack 0
		.amdhsa_enable_private_segment 0
		.amdhsa_system_sgpr_workgroup_id_x 1
		.amdhsa_system_sgpr_workgroup_id_y 0
		.amdhsa_system_sgpr_workgroup_id_z 0
		.amdhsa_system_sgpr_workgroup_info 0
		.amdhsa_system_vgpr_workitem_id 0
		.amdhsa_next_free_vgpr 14
		.amdhsa_next_free_sgpr 16
		.amdhsa_reserve_vcc 1
		.amdhsa_float_round_mode_32 0
		.amdhsa_float_round_mode_16_64 0
		.amdhsa_float_denorm_mode_32 3
		.amdhsa_float_denorm_mode_16_64 3
		.amdhsa_dx10_clamp 1
		.amdhsa_ieee_mode 1
		.amdhsa_fp16_overflow 0
		.amdhsa_workgroup_processor_mode 1
		.amdhsa_memory_ordered 1
		.amdhsa_forward_progress 0
		.amdhsa_shared_vgpr_count 0
		.amdhsa_exception_fp_ieee_invalid_op 0
		.amdhsa_exception_fp_denorm_src 0
		.amdhsa_exception_fp_ieee_div_zero 0
		.amdhsa_exception_fp_ieee_overflow 0
		.amdhsa_exception_fp_ieee_underflow 0
		.amdhsa_exception_fp_ieee_inexact 0
		.amdhsa_exception_int_div_zero 0
	.end_amdhsa_kernel
	.section	.text._Z21exclusive_scan_kernelILj128ELN6hipcub18BlockScanAlgorithmE1EiEvPT1_S2_,"axG",@progbits,_Z21exclusive_scan_kernelILj128ELN6hipcub18BlockScanAlgorithmE1EiEvPT1_S2_,comdat
.Lfunc_end80:
	.size	_Z21exclusive_scan_kernelILj128ELN6hipcub18BlockScanAlgorithmE1EiEvPT1_S2_, .Lfunc_end80-_Z21exclusive_scan_kernelILj128ELN6hipcub18BlockScanAlgorithmE1EiEvPT1_S2_
                                        ; -- End function
	.section	.AMDGPU.csdata,"",@progbits
; Kernel info:
; codeLenInByte = 504
; NumSgprs: 18
; NumVgprs: 14
; ScratchSize: 0
; MemoryBound: 0
; FloatMode: 240
; IeeeMode: 1
; LDSByteSize: 528 bytes/workgroup (compile time only)
; SGPRBlocks: 2
; VGPRBlocks: 1
; NumSGPRsForWavesPerEU: 18
; NumVGPRsForWavesPerEU: 14
; Occupancy: 16
; WaveLimiterHint : 0
; COMPUTE_PGM_RSRC2:SCRATCH_EN: 0
; COMPUTE_PGM_RSRC2:USER_SGPR: 15
; COMPUTE_PGM_RSRC2:TRAP_HANDLER: 0
; COMPUTE_PGM_RSRC2:TGID_X_EN: 1
; COMPUTE_PGM_RSRC2:TGID_Y_EN: 0
; COMPUTE_PGM_RSRC2:TGID_Z_EN: 0
; COMPUTE_PGM_RSRC2:TIDIG_COMP_CNT: 0
	.section	.text._Z21exclusive_scan_kernelILj64ELN6hipcub18BlockScanAlgorithmE1EiEvPT1_S2_,"axG",@progbits,_Z21exclusive_scan_kernelILj64ELN6hipcub18BlockScanAlgorithmE1EiEvPT1_S2_,comdat
	.protected	_Z21exclusive_scan_kernelILj64ELN6hipcub18BlockScanAlgorithmE1EiEvPT1_S2_ ; -- Begin function _Z21exclusive_scan_kernelILj64ELN6hipcub18BlockScanAlgorithmE1EiEvPT1_S2_
	.globl	_Z21exclusive_scan_kernelILj64ELN6hipcub18BlockScanAlgorithmE1EiEvPT1_S2_
	.p2align	8
	.type	_Z21exclusive_scan_kernelILj64ELN6hipcub18BlockScanAlgorithmE1EiEvPT1_S2_,@function
_Z21exclusive_scan_kernelILj64ELN6hipcub18BlockScanAlgorithmE1EiEvPT1_S2_: ; @_Z21exclusive_scan_kernelILj64ELN6hipcub18BlockScanAlgorithmE1EiEvPT1_S2_
; %bb.0:
	s_load_b64 s[2:3], s[0:1], 0x0
	v_mov_b32_e32 v2, 0
	v_lshl_or_b32 v1, s15, 6, v0
	v_lshrrev_b32_e32 v4, 5, v0
	s_delay_alu instid0(VALU_DEP_2) | instskip(NEXT) | instid1(VALU_DEP_2)
	v_lshlrev_b64 v[1:2], 2, v[1:2]
	v_add_lshl_u32 v4, v4, v0, 2
	s_waitcnt lgkmcnt(0)
	s_delay_alu instid0(VALU_DEP_2) | instskip(NEXT) | instid1(VALU_DEP_3)
	v_add_co_u32 v1, vcc_lo, s2, v1
	v_add_co_ci_u32_e32 v2, vcc_lo, s3, v2, vcc_lo
	s_mov_b32 s2, exec_lo
	global_load_b32 v3, v[1:2], off
	s_waitcnt vmcnt(0)
	ds_store_b32 v4, v3
	s_waitcnt lgkmcnt(0)
	s_barrier
	buffer_gl0_inv
	v_cmpx_gt_u32_e32 32, v0
	s_cbranch_execz .LBB81_2
; %bb.1:
	v_lshrrev_b32_e32 v4, 2, v0
	v_mbcnt_lo_u32_b32 v7, -1, 0
	s_delay_alu instid0(VALU_DEP_2) | instskip(NEXT) | instid1(VALU_DEP_2)
	v_and_b32_e32 v4, 12, v4
	v_add_nc_u32_e32 v11, -1, v7
	s_delay_alu instid0(VALU_DEP_2) | instskip(SKIP_3) | instid1(VALU_DEP_1)
	v_lshl_or_b32 v6, v0, 3, v4
	ds_load_2addr_b32 v[4:5], v6 offset1:1
	s_waitcnt lgkmcnt(0)
	v_add_nc_u32_e32 v8, v5, v4
	v_mov_b32_dpp v10, v8 row_shr:1 row_mask:0xf bank_mask:0xf
	v_and_b32_e32 v9, 15, v7
	s_delay_alu instid0(VALU_DEP_1) | instskip(NEXT) | instid1(VALU_DEP_3)
	v_cmp_ne_u32_e32 vcc_lo, 0, v9
	v_cndmask_b32_e32 v10, 0, v10, vcc_lo
	v_cmp_lt_u32_e32 vcc_lo, 1, v9
	s_delay_alu instid0(VALU_DEP_2) | instskip(NEXT) | instid1(VALU_DEP_1)
	v_add_nc_u32_e32 v8, v10, v8
	v_mov_b32_dpp v10, v8 row_shr:2 row_mask:0xf bank_mask:0xf
	s_delay_alu instid0(VALU_DEP_1) | instskip(SKIP_1) | instid1(VALU_DEP_2)
	v_cndmask_b32_e32 v10, 0, v10, vcc_lo
	v_cmp_lt_u32_e32 vcc_lo, 3, v9
	v_add_nc_u32_e32 v8, v8, v10
	s_delay_alu instid0(VALU_DEP_1) | instskip(NEXT) | instid1(VALU_DEP_1)
	v_mov_b32_dpp v10, v8 row_shr:4 row_mask:0xf bank_mask:0xf
	v_cndmask_b32_e32 v10, 0, v10, vcc_lo
	v_cmp_lt_u32_e32 vcc_lo, 7, v9
	s_delay_alu instid0(VALU_DEP_2) | instskip(NEXT) | instid1(VALU_DEP_1)
	v_add_nc_u32_e32 v8, v8, v10
	v_mov_b32_dpp v10, v8 row_shr:8 row_mask:0xf bank_mask:0xf
	s_delay_alu instid0(VALU_DEP_1) | instskip(SKIP_2) | instid1(VALU_DEP_3)
	v_cndmask_b32_e32 v9, 0, v10, vcc_lo
	v_bfe_i32 v10, v7, 4, 1
	v_cmp_gt_i32_e32 vcc_lo, 0, v11
	v_dual_cndmask_b32 v7, v11, v7 :: v_dual_add_nc_u32 v8, v8, v9
	v_cmp_eq_u32_e32 vcc_lo, 0, v0
	ds_swizzle_b32 v9, v8 offset:swizzle(BROADCAST,32,15)
	v_lshlrev_b32_e32 v7, 2, v7
	s_waitcnt lgkmcnt(0)
	v_and_b32_e32 v9, v10, v9
	s_delay_alu instid0(VALU_DEP_1) | instskip(SKIP_3) | instid1(VALU_DEP_1)
	v_add_nc_u32_e32 v8, v8, v9
	ds_bpermute_b32 v7, v7, v8
	s_waitcnt lgkmcnt(0)
	v_add_nc_u32_e32 v4, v7, v4
	v_cndmask_b32_e32 v3, v4, v3, vcc_lo
	s_delay_alu instid0(VALU_DEP_1)
	v_add_nc_u32_e32 v4, v3, v5
	ds_store_2addr_b32 v6, v3, v4 offset1:1
.LBB81_2:
	s_or_b32 exec_lo, exec_lo, s2
	s_load_b32 s0, s[0:1], 0x8
	s_mov_b32 s1, exec_lo
	s_waitcnt lgkmcnt(0)
	s_barrier
	buffer_gl0_inv
	v_mov_b32_e32 v3, s0
	v_cmpx_ne_u32_e32 0, v0
	s_cbranch_execz .LBB81_4
; %bb.3:
	v_add_nc_u32_e32 v0, -1, v0
	s_delay_alu instid0(VALU_DEP_1) | instskip(NEXT) | instid1(VALU_DEP_1)
	v_lshrrev_b32_e32 v3, 5, v0
	v_add_lshl_u32 v0, v3, v0, 2
	ds_load_b32 v0, v0
	s_waitcnt lgkmcnt(0)
	v_add_nc_u32_e32 v3, s0, v0
.LBB81_4:
	s_or_b32 exec_lo, exec_lo, s1
	global_store_b32 v[1:2], v3, off
	s_nop 0
	s_sendmsg sendmsg(MSG_DEALLOC_VGPRS)
	s_endpgm
	.section	.rodata,"a",@progbits
	.p2align	6, 0x0
	.amdhsa_kernel _Z21exclusive_scan_kernelILj64ELN6hipcub18BlockScanAlgorithmE1EiEvPT1_S2_
		.amdhsa_group_segment_fixed_size 264
		.amdhsa_private_segment_fixed_size 0
		.amdhsa_kernarg_size 12
		.amdhsa_user_sgpr_count 15
		.amdhsa_user_sgpr_dispatch_ptr 0
		.amdhsa_user_sgpr_queue_ptr 0
		.amdhsa_user_sgpr_kernarg_segment_ptr 1
		.amdhsa_user_sgpr_dispatch_id 0
		.amdhsa_user_sgpr_private_segment_size 0
		.amdhsa_wavefront_size32 1
		.amdhsa_uses_dynamic_stack 0
		.amdhsa_enable_private_segment 0
		.amdhsa_system_sgpr_workgroup_id_x 1
		.amdhsa_system_sgpr_workgroup_id_y 0
		.amdhsa_system_sgpr_workgroup_id_z 0
		.amdhsa_system_sgpr_workgroup_info 0
		.amdhsa_system_vgpr_workitem_id 0
		.amdhsa_next_free_vgpr 12
		.amdhsa_next_free_sgpr 16
		.amdhsa_reserve_vcc 1
		.amdhsa_float_round_mode_32 0
		.amdhsa_float_round_mode_16_64 0
		.amdhsa_float_denorm_mode_32 3
		.amdhsa_float_denorm_mode_16_64 3
		.amdhsa_dx10_clamp 1
		.amdhsa_ieee_mode 1
		.amdhsa_fp16_overflow 0
		.amdhsa_workgroup_processor_mode 1
		.amdhsa_memory_ordered 1
		.amdhsa_forward_progress 0
		.amdhsa_shared_vgpr_count 0
		.amdhsa_exception_fp_ieee_invalid_op 0
		.amdhsa_exception_fp_denorm_src 0
		.amdhsa_exception_fp_ieee_div_zero 0
		.amdhsa_exception_fp_ieee_overflow 0
		.amdhsa_exception_fp_ieee_underflow 0
		.amdhsa_exception_fp_ieee_inexact 0
		.amdhsa_exception_int_div_zero 0
	.end_amdhsa_kernel
	.section	.text._Z21exclusive_scan_kernelILj64ELN6hipcub18BlockScanAlgorithmE1EiEvPT1_S2_,"axG",@progbits,_Z21exclusive_scan_kernelILj64ELN6hipcub18BlockScanAlgorithmE1EiEvPT1_S2_,comdat
.Lfunc_end81:
	.size	_Z21exclusive_scan_kernelILj64ELN6hipcub18BlockScanAlgorithmE1EiEvPT1_S2_, .Lfunc_end81-_Z21exclusive_scan_kernelILj64ELN6hipcub18BlockScanAlgorithmE1EiEvPT1_S2_
                                        ; -- End function
	.section	.AMDGPU.csdata,"",@progbits
; Kernel info:
; codeLenInByte = 460
; NumSgprs: 18
; NumVgprs: 12
; ScratchSize: 0
; MemoryBound: 0
; FloatMode: 240
; IeeeMode: 1
; LDSByteSize: 264 bytes/workgroup (compile time only)
; SGPRBlocks: 2
; VGPRBlocks: 1
; NumSGPRsForWavesPerEU: 18
; NumVGPRsForWavesPerEU: 12
; Occupancy: 16
; WaveLimiterHint : 0
; COMPUTE_PGM_RSRC2:SCRATCH_EN: 0
; COMPUTE_PGM_RSRC2:USER_SGPR: 15
; COMPUTE_PGM_RSRC2:TRAP_HANDLER: 0
; COMPUTE_PGM_RSRC2:TGID_X_EN: 1
; COMPUTE_PGM_RSRC2:TGID_Y_EN: 0
; COMPUTE_PGM_RSRC2:TGID_Z_EN: 0
; COMPUTE_PGM_RSRC2:TIDIG_COMP_CNT: 0
	.section	.text._Z21exclusive_scan_kernelILj377ELN6hipcub18BlockScanAlgorithmE0ElEvPT1_S2_,"axG",@progbits,_Z21exclusive_scan_kernelILj377ELN6hipcub18BlockScanAlgorithmE0ElEvPT1_S2_,comdat
	.protected	_Z21exclusive_scan_kernelILj377ELN6hipcub18BlockScanAlgorithmE0ElEvPT1_S2_ ; -- Begin function _Z21exclusive_scan_kernelILj377ELN6hipcub18BlockScanAlgorithmE0ElEvPT1_S2_
	.globl	_Z21exclusive_scan_kernelILj377ELN6hipcub18BlockScanAlgorithmE0ElEvPT1_S2_
	.p2align	8
	.type	_Z21exclusive_scan_kernelILj377ELN6hipcub18BlockScanAlgorithmE0ElEvPT1_S2_,@function
_Z21exclusive_scan_kernelILj377ELN6hipcub18BlockScanAlgorithmE0ElEvPT1_S2_: ; @_Z21exclusive_scan_kernelILj377ELN6hipcub18BlockScanAlgorithmE0ElEvPT1_S2_
; %bb.0:
	s_load_b128 s[4:7], s[0:1], 0x0
	v_mad_u64_u32 v[1:2], null, 0x179, s15, v[0:1]
	v_mov_b32_e32 v2, 0
	v_mbcnt_lo_u32_b32 v7, -1, 0
	s_delay_alu instid0(VALU_DEP_1) | instskip(NEXT) | instid1(VALU_DEP_3)
	v_and_b32_e32 v6, 15, v7
	v_lshlrev_b64 v[1:2], 3, v[1:2]
	s_waitcnt lgkmcnt(0)
	s_delay_alu instid0(VALU_DEP_1) | instskip(NEXT) | instid1(VALU_DEP_2)
	v_add_co_u32 v1, vcc_lo, s4, v1
	v_add_co_ci_u32_e32 v2, vcc_lo, s5, v2, vcc_lo
	v_cmp_ne_u32_e32 vcc_lo, 0, v6
	global_load_b64 v[3:4], v[1:2], off
	s_waitcnt vmcnt(0)
	v_mov_b32_e32 v5, v3
	v_mov_b32_dpp v9, v3 row_shr:1 row_mask:0xf bank_mask:0xf
	v_mov_b32_dpp v8, v4 row_shr:1 row_mask:0xf bank_mask:0xf
	s_and_saveexec_b32 s1, vcc_lo
; %bb.1:
	s_delay_alu instid0(VALU_DEP_2) | instskip(NEXT) | instid1(VALU_DEP_1)
	v_add_co_u32 v5, s0, v3, v9
	v_add_co_ci_u32_e64 v4, s0, 0, v4, s0
	s_delay_alu instid0(VALU_DEP_2) | instskip(NEXT) | instid1(VALU_DEP_1)
	v_add_co_u32 v3, s0, 0, v5
	v_add_co_ci_u32_e64 v4, s0, v8, v4, s0
; %bb.2:
	s_or_b32 exec_lo, exec_lo, s1
	v_mov_b32_dpp v9, v5 row_shr:2 row_mask:0xf bank_mask:0xf
	s_delay_alu instid0(VALU_DEP_2) | instskip(SKIP_1) | instid1(VALU_DEP_1)
	v_mov_b32_dpp v8, v4 row_shr:2 row_mask:0xf bank_mask:0xf
	v_cmp_lt_u32_e64 s0, 1, v6
	s_and_saveexec_b32 s2, s0
; %bb.3:
	s_delay_alu instid0(VALU_DEP_3) | instskip(NEXT) | instid1(VALU_DEP_1)
	v_add_co_u32 v5, s1, v3, v9
	v_add_co_ci_u32_e64 v4, s1, 0, v4, s1
	s_delay_alu instid0(VALU_DEP_2) | instskip(NEXT) | instid1(VALU_DEP_1)
	v_add_co_u32 v3, s1, 0, v5
	v_add_co_ci_u32_e64 v4, s1, v8, v4, s1
; %bb.4:
	s_or_b32 exec_lo, exec_lo, s2
	v_mov_b32_dpp v9, v5 row_shr:4 row_mask:0xf bank_mask:0xf
	s_delay_alu instid0(VALU_DEP_2) | instskip(SKIP_1) | instid1(VALU_DEP_1)
	v_mov_b32_dpp v8, v4 row_shr:4 row_mask:0xf bank_mask:0xf
	v_cmp_lt_u32_e64 s1, 3, v6
	s_and_saveexec_b32 s3, s1
; %bb.5:
	s_delay_alu instid0(VALU_DEP_3) | instskip(NEXT) | instid1(VALU_DEP_1)
	;; [unrolled: 14-line block ×3, first 2 shown]
	v_add_co_u32 v5, s3, v3, v9
	v_add_co_ci_u32_e64 v4, s3, 0, v4, s3
	s_delay_alu instid0(VALU_DEP_2) | instskip(NEXT) | instid1(VALU_DEP_1)
	v_add_co_u32 v3, s3, 0, v5
	v_add_co_ci_u32_e64 v4, s3, v8, v4, s3
; %bb.8:
	s_or_b32 exec_lo, exec_lo, s4
	ds_swizzle_b32 v6, v5 offset:swizzle(BROADCAST,32,15)
	ds_swizzle_b32 v5, v4 offset:swizzle(BROADCAST,32,15)
	v_and_b32_e32 v8, 16, v7
	s_mov_b32 s4, exec_lo
	s_delay_alu instid0(VALU_DEP_1)
	v_cmpx_ne_u32_e32 0, v8
	s_cbranch_execz .LBB82_10
; %bb.9:
	s_waitcnt lgkmcnt(1)
	v_add_co_u32 v3, s3, v3, v6
	s_delay_alu instid0(VALU_DEP_1) | instskip(NEXT) | instid1(VALU_DEP_2)
	v_add_co_ci_u32_e64 v4, s3, 0, v4, s3
	v_add_co_u32 v3, s3, v3, 0
	s_waitcnt lgkmcnt(0)
	s_delay_alu instid0(VALU_DEP_2)
	v_add_co_ci_u32_e64 v4, s3, v4, v5, s3
.LBB82_10:
	s_or_b32 exec_lo, exec_lo, s4
	s_waitcnt lgkmcnt(0)
	v_and_b32_e32 v5, 0x1e0, v0
	v_lshrrev_b32_e32 v8, 5, v0
	s_mov_b32 s4, exec_lo
	s_delay_alu instid0(VALU_DEP_2) | instskip(NEXT) | instid1(VALU_DEP_1)
	v_min_u32_e32 v5, 0x159, v5
	v_add_nc_u32_e32 v5, 31, v5
	s_delay_alu instid0(VALU_DEP_1)
	v_cmpx_eq_u32_e64 v5, v0
	s_cbranch_execz .LBB82_12
; %bb.11:
	v_lshlrev_b32_e32 v5, 3, v8
	ds_store_b64 v5, v[3:4]
.LBB82_12:
	s_or_b32 exec_lo, exec_lo, s4
	s_delay_alu instid0(SALU_CYCLE_1)
	s_mov_b32 s4, exec_lo
	s_waitcnt lgkmcnt(0)
	s_barrier
	buffer_gl0_inv
	v_cmpx_gt_u32_e32 12, v0
	s_cbranch_execz .LBB82_22
; %bb.13:
	v_lshlrev_b32_e32 v9, 3, v0
	ds_load_b64 v[5:6], v9
	s_waitcnt lgkmcnt(0)
	v_mov_b32_e32 v10, v5
	v_mov_b32_dpp v12, v5 row_shr:1 row_mask:0xf bank_mask:0xf
	v_mov_b32_dpp v11, v6 row_shr:1 row_mask:0xf bank_mask:0xf
	s_and_saveexec_b32 s3, vcc_lo
; %bb.14:
	s_delay_alu instid0(VALU_DEP_2) | instskip(SKIP_1) | instid1(VALU_DEP_2)
	v_add_co_u32 v10, vcc_lo, v5, v12
	v_add_co_ci_u32_e32 v6, vcc_lo, 0, v6, vcc_lo
	v_add_co_u32 v5, vcc_lo, 0, v10
	s_delay_alu instid0(VALU_DEP_2)
	v_add_co_ci_u32_e32 v6, vcc_lo, v11, v6, vcc_lo
; %bb.15:
	s_or_b32 exec_lo, exec_lo, s3
	v_mov_b32_dpp v12, v10 row_shr:2 row_mask:0xf bank_mask:0xf
	s_delay_alu instid0(VALU_DEP_2)
	v_mov_b32_dpp v11, v6 row_shr:2 row_mask:0xf bank_mask:0xf
	s_and_saveexec_b32 s3, s0
; %bb.16:
	s_delay_alu instid0(VALU_DEP_2) | instskip(SKIP_1) | instid1(VALU_DEP_2)
	v_add_co_u32 v10, vcc_lo, v5, v12
	v_add_co_ci_u32_e32 v6, vcc_lo, 0, v6, vcc_lo
	v_add_co_u32 v5, vcc_lo, 0, v10
	s_delay_alu instid0(VALU_DEP_2)
	v_add_co_ci_u32_e32 v6, vcc_lo, v11, v6, vcc_lo
; %bb.17:
	s_or_b32 exec_lo, exec_lo, s3
	v_mov_b32_dpp v12, v10 row_shr:4 row_mask:0xf bank_mask:0xf
	s_delay_alu instid0(VALU_DEP_2)
	v_mov_b32_dpp v11, v6 row_shr:4 row_mask:0xf bank_mask:0xf
	s_and_saveexec_b32 s0, s1
	;; [unrolled: 13-line block ×3, first 2 shown]
; %bb.20:
	s_delay_alu instid0(VALU_DEP_2) | instskip(SKIP_1) | instid1(VALU_DEP_2)
	v_add_co_u32 v5, vcc_lo, v5, v11
	v_add_co_ci_u32_e32 v6, vcc_lo, 0, v6, vcc_lo
	v_add_co_u32 v5, vcc_lo, v5, 0
	s_delay_alu instid0(VALU_DEP_2)
	v_add_co_ci_u32_e32 v6, vcc_lo, v6, v10, vcc_lo
; %bb.21:
	s_or_b32 exec_lo, exec_lo, s0
	ds_store_b64 v9, v[5:6]
.LBB82_22:
	s_or_b32 exec_lo, exec_lo, s4
	v_dual_mov_b32 v5, s6 :: v_dual_mov_b32 v6, s7
	s_mov_b32 s0, exec_lo
	s_waitcnt lgkmcnt(0)
	s_barrier
	buffer_gl0_inv
	v_cmpx_lt_u32_e32 31, v0
	s_cbranch_execz .LBB82_24
; %bb.23:
	v_lshl_add_u32 v0, v8, 3, -8
	ds_load_b64 v[5:6], v0
	s_waitcnt lgkmcnt(0)
	v_add_co_u32 v5, vcc_lo, v5, s6
	v_add_co_ci_u32_e32 v6, vcc_lo, s7, v6, vcc_lo
.LBB82_24:
	s_or_b32 exec_lo, exec_lo, s0
	v_add_nc_u32_e32 v0, -1, v7
	s_delay_alu instid0(VALU_DEP_1) | instskip(SKIP_3) | instid1(VALU_DEP_3)
	v_cmp_gt_i32_e32 vcc_lo, 0, v0
	v_cndmask_b32_e32 v0, v0, v7, vcc_lo
	v_add_co_u32 v3, vcc_lo, v5, v3
	v_add_co_ci_u32_e32 v4, vcc_lo, v6, v4, vcc_lo
	v_lshlrev_b32_e32 v0, 2, v0
	v_cmp_eq_u32_e32 vcc_lo, 0, v7
	ds_bpermute_b32 v4, v0, v4
	ds_bpermute_b32 v0, v0, v3
	s_waitcnt lgkmcnt(1)
	v_cndmask_b32_e32 v4, v4, v6, vcc_lo
	s_waitcnt lgkmcnt(0)
	v_cndmask_b32_e32 v3, v0, v5, vcc_lo
	global_store_b64 v[1:2], v[3:4], off
	s_nop 0
	s_sendmsg sendmsg(MSG_DEALLOC_VGPRS)
	s_endpgm
	.section	.rodata,"a",@progbits
	.p2align	6, 0x0
	.amdhsa_kernel _Z21exclusive_scan_kernelILj377ELN6hipcub18BlockScanAlgorithmE0ElEvPT1_S2_
		.amdhsa_group_segment_fixed_size 96
		.amdhsa_private_segment_fixed_size 0
		.amdhsa_kernarg_size 16
		.amdhsa_user_sgpr_count 15
		.amdhsa_user_sgpr_dispatch_ptr 0
		.amdhsa_user_sgpr_queue_ptr 0
		.amdhsa_user_sgpr_kernarg_segment_ptr 1
		.amdhsa_user_sgpr_dispatch_id 0
		.amdhsa_user_sgpr_private_segment_size 0
		.amdhsa_wavefront_size32 1
		.amdhsa_uses_dynamic_stack 0
		.amdhsa_enable_private_segment 0
		.amdhsa_system_sgpr_workgroup_id_x 1
		.amdhsa_system_sgpr_workgroup_id_y 0
		.amdhsa_system_sgpr_workgroup_id_z 0
		.amdhsa_system_sgpr_workgroup_info 0
		.amdhsa_system_vgpr_workitem_id 0
		.amdhsa_next_free_vgpr 13
		.amdhsa_next_free_sgpr 16
		.amdhsa_reserve_vcc 1
		.amdhsa_float_round_mode_32 0
		.amdhsa_float_round_mode_16_64 0
		.amdhsa_float_denorm_mode_32 3
		.amdhsa_float_denorm_mode_16_64 3
		.amdhsa_dx10_clamp 1
		.amdhsa_ieee_mode 1
		.amdhsa_fp16_overflow 0
		.amdhsa_workgroup_processor_mode 1
		.amdhsa_memory_ordered 1
		.amdhsa_forward_progress 0
		.amdhsa_shared_vgpr_count 0
		.amdhsa_exception_fp_ieee_invalid_op 0
		.amdhsa_exception_fp_denorm_src 0
		.amdhsa_exception_fp_ieee_div_zero 0
		.amdhsa_exception_fp_ieee_overflow 0
		.amdhsa_exception_fp_ieee_underflow 0
		.amdhsa_exception_fp_ieee_inexact 0
		.amdhsa_exception_int_div_zero 0
	.end_amdhsa_kernel
	.section	.text._Z21exclusive_scan_kernelILj377ELN6hipcub18BlockScanAlgorithmE0ElEvPT1_S2_,"axG",@progbits,_Z21exclusive_scan_kernelILj377ELN6hipcub18BlockScanAlgorithmE0ElEvPT1_S2_,comdat
.Lfunc_end82:
	.size	_Z21exclusive_scan_kernelILj377ELN6hipcub18BlockScanAlgorithmE0ElEvPT1_S2_, .Lfunc_end82-_Z21exclusive_scan_kernelILj377ELN6hipcub18BlockScanAlgorithmE0ElEvPT1_S2_
                                        ; -- End function
	.section	.AMDGPU.csdata,"",@progbits
; Kernel info:
; codeLenInByte = 996
; NumSgprs: 18
; NumVgprs: 13
; ScratchSize: 0
; MemoryBound: 0
; FloatMode: 240
; IeeeMode: 1
; LDSByteSize: 96 bytes/workgroup (compile time only)
; SGPRBlocks: 2
; VGPRBlocks: 1
; NumSGPRsForWavesPerEU: 18
; NumVGPRsForWavesPerEU: 13
; Occupancy: 15
; WaveLimiterHint : 0
; COMPUTE_PGM_RSRC2:SCRATCH_EN: 0
; COMPUTE_PGM_RSRC2:USER_SGPR: 15
; COMPUTE_PGM_RSRC2:TRAP_HANDLER: 0
; COMPUTE_PGM_RSRC2:TGID_X_EN: 1
; COMPUTE_PGM_RSRC2:TGID_Y_EN: 0
; COMPUTE_PGM_RSRC2:TGID_Z_EN: 0
; COMPUTE_PGM_RSRC2:TIDIG_COMP_CNT: 0
	.section	.text._Z21exclusive_scan_kernelILj256ELN6hipcub18BlockScanAlgorithmE0ElEvPT1_S2_,"axG",@progbits,_Z21exclusive_scan_kernelILj256ELN6hipcub18BlockScanAlgorithmE0ElEvPT1_S2_,comdat
	.protected	_Z21exclusive_scan_kernelILj256ELN6hipcub18BlockScanAlgorithmE0ElEvPT1_S2_ ; -- Begin function _Z21exclusive_scan_kernelILj256ELN6hipcub18BlockScanAlgorithmE0ElEvPT1_S2_
	.globl	_Z21exclusive_scan_kernelILj256ELN6hipcub18BlockScanAlgorithmE0ElEvPT1_S2_
	.p2align	8
	.type	_Z21exclusive_scan_kernelILj256ELN6hipcub18BlockScanAlgorithmE0ElEvPT1_S2_,@function
_Z21exclusive_scan_kernelILj256ELN6hipcub18BlockScanAlgorithmE0ElEvPT1_S2_: ; @_Z21exclusive_scan_kernelILj256ELN6hipcub18BlockScanAlgorithmE0ElEvPT1_S2_
; %bb.0:
	s_load_b128 s[0:3], s[0:1], 0x0
	v_mov_b32_e32 v2, 0
	v_lshl_or_b32 v1, s15, 8, v0
	v_mbcnt_lo_u32_b32 v7, -1, 0
	s_delay_alu instid0(VALU_DEP_2) | instskip(NEXT) | instid1(VALU_DEP_2)
	v_lshlrev_b64 v[1:2], 3, v[1:2]
	v_and_b32_e32 v6, 15, v7
	s_waitcnt lgkmcnt(0)
	s_delay_alu instid0(VALU_DEP_2) | instskip(NEXT) | instid1(VALU_DEP_3)
	v_add_co_u32 v1, vcc_lo, s0, v1
	v_add_co_ci_u32_e32 v2, vcc_lo, s1, v2, vcc_lo
	s_mov_b32 s0, exec_lo
	global_load_b64 v[3:4], v[1:2], off
	s_waitcnt vmcnt(0)
	v_mov_b32_e32 v5, v3
	v_mov_b32_dpp v9, v3 row_shr:1 row_mask:0xf bank_mask:0xf
	v_mov_b32_dpp v8, v4 row_shr:1 row_mask:0xf bank_mask:0xf
	v_cmpx_ne_u32_e32 0, v6
; %bb.1:
	s_delay_alu instid0(VALU_DEP_3) | instskip(SKIP_1) | instid1(VALU_DEP_2)
	v_add_co_u32 v5, vcc_lo, v3, v9
	v_add_co_ci_u32_e32 v4, vcc_lo, 0, v4, vcc_lo
	v_add_co_u32 v3, vcc_lo, 0, v5
	s_delay_alu instid0(VALU_DEP_2)
	v_add_co_ci_u32_e32 v4, vcc_lo, v8, v4, vcc_lo
; %bb.2:
	s_or_b32 exec_lo, exec_lo, s0
	v_mov_b32_dpp v9, v5 row_shr:2 row_mask:0xf bank_mask:0xf
	s_delay_alu instid0(VALU_DEP_2)
	v_mov_b32_dpp v8, v4 row_shr:2 row_mask:0xf bank_mask:0xf
	s_mov_b32 s0, exec_lo
	v_cmpx_lt_u32_e32 1, v6
; %bb.3:
	s_delay_alu instid0(VALU_DEP_3) | instskip(SKIP_1) | instid1(VALU_DEP_2)
	v_add_co_u32 v5, vcc_lo, v3, v9
	v_add_co_ci_u32_e32 v4, vcc_lo, 0, v4, vcc_lo
	v_add_co_u32 v3, vcc_lo, 0, v5
	s_delay_alu instid0(VALU_DEP_2)
	v_add_co_ci_u32_e32 v4, vcc_lo, v8, v4, vcc_lo
; %bb.4:
	s_or_b32 exec_lo, exec_lo, s0
	v_mov_b32_dpp v9, v5 row_shr:4 row_mask:0xf bank_mask:0xf
	s_delay_alu instid0(VALU_DEP_2)
	v_mov_b32_dpp v8, v4 row_shr:4 row_mask:0xf bank_mask:0xf
	s_mov_b32 s0, exec_lo
	v_cmpx_lt_u32_e32 3, v6
	;; [unrolled: 14-line block ×3, first 2 shown]
; %bb.7:
	s_delay_alu instid0(VALU_DEP_3) | instskip(SKIP_1) | instid1(VALU_DEP_2)
	v_add_co_u32 v5, vcc_lo, v3, v9
	v_add_co_ci_u32_e32 v4, vcc_lo, 0, v4, vcc_lo
	v_add_co_u32 v3, vcc_lo, 0, v5
	s_delay_alu instid0(VALU_DEP_2)
	v_add_co_ci_u32_e32 v4, vcc_lo, v8, v4, vcc_lo
; %bb.8:
	s_or_b32 exec_lo, exec_lo, s0
	ds_swizzle_b32 v6, v5 offset:swizzle(BROADCAST,32,15)
	ds_swizzle_b32 v5, v4 offset:swizzle(BROADCAST,32,15)
	v_and_b32_e32 v8, 16, v7
	s_mov_b32 s0, exec_lo
	s_delay_alu instid0(VALU_DEP_1)
	v_cmpx_ne_u32_e32 0, v8
	s_cbranch_execz .LBB83_10
; %bb.9:
	s_waitcnt lgkmcnt(1)
	v_add_co_u32 v3, vcc_lo, v3, v6
	v_add_co_ci_u32_e32 v4, vcc_lo, 0, v4, vcc_lo
	s_delay_alu instid0(VALU_DEP_2) | instskip(SKIP_1) | instid1(VALU_DEP_2)
	v_add_co_u32 v3, vcc_lo, v3, 0
	s_waitcnt lgkmcnt(0)
	v_add_co_ci_u32_e32 v4, vcc_lo, v4, v5, vcc_lo
.LBB83_10:
	s_or_b32 exec_lo, exec_lo, s0
	s_waitcnt lgkmcnt(0)
	v_or_b32_e32 v5, 31, v0
	v_lshrrev_b32_e32 v8, 5, v0
	s_mov_b32 s0, exec_lo
	s_delay_alu instid0(VALU_DEP_2)
	v_cmpx_eq_u32_e64 v5, v0
	s_cbranch_execz .LBB83_12
; %bb.11:
	s_delay_alu instid0(VALU_DEP_2)
	v_lshlrev_b32_e32 v5, 3, v8
	ds_store_b64 v5, v[3:4]
.LBB83_12:
	s_or_b32 exec_lo, exec_lo, s0
	s_delay_alu instid0(SALU_CYCLE_1)
	s_mov_b32 s0, exec_lo
	s_waitcnt lgkmcnt(0)
	s_barrier
	buffer_gl0_inv
	v_cmpx_gt_u32_e32 8, v0
	s_cbranch_execz .LBB83_20
; %bb.13:
	v_lshlrev_b32_e32 v9, 3, v0
	s_mov_b32 s1, exec_lo
	ds_load_b64 v[5:6], v9
	s_waitcnt lgkmcnt(0)
	v_dual_mov_b32 v11, v5 :: v_dual_and_b32 v10, 7, v7
	v_mov_b32_dpp v13, v5 row_shr:1 row_mask:0xf bank_mask:0xf
	v_mov_b32_dpp v12, v6 row_shr:1 row_mask:0xf bank_mask:0xf
	s_delay_alu instid0(VALU_DEP_3)
	v_cmpx_ne_u32_e32 0, v10
; %bb.14:
	s_delay_alu instid0(VALU_DEP_3) | instskip(SKIP_1) | instid1(VALU_DEP_2)
	v_add_co_u32 v11, vcc_lo, v5, v13
	v_add_co_ci_u32_e32 v6, vcc_lo, 0, v6, vcc_lo
	v_add_co_u32 v5, vcc_lo, 0, v11
	s_delay_alu instid0(VALU_DEP_2)
	v_add_co_ci_u32_e32 v6, vcc_lo, v12, v6, vcc_lo
; %bb.15:
	s_or_b32 exec_lo, exec_lo, s1
	v_mov_b32_dpp v13, v11 row_shr:2 row_mask:0xf bank_mask:0xf
	s_delay_alu instid0(VALU_DEP_2)
	v_mov_b32_dpp v12, v6 row_shr:2 row_mask:0xf bank_mask:0xf
	s_mov_b32 s1, exec_lo
	v_cmpx_lt_u32_e32 1, v10
; %bb.16:
	s_delay_alu instid0(VALU_DEP_3) | instskip(SKIP_1) | instid1(VALU_DEP_2)
	v_add_co_u32 v11, vcc_lo, v5, v13
	v_add_co_ci_u32_e32 v6, vcc_lo, 0, v6, vcc_lo
	v_add_co_u32 v5, vcc_lo, 0, v11
	s_delay_alu instid0(VALU_DEP_2)
	v_add_co_ci_u32_e32 v6, vcc_lo, v12, v6, vcc_lo
; %bb.17:
	s_or_b32 exec_lo, exec_lo, s1
	v_mov_b32_dpp v12, v11 row_shr:4 row_mask:0xf bank_mask:0xf
	s_delay_alu instid0(VALU_DEP_2)
	v_mov_b32_dpp v11, v6 row_shr:4 row_mask:0xf bank_mask:0xf
	s_mov_b32 s1, exec_lo
	v_cmpx_lt_u32_e32 3, v10
; %bb.18:
	s_delay_alu instid0(VALU_DEP_3) | instskip(SKIP_1) | instid1(VALU_DEP_2)
	v_add_co_u32 v5, vcc_lo, v5, v12
	v_add_co_ci_u32_e32 v6, vcc_lo, 0, v6, vcc_lo
	v_add_co_u32 v5, vcc_lo, v5, 0
	s_delay_alu instid0(VALU_DEP_2)
	v_add_co_ci_u32_e32 v6, vcc_lo, v6, v11, vcc_lo
; %bb.19:
	s_or_b32 exec_lo, exec_lo, s1
	ds_store_b64 v9, v[5:6]
.LBB83_20:
	s_or_b32 exec_lo, exec_lo, s0
	v_dual_mov_b32 v6, s3 :: v_dual_mov_b32 v5, s2
	s_mov_b32 s0, exec_lo
	s_waitcnt lgkmcnt(0)
	s_barrier
	buffer_gl0_inv
	v_cmpx_lt_u32_e32 31, v0
	s_cbranch_execz .LBB83_22
; %bb.21:
	v_lshl_add_u32 v0, v8, 3, -8
	ds_load_b64 v[5:6], v0
	s_waitcnt lgkmcnt(0)
	v_add_co_u32 v5, vcc_lo, v5, s2
	v_add_co_ci_u32_e32 v6, vcc_lo, s3, v6, vcc_lo
.LBB83_22:
	s_or_b32 exec_lo, exec_lo, s0
	v_add_nc_u32_e32 v0, -1, v7
	s_delay_alu instid0(VALU_DEP_1) | instskip(SKIP_3) | instid1(VALU_DEP_3)
	v_cmp_gt_i32_e32 vcc_lo, 0, v0
	v_cndmask_b32_e32 v0, v0, v7, vcc_lo
	v_add_co_u32 v3, vcc_lo, v5, v3
	v_add_co_ci_u32_e32 v4, vcc_lo, v6, v4, vcc_lo
	v_lshlrev_b32_e32 v0, 2, v0
	v_cmp_eq_u32_e32 vcc_lo, 0, v7
	ds_bpermute_b32 v4, v0, v4
	ds_bpermute_b32 v0, v0, v3
	s_waitcnt lgkmcnt(1)
	v_cndmask_b32_e32 v4, v4, v6, vcc_lo
	s_waitcnt lgkmcnt(0)
	v_cndmask_b32_e32 v3, v0, v5, vcc_lo
	global_store_b64 v[1:2], v[3:4], off
	s_nop 0
	s_sendmsg sendmsg(MSG_DEALLOC_VGPRS)
	s_endpgm
	.section	.rodata,"a",@progbits
	.p2align	6, 0x0
	.amdhsa_kernel _Z21exclusive_scan_kernelILj256ELN6hipcub18BlockScanAlgorithmE0ElEvPT1_S2_
		.amdhsa_group_segment_fixed_size 64
		.amdhsa_private_segment_fixed_size 0
		.amdhsa_kernarg_size 16
		.amdhsa_user_sgpr_count 15
		.amdhsa_user_sgpr_dispatch_ptr 0
		.amdhsa_user_sgpr_queue_ptr 0
		.amdhsa_user_sgpr_kernarg_segment_ptr 1
		.amdhsa_user_sgpr_dispatch_id 0
		.amdhsa_user_sgpr_private_segment_size 0
		.amdhsa_wavefront_size32 1
		.amdhsa_uses_dynamic_stack 0
		.amdhsa_enable_private_segment 0
		.amdhsa_system_sgpr_workgroup_id_x 1
		.amdhsa_system_sgpr_workgroup_id_y 0
		.amdhsa_system_sgpr_workgroup_id_z 0
		.amdhsa_system_sgpr_workgroup_info 0
		.amdhsa_system_vgpr_workitem_id 0
		.amdhsa_next_free_vgpr 14
		.amdhsa_next_free_sgpr 16
		.amdhsa_reserve_vcc 1
		.amdhsa_float_round_mode_32 0
		.amdhsa_float_round_mode_16_64 0
		.amdhsa_float_denorm_mode_32 3
		.amdhsa_float_denorm_mode_16_64 3
		.amdhsa_dx10_clamp 1
		.amdhsa_ieee_mode 1
		.amdhsa_fp16_overflow 0
		.amdhsa_workgroup_processor_mode 1
		.amdhsa_memory_ordered 1
		.amdhsa_forward_progress 0
		.amdhsa_shared_vgpr_count 0
		.amdhsa_exception_fp_ieee_invalid_op 0
		.amdhsa_exception_fp_denorm_src 0
		.amdhsa_exception_fp_ieee_div_zero 0
		.amdhsa_exception_fp_ieee_overflow 0
		.amdhsa_exception_fp_ieee_underflow 0
		.amdhsa_exception_fp_ieee_inexact 0
		.amdhsa_exception_int_div_zero 0
	.end_amdhsa_kernel
	.section	.text._Z21exclusive_scan_kernelILj256ELN6hipcub18BlockScanAlgorithmE0ElEvPT1_S2_,"axG",@progbits,_Z21exclusive_scan_kernelILj256ELN6hipcub18BlockScanAlgorithmE0ElEvPT1_S2_,comdat
.Lfunc_end83:
	.size	_Z21exclusive_scan_kernelILj256ELN6hipcub18BlockScanAlgorithmE0ElEvPT1_S2_, .Lfunc_end83-_Z21exclusive_scan_kernelILj256ELN6hipcub18BlockScanAlgorithmE0ElEvPT1_S2_
                                        ; -- End function
	.section	.AMDGPU.csdata,"",@progbits
; Kernel info:
; codeLenInByte = 880
; NumSgprs: 18
; NumVgprs: 14
; ScratchSize: 0
; MemoryBound: 0
; FloatMode: 240
; IeeeMode: 1
; LDSByteSize: 64 bytes/workgroup (compile time only)
; SGPRBlocks: 2
; VGPRBlocks: 1
; NumSGPRsForWavesPerEU: 18
; NumVGPRsForWavesPerEU: 14
; Occupancy: 16
; WaveLimiterHint : 0
; COMPUTE_PGM_RSRC2:SCRATCH_EN: 0
; COMPUTE_PGM_RSRC2:USER_SGPR: 15
; COMPUTE_PGM_RSRC2:TRAP_HANDLER: 0
; COMPUTE_PGM_RSRC2:TGID_X_EN: 1
; COMPUTE_PGM_RSRC2:TGID_Y_EN: 0
; COMPUTE_PGM_RSRC2:TGID_Z_EN: 0
; COMPUTE_PGM_RSRC2:TIDIG_COMP_CNT: 0
	.section	.text._Z21exclusive_scan_kernelILj64ELN6hipcub18BlockScanAlgorithmE0ElEvPT1_S2_,"axG",@progbits,_Z21exclusive_scan_kernelILj64ELN6hipcub18BlockScanAlgorithmE0ElEvPT1_S2_,comdat
	.protected	_Z21exclusive_scan_kernelILj64ELN6hipcub18BlockScanAlgorithmE0ElEvPT1_S2_ ; -- Begin function _Z21exclusive_scan_kernelILj64ELN6hipcub18BlockScanAlgorithmE0ElEvPT1_S2_
	.globl	_Z21exclusive_scan_kernelILj64ELN6hipcub18BlockScanAlgorithmE0ElEvPT1_S2_
	.p2align	8
	.type	_Z21exclusive_scan_kernelILj64ELN6hipcub18BlockScanAlgorithmE0ElEvPT1_S2_,@function
_Z21exclusive_scan_kernelILj64ELN6hipcub18BlockScanAlgorithmE0ElEvPT1_S2_: ; @_Z21exclusive_scan_kernelILj64ELN6hipcub18BlockScanAlgorithmE0ElEvPT1_S2_
; %bb.0:
	s_load_b128 s[0:3], s[0:1], 0x0
	v_mov_b32_e32 v2, 0
	v_lshl_or_b32 v1, s15, 6, v0
	v_mbcnt_lo_u32_b32 v7, -1, 0
	s_delay_alu instid0(VALU_DEP_2) | instskip(NEXT) | instid1(VALU_DEP_2)
	v_lshlrev_b64 v[1:2], 3, v[1:2]
	v_and_b32_e32 v6, 15, v7
	s_waitcnt lgkmcnt(0)
	s_delay_alu instid0(VALU_DEP_2) | instskip(NEXT) | instid1(VALU_DEP_3)
	v_add_co_u32 v1, vcc_lo, s0, v1
	v_add_co_ci_u32_e32 v2, vcc_lo, s1, v2, vcc_lo
	s_mov_b32 s0, exec_lo
	global_load_b64 v[3:4], v[1:2], off
	s_waitcnt vmcnt(0)
	v_mov_b32_e32 v5, v3
	v_mov_b32_dpp v9, v3 row_shr:1 row_mask:0xf bank_mask:0xf
	v_mov_b32_dpp v8, v4 row_shr:1 row_mask:0xf bank_mask:0xf
	v_cmpx_ne_u32_e32 0, v6
; %bb.1:
	s_delay_alu instid0(VALU_DEP_3) | instskip(SKIP_1) | instid1(VALU_DEP_2)
	v_add_co_u32 v5, vcc_lo, v3, v9
	v_add_co_ci_u32_e32 v4, vcc_lo, 0, v4, vcc_lo
	v_add_co_u32 v3, vcc_lo, 0, v5
	s_delay_alu instid0(VALU_DEP_2)
	v_add_co_ci_u32_e32 v4, vcc_lo, v8, v4, vcc_lo
; %bb.2:
	s_or_b32 exec_lo, exec_lo, s0
	v_mov_b32_dpp v9, v5 row_shr:2 row_mask:0xf bank_mask:0xf
	s_delay_alu instid0(VALU_DEP_2)
	v_mov_b32_dpp v8, v4 row_shr:2 row_mask:0xf bank_mask:0xf
	s_mov_b32 s0, exec_lo
	v_cmpx_lt_u32_e32 1, v6
; %bb.3:
	s_delay_alu instid0(VALU_DEP_3) | instskip(SKIP_1) | instid1(VALU_DEP_2)
	v_add_co_u32 v5, vcc_lo, v3, v9
	v_add_co_ci_u32_e32 v4, vcc_lo, 0, v4, vcc_lo
	v_add_co_u32 v3, vcc_lo, 0, v5
	s_delay_alu instid0(VALU_DEP_2)
	v_add_co_ci_u32_e32 v4, vcc_lo, v8, v4, vcc_lo
; %bb.4:
	s_or_b32 exec_lo, exec_lo, s0
	v_mov_b32_dpp v9, v5 row_shr:4 row_mask:0xf bank_mask:0xf
	s_delay_alu instid0(VALU_DEP_2)
	v_mov_b32_dpp v8, v4 row_shr:4 row_mask:0xf bank_mask:0xf
	s_mov_b32 s0, exec_lo
	v_cmpx_lt_u32_e32 3, v6
	;; [unrolled: 14-line block ×3, first 2 shown]
; %bb.7:
	s_delay_alu instid0(VALU_DEP_3) | instskip(SKIP_1) | instid1(VALU_DEP_2)
	v_add_co_u32 v5, vcc_lo, v3, v9
	v_add_co_ci_u32_e32 v4, vcc_lo, 0, v4, vcc_lo
	v_add_co_u32 v3, vcc_lo, 0, v5
	s_delay_alu instid0(VALU_DEP_2)
	v_add_co_ci_u32_e32 v4, vcc_lo, v8, v4, vcc_lo
; %bb.8:
	s_or_b32 exec_lo, exec_lo, s0
	ds_swizzle_b32 v6, v5 offset:swizzle(BROADCAST,32,15)
	ds_swizzle_b32 v5, v4 offset:swizzle(BROADCAST,32,15)
	v_and_b32_e32 v8, 16, v7
	s_mov_b32 s0, exec_lo
	s_delay_alu instid0(VALU_DEP_1)
	v_cmpx_ne_u32_e32 0, v8
	s_cbranch_execz .LBB84_10
; %bb.9:
	s_waitcnt lgkmcnt(1)
	v_add_co_u32 v3, vcc_lo, v3, v6
	v_add_co_ci_u32_e32 v4, vcc_lo, 0, v4, vcc_lo
	s_delay_alu instid0(VALU_DEP_2) | instskip(SKIP_1) | instid1(VALU_DEP_2)
	v_add_co_u32 v3, vcc_lo, v3, 0
	s_waitcnt lgkmcnt(0)
	v_add_co_ci_u32_e32 v4, vcc_lo, v4, v5, vcc_lo
.LBB84_10:
	s_or_b32 exec_lo, exec_lo, s0
	s_waitcnt lgkmcnt(0)
	v_or_b32_e32 v5, 31, v0
	v_lshrrev_b32_e32 v8, 5, v0
	s_mov_b32 s0, exec_lo
	s_delay_alu instid0(VALU_DEP_2)
	v_cmpx_eq_u32_e64 v5, v0
	s_cbranch_execz .LBB84_12
; %bb.11:
	s_delay_alu instid0(VALU_DEP_2)
	v_lshlrev_b32_e32 v5, 3, v8
	ds_store_b64 v5, v[3:4]
.LBB84_12:
	s_or_b32 exec_lo, exec_lo, s0
	s_delay_alu instid0(SALU_CYCLE_1)
	s_mov_b32 s0, exec_lo
	s_waitcnt lgkmcnt(0)
	s_barrier
	buffer_gl0_inv
	v_cmpx_gt_u32_e32 2, v0
	s_cbranch_execz .LBB84_16
; %bb.13:
	v_lshlrev_b32_e32 v9, 3, v0
	v_and_b32_e32 v12, 1, v7
	s_mov_b32 s1, exec_lo
	ds_load_b64 v[5:6], v9
	s_waitcnt lgkmcnt(0)
	v_mov_b32_dpp v11, v5 row_shr:1 row_mask:0xf bank_mask:0xf
	v_mov_b32_dpp v10, v6 row_shr:1 row_mask:0xf bank_mask:0xf
	v_cmpx_eq_u32_e32 1, v12
; %bb.14:
	s_delay_alu instid0(VALU_DEP_3) | instskip(SKIP_1) | instid1(VALU_DEP_2)
	v_add_co_u32 v5, vcc_lo, v5, v11
	v_add_co_ci_u32_e32 v6, vcc_lo, 0, v6, vcc_lo
	v_add_co_u32 v5, vcc_lo, v5, 0
	s_delay_alu instid0(VALU_DEP_2)
	v_add_co_ci_u32_e32 v6, vcc_lo, v6, v10, vcc_lo
; %bb.15:
	s_or_b32 exec_lo, exec_lo, s1
	ds_store_b64 v9, v[5:6]
.LBB84_16:
	s_or_b32 exec_lo, exec_lo, s0
	v_dual_mov_b32 v6, s3 :: v_dual_mov_b32 v5, s2
	s_mov_b32 s0, exec_lo
	s_waitcnt lgkmcnt(0)
	s_barrier
	buffer_gl0_inv
	v_cmpx_lt_u32_e32 31, v0
	s_cbranch_execz .LBB84_18
; %bb.17:
	v_lshl_add_u32 v0, v8, 3, -8
	ds_load_b64 v[5:6], v0
	s_waitcnt lgkmcnt(0)
	v_add_co_u32 v5, vcc_lo, v5, s2
	v_add_co_ci_u32_e32 v6, vcc_lo, s3, v6, vcc_lo
.LBB84_18:
	s_or_b32 exec_lo, exec_lo, s0
	v_add_nc_u32_e32 v0, -1, v7
	s_delay_alu instid0(VALU_DEP_1) | instskip(SKIP_3) | instid1(VALU_DEP_3)
	v_cmp_gt_i32_e32 vcc_lo, 0, v0
	v_cndmask_b32_e32 v0, v0, v7, vcc_lo
	v_add_co_u32 v3, vcc_lo, v5, v3
	v_add_co_ci_u32_e32 v4, vcc_lo, v6, v4, vcc_lo
	v_lshlrev_b32_e32 v0, 2, v0
	v_cmp_eq_u32_e32 vcc_lo, 0, v7
	ds_bpermute_b32 v4, v0, v4
	ds_bpermute_b32 v0, v0, v3
	s_waitcnt lgkmcnt(1)
	v_cndmask_b32_e32 v4, v4, v6, vcc_lo
	s_waitcnt lgkmcnt(0)
	v_cndmask_b32_e32 v3, v0, v5, vcc_lo
	global_store_b64 v[1:2], v[3:4], off
	s_nop 0
	s_sendmsg sendmsg(MSG_DEALLOC_VGPRS)
	s_endpgm
	.section	.rodata,"a",@progbits
	.p2align	6, 0x0
	.amdhsa_kernel _Z21exclusive_scan_kernelILj64ELN6hipcub18BlockScanAlgorithmE0ElEvPT1_S2_
		.amdhsa_group_segment_fixed_size 16
		.amdhsa_private_segment_fixed_size 0
		.amdhsa_kernarg_size 16
		.amdhsa_user_sgpr_count 15
		.amdhsa_user_sgpr_dispatch_ptr 0
		.amdhsa_user_sgpr_queue_ptr 0
		.amdhsa_user_sgpr_kernarg_segment_ptr 1
		.amdhsa_user_sgpr_dispatch_id 0
		.amdhsa_user_sgpr_private_segment_size 0
		.amdhsa_wavefront_size32 1
		.amdhsa_uses_dynamic_stack 0
		.amdhsa_enable_private_segment 0
		.amdhsa_system_sgpr_workgroup_id_x 1
		.amdhsa_system_sgpr_workgroup_id_y 0
		.amdhsa_system_sgpr_workgroup_id_z 0
		.amdhsa_system_sgpr_workgroup_info 0
		.amdhsa_system_vgpr_workitem_id 0
		.amdhsa_next_free_vgpr 13
		.amdhsa_next_free_sgpr 16
		.amdhsa_reserve_vcc 1
		.amdhsa_float_round_mode_32 0
		.amdhsa_float_round_mode_16_64 0
		.amdhsa_float_denorm_mode_32 3
		.amdhsa_float_denorm_mode_16_64 3
		.amdhsa_dx10_clamp 1
		.amdhsa_ieee_mode 1
		.amdhsa_fp16_overflow 0
		.amdhsa_workgroup_processor_mode 1
		.amdhsa_memory_ordered 1
		.amdhsa_forward_progress 0
		.amdhsa_shared_vgpr_count 0
		.amdhsa_exception_fp_ieee_invalid_op 0
		.amdhsa_exception_fp_denorm_src 0
		.amdhsa_exception_fp_ieee_div_zero 0
		.amdhsa_exception_fp_ieee_overflow 0
		.amdhsa_exception_fp_ieee_underflow 0
		.amdhsa_exception_fp_ieee_inexact 0
		.amdhsa_exception_int_div_zero 0
	.end_amdhsa_kernel
	.section	.text._Z21exclusive_scan_kernelILj64ELN6hipcub18BlockScanAlgorithmE0ElEvPT1_S2_,"axG",@progbits,_Z21exclusive_scan_kernelILj64ELN6hipcub18BlockScanAlgorithmE0ElEvPT1_S2_,comdat
.Lfunc_end84:
	.size	_Z21exclusive_scan_kernelILj64ELN6hipcub18BlockScanAlgorithmE0ElEvPT1_S2_, .Lfunc_end84-_Z21exclusive_scan_kernelILj64ELN6hipcub18BlockScanAlgorithmE0ElEvPT1_S2_
                                        ; -- End function
	.section	.AMDGPU.csdata,"",@progbits
; Kernel info:
; codeLenInByte = 744
; NumSgprs: 18
; NumVgprs: 13
; ScratchSize: 0
; MemoryBound: 0
; FloatMode: 240
; IeeeMode: 1
; LDSByteSize: 16 bytes/workgroup (compile time only)
; SGPRBlocks: 2
; VGPRBlocks: 1
; NumSGPRsForWavesPerEU: 18
; NumVGPRsForWavesPerEU: 13
; Occupancy: 16
; WaveLimiterHint : 0
; COMPUTE_PGM_RSRC2:SCRATCH_EN: 0
; COMPUTE_PGM_RSRC2:USER_SGPR: 15
; COMPUTE_PGM_RSRC2:TRAP_HANDLER: 0
; COMPUTE_PGM_RSRC2:TGID_X_EN: 1
; COMPUTE_PGM_RSRC2:TGID_Y_EN: 0
; COMPUTE_PGM_RSRC2:TGID_Z_EN: 0
; COMPUTE_PGM_RSRC2:TIDIG_COMP_CNT: 0
	.section	.text._Z21exclusive_scan_kernelILj377ELN6hipcub18BlockScanAlgorithmE0EjEvPT1_S2_,"axG",@progbits,_Z21exclusive_scan_kernelILj377ELN6hipcub18BlockScanAlgorithmE0EjEvPT1_S2_,comdat
	.protected	_Z21exclusive_scan_kernelILj377ELN6hipcub18BlockScanAlgorithmE0EjEvPT1_S2_ ; -- Begin function _Z21exclusive_scan_kernelILj377ELN6hipcub18BlockScanAlgorithmE0EjEvPT1_S2_
	.globl	_Z21exclusive_scan_kernelILj377ELN6hipcub18BlockScanAlgorithmE0EjEvPT1_S2_
	.p2align	8
	.type	_Z21exclusive_scan_kernelILj377ELN6hipcub18BlockScanAlgorithmE0EjEvPT1_S2_,@function
_Z21exclusive_scan_kernelILj377ELN6hipcub18BlockScanAlgorithmE0EjEvPT1_S2_: ; @_Z21exclusive_scan_kernelILj377ELN6hipcub18BlockScanAlgorithmE0EjEvPT1_S2_
; %bb.0:
	s_load_b64 s[2:3], s[0:1], 0x0
	v_mad_u64_u32 v[1:2], null, 0x179, s15, v[0:1]
	v_mbcnt_lo_u32_b32 v3, -1, 0
	v_mov_b32_e32 v2, 0
	s_mov_b32 s6, exec_lo
	s_delay_alu instid0(VALU_DEP_2) | instskip(NEXT) | instid1(VALU_DEP_2)
	v_and_b32_e32 v5, 15, v3
	v_lshlrev_b64 v[1:2], 2, v[1:2]
	v_bfe_i32 v7, v3, 4, 1
	s_delay_alu instid0(VALU_DEP_3) | instskip(SKIP_1) | instid1(VALU_DEP_3)
	v_cmp_lt_u32_e64 s4, 7, v5
	s_waitcnt lgkmcnt(0)
	v_add_co_u32 v1, vcc_lo, s2, v1
	s_delay_alu instid0(VALU_DEP_4)
	v_add_co_ci_u32_e32 v2, vcc_lo, s3, v2, vcc_lo
	v_cmp_eq_u32_e32 vcc_lo, 0, v5
	v_cmp_lt_u32_e64 s2, 1, v5
	v_cmp_lt_u32_e64 s3, 3, v5
	global_load_b32 v4, v[1:2], off
	s_waitcnt vmcnt(0)
	v_mov_b32_dpp v6, v4 row_shr:1 row_mask:0xf bank_mask:0xf
	s_delay_alu instid0(VALU_DEP_1) | instskip(NEXT) | instid1(VALU_DEP_1)
	v_cndmask_b32_e64 v6, v6, 0, vcc_lo
	v_add_nc_u32_e32 v4, v6, v4
	s_delay_alu instid0(VALU_DEP_1) | instskip(NEXT) | instid1(VALU_DEP_1)
	v_mov_b32_dpp v6, v4 row_shr:2 row_mask:0xf bank_mask:0xf
	v_cndmask_b32_e64 v6, 0, v6, s2
	s_delay_alu instid0(VALU_DEP_1) | instskip(NEXT) | instid1(VALU_DEP_1)
	v_add_nc_u32_e32 v4, v4, v6
	v_mov_b32_dpp v6, v4 row_shr:4 row_mask:0xf bank_mask:0xf
	s_delay_alu instid0(VALU_DEP_1) | instskip(NEXT) | instid1(VALU_DEP_1)
	v_cndmask_b32_e64 v6, 0, v6, s3
	v_add_nc_u32_e32 v4, v4, v6
	s_delay_alu instid0(VALU_DEP_1) | instskip(NEXT) | instid1(VALU_DEP_1)
	v_mov_b32_dpp v6, v4 row_shr:8 row_mask:0xf bank_mask:0xf
	v_cndmask_b32_e64 v5, 0, v6, s4
	v_and_b32_e32 v6, 0x1e0, v0
	s_delay_alu instid0(VALU_DEP_2) | instskip(NEXT) | instid1(VALU_DEP_2)
	v_add_nc_u32_e32 v4, v4, v5
	v_min_u32_e32 v6, 0x159, v6
	ds_swizzle_b32 v5, v4 offset:swizzle(BROADCAST,32,15)
	v_add_nc_u32_e32 v6, 31, v6
	s_waitcnt lgkmcnt(0)
	v_and_b32_e32 v7, v7, v5
	v_lshrrev_b32_e32 v5, 5, v0
	s_delay_alu instid0(VALU_DEP_2)
	v_add_nc_u32_e32 v4, v4, v7
	v_cmpx_eq_u32_e64 v6, v0
	s_cbranch_execz .LBB85_2
; %bb.1:
	s_delay_alu instid0(VALU_DEP_3)
	v_lshlrev_b32_e32 v6, 2, v5
	ds_store_b32 v6, v4
.LBB85_2:
	s_or_b32 exec_lo, exec_lo, s6
	s_delay_alu instid0(SALU_CYCLE_1)
	s_mov_b32 s6, exec_lo
	s_waitcnt lgkmcnt(0)
	s_barrier
	buffer_gl0_inv
	v_cmpx_gt_u32_e32 12, v0
	s_cbranch_execz .LBB85_4
; %bb.3:
	v_lshlrev_b32_e32 v6, 2, v0
	ds_load_b32 v7, v6
	s_waitcnt lgkmcnt(0)
	v_mov_b32_dpp v8, v7 row_shr:1 row_mask:0xf bank_mask:0xf
	s_delay_alu instid0(VALU_DEP_1) | instskip(NEXT) | instid1(VALU_DEP_1)
	v_cndmask_b32_e64 v8, v8, 0, vcc_lo
	v_add_nc_u32_e32 v7, v8, v7
	s_delay_alu instid0(VALU_DEP_1) | instskip(NEXT) | instid1(VALU_DEP_1)
	v_mov_b32_dpp v8, v7 row_shr:2 row_mask:0xf bank_mask:0xf
	v_cndmask_b32_e64 v8, 0, v8, s2
	s_delay_alu instid0(VALU_DEP_1) | instskip(NEXT) | instid1(VALU_DEP_1)
	v_add_nc_u32_e32 v7, v7, v8
	v_mov_b32_dpp v8, v7 row_shr:4 row_mask:0xf bank_mask:0xf
	s_delay_alu instid0(VALU_DEP_1) | instskip(NEXT) | instid1(VALU_DEP_1)
	v_cndmask_b32_e64 v8, 0, v8, s3
	v_add_nc_u32_e32 v7, v7, v8
	s_delay_alu instid0(VALU_DEP_1) | instskip(NEXT) | instid1(VALU_DEP_1)
	v_mov_b32_dpp v8, v7 row_shr:8 row_mask:0xf bank_mask:0xf
	v_cndmask_b32_e64 v8, 0, v8, s4
	s_delay_alu instid0(VALU_DEP_1)
	v_add_nc_u32_e32 v7, v7, v8
	ds_store_b32 v6, v7
.LBB85_4:
	s_or_b32 exec_lo, exec_lo, s6
	s_load_b32 s0, s[0:1], 0x8
	v_cmp_lt_u32_e32 vcc_lo, 31, v0
	s_waitcnt lgkmcnt(0)
	s_barrier
	buffer_gl0_inv
	v_mov_b32_e32 v0, s0
	s_and_saveexec_b32 s1, vcc_lo
	s_cbranch_execz .LBB85_6
; %bb.5:
	v_lshl_add_u32 v0, v5, 2, -4
	ds_load_b32 v0, v0
	s_waitcnt lgkmcnt(0)
	v_add_nc_u32_e32 v0, s0, v0
.LBB85_6:
	s_or_b32 exec_lo, exec_lo, s1
	v_add_nc_u32_e32 v5, -1, v3
	s_delay_alu instid0(VALU_DEP_2) | instskip(NEXT) | instid1(VALU_DEP_2)
	v_add_nc_u32_e32 v4, v0, v4
	v_cmp_gt_i32_e32 vcc_lo, 0, v5
	v_cndmask_b32_e32 v5, v5, v3, vcc_lo
	v_cmp_eq_u32_e32 vcc_lo, 0, v3
	s_delay_alu instid0(VALU_DEP_2)
	v_lshlrev_b32_e32 v5, 2, v5
	ds_bpermute_b32 v4, v5, v4
	s_waitcnt lgkmcnt(0)
	v_cndmask_b32_e32 v0, v4, v0, vcc_lo
	global_store_b32 v[1:2], v0, off
	s_nop 0
	s_sendmsg sendmsg(MSG_DEALLOC_VGPRS)
	s_endpgm
	.section	.rodata,"a",@progbits
	.p2align	6, 0x0
	.amdhsa_kernel _Z21exclusive_scan_kernelILj377ELN6hipcub18BlockScanAlgorithmE0EjEvPT1_S2_
		.amdhsa_group_segment_fixed_size 48
		.amdhsa_private_segment_fixed_size 0
		.amdhsa_kernarg_size 12
		.amdhsa_user_sgpr_count 15
		.amdhsa_user_sgpr_dispatch_ptr 0
		.amdhsa_user_sgpr_queue_ptr 0
		.amdhsa_user_sgpr_kernarg_segment_ptr 1
		.amdhsa_user_sgpr_dispatch_id 0
		.amdhsa_user_sgpr_private_segment_size 0
		.amdhsa_wavefront_size32 1
		.amdhsa_uses_dynamic_stack 0
		.amdhsa_enable_private_segment 0
		.amdhsa_system_sgpr_workgroup_id_x 1
		.amdhsa_system_sgpr_workgroup_id_y 0
		.amdhsa_system_sgpr_workgroup_id_z 0
		.amdhsa_system_sgpr_workgroup_info 0
		.amdhsa_system_vgpr_workitem_id 0
		.amdhsa_next_free_vgpr 9
		.amdhsa_next_free_sgpr 16
		.amdhsa_reserve_vcc 1
		.amdhsa_float_round_mode_32 0
		.amdhsa_float_round_mode_16_64 0
		.amdhsa_float_denorm_mode_32 3
		.amdhsa_float_denorm_mode_16_64 3
		.amdhsa_dx10_clamp 1
		.amdhsa_ieee_mode 1
		.amdhsa_fp16_overflow 0
		.amdhsa_workgroup_processor_mode 1
		.amdhsa_memory_ordered 1
		.amdhsa_forward_progress 0
		.amdhsa_shared_vgpr_count 0
		.amdhsa_exception_fp_ieee_invalid_op 0
		.amdhsa_exception_fp_denorm_src 0
		.amdhsa_exception_fp_ieee_div_zero 0
		.amdhsa_exception_fp_ieee_overflow 0
		.amdhsa_exception_fp_ieee_underflow 0
		.amdhsa_exception_fp_ieee_inexact 0
		.amdhsa_exception_int_div_zero 0
	.end_amdhsa_kernel
	.section	.text._Z21exclusive_scan_kernelILj377ELN6hipcub18BlockScanAlgorithmE0EjEvPT1_S2_,"axG",@progbits,_Z21exclusive_scan_kernelILj377ELN6hipcub18BlockScanAlgorithmE0EjEvPT1_S2_,comdat
.Lfunc_end85:
	.size	_Z21exclusive_scan_kernelILj377ELN6hipcub18BlockScanAlgorithmE0EjEvPT1_S2_, .Lfunc_end85-_Z21exclusive_scan_kernelILj377ELN6hipcub18BlockScanAlgorithmE0EjEvPT1_S2_
                                        ; -- End function
	.section	.AMDGPU.csdata,"",@progbits
; Kernel info:
; codeLenInByte = 608
; NumSgprs: 18
; NumVgprs: 9
; ScratchSize: 0
; MemoryBound: 0
; FloatMode: 240
; IeeeMode: 1
; LDSByteSize: 48 bytes/workgroup (compile time only)
; SGPRBlocks: 2
; VGPRBlocks: 1
; NumSGPRsForWavesPerEU: 18
; NumVGPRsForWavesPerEU: 9
; Occupancy: 15
; WaveLimiterHint : 0
; COMPUTE_PGM_RSRC2:SCRATCH_EN: 0
; COMPUTE_PGM_RSRC2:USER_SGPR: 15
; COMPUTE_PGM_RSRC2:TRAP_HANDLER: 0
; COMPUTE_PGM_RSRC2:TGID_X_EN: 1
; COMPUTE_PGM_RSRC2:TGID_Y_EN: 0
; COMPUTE_PGM_RSRC2:TGID_Z_EN: 0
; COMPUTE_PGM_RSRC2:TIDIG_COMP_CNT: 0
	.section	.text._Z21exclusive_scan_kernelILj256ELN6hipcub18BlockScanAlgorithmE0EjEvPT1_S2_,"axG",@progbits,_Z21exclusive_scan_kernelILj256ELN6hipcub18BlockScanAlgorithmE0EjEvPT1_S2_,comdat
	.protected	_Z21exclusive_scan_kernelILj256ELN6hipcub18BlockScanAlgorithmE0EjEvPT1_S2_ ; -- Begin function _Z21exclusive_scan_kernelILj256ELN6hipcub18BlockScanAlgorithmE0EjEvPT1_S2_
	.globl	_Z21exclusive_scan_kernelILj256ELN6hipcub18BlockScanAlgorithmE0EjEvPT1_S2_
	.p2align	8
	.type	_Z21exclusive_scan_kernelILj256ELN6hipcub18BlockScanAlgorithmE0EjEvPT1_S2_,@function
_Z21exclusive_scan_kernelILj256ELN6hipcub18BlockScanAlgorithmE0EjEvPT1_S2_: ; @_Z21exclusive_scan_kernelILj256ELN6hipcub18BlockScanAlgorithmE0EjEvPT1_S2_
; %bb.0:
	s_load_b64 s[2:3], s[0:1], 0x0
	v_lshl_or_b32 v1, s15, 8, v0
	v_mbcnt_lo_u32_b32 v3, -1, 0
	v_mov_b32_e32 v2, 0
	v_or_b32_e32 v7, 31, v0
	s_delay_alu instid0(VALU_DEP_3) | instskip(NEXT) | instid1(VALU_DEP_3)
	v_and_b32_e32 v5, 15, v3
	v_lshlrev_b64 v[1:2], 2, v[1:2]
	s_waitcnt lgkmcnt(0)
	s_delay_alu instid0(VALU_DEP_1) | instskip(NEXT) | instid1(VALU_DEP_2)
	v_add_co_u32 v1, vcc_lo, s2, v1
	v_add_co_ci_u32_e32 v2, vcc_lo, s3, v2, vcc_lo
	v_cmp_ne_u32_e32 vcc_lo, 0, v5
	s_mov_b32 s2, exec_lo
	global_load_b32 v4, v[1:2], off
	s_waitcnt vmcnt(0)
	v_mov_b32_dpp v6, v4 row_shr:1 row_mask:0xf bank_mask:0xf
	s_delay_alu instid0(VALU_DEP_1) | instskip(SKIP_1) | instid1(VALU_DEP_2)
	v_cndmask_b32_e32 v6, 0, v6, vcc_lo
	v_cmp_lt_u32_e32 vcc_lo, 1, v5
	v_add_nc_u32_e32 v4, v6, v4
	s_delay_alu instid0(VALU_DEP_1) | instskip(NEXT) | instid1(VALU_DEP_1)
	v_mov_b32_dpp v6, v4 row_shr:2 row_mask:0xf bank_mask:0xf
	v_cndmask_b32_e32 v6, 0, v6, vcc_lo
	v_cmp_lt_u32_e32 vcc_lo, 3, v5
	s_delay_alu instid0(VALU_DEP_2) | instskip(NEXT) | instid1(VALU_DEP_1)
	v_add_nc_u32_e32 v4, v4, v6
	v_mov_b32_dpp v6, v4 row_shr:4 row_mask:0xf bank_mask:0xf
	s_delay_alu instid0(VALU_DEP_1) | instskip(SKIP_1) | instid1(VALU_DEP_2)
	v_cndmask_b32_e32 v6, 0, v6, vcc_lo
	v_cmp_lt_u32_e32 vcc_lo, 7, v5
	v_add_nc_u32_e32 v4, v4, v6
	s_delay_alu instid0(VALU_DEP_1) | instskip(NEXT) | instid1(VALU_DEP_1)
	v_mov_b32_dpp v6, v4 row_shr:8 row_mask:0xf bank_mask:0xf
	v_cndmask_b32_e32 v5, 0, v6, vcc_lo
	v_bfe_i32 v6, v3, 4, 1
	s_delay_alu instid0(VALU_DEP_2) | instskip(SKIP_4) | instid1(VALU_DEP_2)
	v_add_nc_u32_e32 v4, v4, v5
	ds_swizzle_b32 v5, v4 offset:swizzle(BROADCAST,32,15)
	s_waitcnt lgkmcnt(0)
	v_and_b32_e32 v6, v6, v5
	v_lshrrev_b32_e32 v5, 5, v0
	v_add_nc_u32_e32 v4, v4, v6
	v_cmpx_eq_u32_e64 v7, v0
	s_cbranch_execz .LBB86_2
; %bb.1:
	s_delay_alu instid0(VALU_DEP_3)
	v_lshlrev_b32_e32 v6, 2, v5
	ds_store_b32 v6, v4
.LBB86_2:
	s_or_b32 exec_lo, exec_lo, s2
	s_delay_alu instid0(SALU_CYCLE_1)
	s_mov_b32 s2, exec_lo
	s_waitcnt lgkmcnt(0)
	s_barrier
	buffer_gl0_inv
	v_cmpx_gt_u32_e32 8, v0
	s_cbranch_execz .LBB86_4
; %bb.3:
	v_and_b32_e32 v8, 7, v3
	s_delay_alu instid0(VALU_DEP_1) | instskip(SKIP_4) | instid1(VALU_DEP_1)
	v_cmp_ne_u32_e32 vcc_lo, 0, v8
	v_lshlrev_b32_e32 v6, 2, v0
	ds_load_b32 v7, v6
	s_waitcnt lgkmcnt(0)
	v_mov_b32_dpp v9, v7 row_shr:1 row_mask:0xf bank_mask:0xf
	v_cndmask_b32_e32 v9, 0, v9, vcc_lo
	v_cmp_lt_u32_e32 vcc_lo, 1, v8
	s_delay_alu instid0(VALU_DEP_2) | instskip(NEXT) | instid1(VALU_DEP_1)
	v_add_nc_u32_e32 v7, v9, v7
	v_mov_b32_dpp v9, v7 row_shr:2 row_mask:0xf bank_mask:0xf
	s_delay_alu instid0(VALU_DEP_1) | instskip(SKIP_1) | instid1(VALU_DEP_2)
	v_cndmask_b32_e32 v9, 0, v9, vcc_lo
	v_cmp_lt_u32_e32 vcc_lo, 3, v8
	v_add_nc_u32_e32 v7, v7, v9
	s_delay_alu instid0(VALU_DEP_1) | instskip(NEXT) | instid1(VALU_DEP_1)
	v_mov_b32_dpp v9, v7 row_shr:4 row_mask:0xf bank_mask:0xf
	v_cndmask_b32_e32 v8, 0, v9, vcc_lo
	s_delay_alu instid0(VALU_DEP_1)
	v_add_nc_u32_e32 v7, v7, v8
	ds_store_b32 v6, v7
.LBB86_4:
	s_or_b32 exec_lo, exec_lo, s2
	s_load_b32 s0, s[0:1], 0x8
	v_cmp_lt_u32_e32 vcc_lo, 31, v0
	s_waitcnt lgkmcnt(0)
	s_barrier
	buffer_gl0_inv
	v_mov_b32_e32 v0, s0
	s_and_saveexec_b32 s1, vcc_lo
	s_cbranch_execz .LBB86_6
; %bb.5:
	v_lshl_add_u32 v0, v5, 2, -4
	ds_load_b32 v0, v0
	s_waitcnt lgkmcnt(0)
	v_add_nc_u32_e32 v0, s0, v0
.LBB86_6:
	s_or_b32 exec_lo, exec_lo, s1
	v_add_nc_u32_e32 v5, -1, v3
	s_delay_alu instid0(VALU_DEP_2) | instskip(NEXT) | instid1(VALU_DEP_2)
	v_add_nc_u32_e32 v4, v0, v4
	v_cmp_gt_i32_e32 vcc_lo, 0, v5
	v_cndmask_b32_e32 v5, v5, v3, vcc_lo
	v_cmp_eq_u32_e32 vcc_lo, 0, v3
	s_delay_alu instid0(VALU_DEP_2)
	v_lshlrev_b32_e32 v5, 2, v5
	ds_bpermute_b32 v4, v5, v4
	s_waitcnt lgkmcnt(0)
	v_cndmask_b32_e32 v0, v4, v0, vcc_lo
	global_store_b32 v[1:2], v0, off
	s_nop 0
	s_sendmsg sendmsg(MSG_DEALLOC_VGPRS)
	s_endpgm
	.section	.rodata,"a",@progbits
	.p2align	6, 0x0
	.amdhsa_kernel _Z21exclusive_scan_kernelILj256ELN6hipcub18BlockScanAlgorithmE0EjEvPT1_S2_
		.amdhsa_group_segment_fixed_size 32
		.amdhsa_private_segment_fixed_size 0
		.amdhsa_kernarg_size 12
		.amdhsa_user_sgpr_count 15
		.amdhsa_user_sgpr_dispatch_ptr 0
		.amdhsa_user_sgpr_queue_ptr 0
		.amdhsa_user_sgpr_kernarg_segment_ptr 1
		.amdhsa_user_sgpr_dispatch_id 0
		.amdhsa_user_sgpr_private_segment_size 0
		.amdhsa_wavefront_size32 1
		.amdhsa_uses_dynamic_stack 0
		.amdhsa_enable_private_segment 0
		.amdhsa_system_sgpr_workgroup_id_x 1
		.amdhsa_system_sgpr_workgroup_id_y 0
		.amdhsa_system_sgpr_workgroup_id_z 0
		.amdhsa_system_sgpr_workgroup_info 0
		.amdhsa_system_vgpr_workitem_id 0
		.amdhsa_next_free_vgpr 10
		.amdhsa_next_free_sgpr 16
		.amdhsa_reserve_vcc 1
		.amdhsa_float_round_mode_32 0
		.amdhsa_float_round_mode_16_64 0
		.amdhsa_float_denorm_mode_32 3
		.amdhsa_float_denorm_mode_16_64 3
		.amdhsa_dx10_clamp 1
		.amdhsa_ieee_mode 1
		.amdhsa_fp16_overflow 0
		.amdhsa_workgroup_processor_mode 1
		.amdhsa_memory_ordered 1
		.amdhsa_forward_progress 0
		.amdhsa_shared_vgpr_count 0
		.amdhsa_exception_fp_ieee_invalid_op 0
		.amdhsa_exception_fp_denorm_src 0
		.amdhsa_exception_fp_ieee_div_zero 0
		.amdhsa_exception_fp_ieee_overflow 0
		.amdhsa_exception_fp_ieee_underflow 0
		.amdhsa_exception_fp_ieee_inexact 0
		.amdhsa_exception_int_div_zero 0
	.end_amdhsa_kernel
	.section	.text._Z21exclusive_scan_kernelILj256ELN6hipcub18BlockScanAlgorithmE0EjEvPT1_S2_,"axG",@progbits,_Z21exclusive_scan_kernelILj256ELN6hipcub18BlockScanAlgorithmE0EjEvPT1_S2_,comdat
.Lfunc_end86:
	.size	_Z21exclusive_scan_kernelILj256ELN6hipcub18BlockScanAlgorithmE0EjEvPT1_S2_, .Lfunc_end86-_Z21exclusive_scan_kernelILj256ELN6hipcub18BlockScanAlgorithmE0EjEvPT1_S2_
                                        ; -- End function
	.section	.AMDGPU.csdata,"",@progbits
; Kernel info:
; codeLenInByte = 532
; NumSgprs: 18
; NumVgprs: 10
; ScratchSize: 0
; MemoryBound: 0
; FloatMode: 240
; IeeeMode: 1
; LDSByteSize: 32 bytes/workgroup (compile time only)
; SGPRBlocks: 2
; VGPRBlocks: 1
; NumSGPRsForWavesPerEU: 18
; NumVGPRsForWavesPerEU: 10
; Occupancy: 16
; WaveLimiterHint : 0
; COMPUTE_PGM_RSRC2:SCRATCH_EN: 0
; COMPUTE_PGM_RSRC2:USER_SGPR: 15
; COMPUTE_PGM_RSRC2:TRAP_HANDLER: 0
; COMPUTE_PGM_RSRC2:TGID_X_EN: 1
; COMPUTE_PGM_RSRC2:TGID_Y_EN: 0
; COMPUTE_PGM_RSRC2:TGID_Z_EN: 0
; COMPUTE_PGM_RSRC2:TIDIG_COMP_CNT: 0
	.section	.text._Z21exclusive_scan_kernelILj64ELN6hipcub18BlockScanAlgorithmE0EjEvPT1_S2_,"axG",@progbits,_Z21exclusive_scan_kernelILj64ELN6hipcub18BlockScanAlgorithmE0EjEvPT1_S2_,comdat
	.protected	_Z21exclusive_scan_kernelILj64ELN6hipcub18BlockScanAlgorithmE0EjEvPT1_S2_ ; -- Begin function _Z21exclusive_scan_kernelILj64ELN6hipcub18BlockScanAlgorithmE0EjEvPT1_S2_
	.globl	_Z21exclusive_scan_kernelILj64ELN6hipcub18BlockScanAlgorithmE0EjEvPT1_S2_
	.p2align	8
	.type	_Z21exclusive_scan_kernelILj64ELN6hipcub18BlockScanAlgorithmE0EjEvPT1_S2_,@function
_Z21exclusive_scan_kernelILj64ELN6hipcub18BlockScanAlgorithmE0EjEvPT1_S2_: ; @_Z21exclusive_scan_kernelILj64ELN6hipcub18BlockScanAlgorithmE0EjEvPT1_S2_
; %bb.0:
	s_load_b64 s[2:3], s[0:1], 0x0
	v_lshl_or_b32 v1, s15, 6, v0
	v_mbcnt_lo_u32_b32 v3, -1, 0
	v_mov_b32_e32 v2, 0
	v_or_b32_e32 v7, 31, v0
	s_delay_alu instid0(VALU_DEP_3) | instskip(NEXT) | instid1(VALU_DEP_3)
	v_and_b32_e32 v5, 15, v3
	v_lshlrev_b64 v[1:2], 2, v[1:2]
	s_waitcnt lgkmcnt(0)
	s_delay_alu instid0(VALU_DEP_1) | instskip(NEXT) | instid1(VALU_DEP_2)
	v_add_co_u32 v1, vcc_lo, s2, v1
	v_add_co_ci_u32_e32 v2, vcc_lo, s3, v2, vcc_lo
	v_cmp_ne_u32_e32 vcc_lo, 0, v5
	s_mov_b32 s2, exec_lo
	global_load_b32 v4, v[1:2], off
	s_waitcnt vmcnt(0)
	v_mov_b32_dpp v6, v4 row_shr:1 row_mask:0xf bank_mask:0xf
	s_delay_alu instid0(VALU_DEP_1) | instskip(SKIP_1) | instid1(VALU_DEP_2)
	v_cndmask_b32_e32 v6, 0, v6, vcc_lo
	v_cmp_lt_u32_e32 vcc_lo, 1, v5
	v_add_nc_u32_e32 v4, v6, v4
	s_delay_alu instid0(VALU_DEP_1) | instskip(NEXT) | instid1(VALU_DEP_1)
	v_mov_b32_dpp v6, v4 row_shr:2 row_mask:0xf bank_mask:0xf
	v_cndmask_b32_e32 v6, 0, v6, vcc_lo
	v_cmp_lt_u32_e32 vcc_lo, 3, v5
	s_delay_alu instid0(VALU_DEP_2) | instskip(NEXT) | instid1(VALU_DEP_1)
	v_add_nc_u32_e32 v4, v4, v6
	v_mov_b32_dpp v6, v4 row_shr:4 row_mask:0xf bank_mask:0xf
	s_delay_alu instid0(VALU_DEP_1) | instskip(SKIP_1) | instid1(VALU_DEP_2)
	v_cndmask_b32_e32 v6, 0, v6, vcc_lo
	v_cmp_lt_u32_e32 vcc_lo, 7, v5
	v_add_nc_u32_e32 v4, v4, v6
	s_delay_alu instid0(VALU_DEP_1) | instskip(NEXT) | instid1(VALU_DEP_1)
	v_mov_b32_dpp v6, v4 row_shr:8 row_mask:0xf bank_mask:0xf
	v_cndmask_b32_e32 v5, 0, v6, vcc_lo
	v_bfe_i32 v6, v3, 4, 1
	s_delay_alu instid0(VALU_DEP_2) | instskip(SKIP_4) | instid1(VALU_DEP_2)
	v_add_nc_u32_e32 v4, v4, v5
	ds_swizzle_b32 v5, v4 offset:swizzle(BROADCAST,32,15)
	s_waitcnt lgkmcnt(0)
	v_and_b32_e32 v6, v6, v5
	v_lshrrev_b32_e32 v5, 5, v0
	v_add_nc_u32_e32 v4, v4, v6
	v_cmpx_eq_u32_e64 v7, v0
	s_cbranch_execz .LBB87_2
; %bb.1:
	s_delay_alu instid0(VALU_DEP_3)
	v_lshlrev_b32_e32 v6, 2, v5
	ds_store_b32 v6, v4
.LBB87_2:
	s_or_b32 exec_lo, exec_lo, s2
	s_delay_alu instid0(SALU_CYCLE_1)
	s_mov_b32 s2, exec_lo
	s_waitcnt lgkmcnt(0)
	s_barrier
	buffer_gl0_inv
	v_cmpx_gt_u32_e32 2, v0
	s_cbranch_execz .LBB87_4
; %bb.3:
	v_lshlrev_b32_e32 v6, 2, v0
	v_bfe_i32 v8, v3, 0, 1
	ds_load_b32 v7, v6
	s_waitcnt lgkmcnt(0)
	v_mov_b32_dpp v9, v7 row_shr:1 row_mask:0xf bank_mask:0xf
	s_delay_alu instid0(VALU_DEP_1) | instskip(NEXT) | instid1(VALU_DEP_1)
	v_and_b32_e32 v8, v8, v9
	v_add_nc_u32_e32 v7, v8, v7
	ds_store_b32 v6, v7
.LBB87_4:
	s_or_b32 exec_lo, exec_lo, s2
	s_load_b32 s0, s[0:1], 0x8
	v_cmp_lt_u32_e32 vcc_lo, 31, v0
	s_waitcnt lgkmcnt(0)
	s_barrier
	buffer_gl0_inv
	v_mov_b32_e32 v0, s0
	s_and_saveexec_b32 s1, vcc_lo
	s_cbranch_execz .LBB87_6
; %bb.5:
	v_lshl_add_u32 v0, v5, 2, -4
	ds_load_b32 v0, v0
	s_waitcnt lgkmcnt(0)
	v_add_nc_u32_e32 v0, s0, v0
.LBB87_6:
	s_or_b32 exec_lo, exec_lo, s1
	v_add_nc_u32_e32 v5, -1, v3
	s_delay_alu instid0(VALU_DEP_2) | instskip(NEXT) | instid1(VALU_DEP_2)
	v_add_nc_u32_e32 v4, v0, v4
	v_cmp_gt_i32_e32 vcc_lo, 0, v5
	v_cndmask_b32_e32 v5, v5, v3, vcc_lo
	v_cmp_eq_u32_e32 vcc_lo, 0, v3
	s_delay_alu instid0(VALU_DEP_2)
	v_lshlrev_b32_e32 v5, 2, v5
	ds_bpermute_b32 v4, v5, v4
	s_waitcnt lgkmcnt(0)
	v_cndmask_b32_e32 v0, v4, v0, vcc_lo
	global_store_b32 v[1:2], v0, off
	s_nop 0
	s_sendmsg sendmsg(MSG_DEALLOC_VGPRS)
	s_endpgm
	.section	.rodata,"a",@progbits
	.p2align	6, 0x0
	.amdhsa_kernel _Z21exclusive_scan_kernelILj64ELN6hipcub18BlockScanAlgorithmE0EjEvPT1_S2_
		.amdhsa_group_segment_fixed_size 8
		.amdhsa_private_segment_fixed_size 0
		.amdhsa_kernarg_size 12
		.amdhsa_user_sgpr_count 15
		.amdhsa_user_sgpr_dispatch_ptr 0
		.amdhsa_user_sgpr_queue_ptr 0
		.amdhsa_user_sgpr_kernarg_segment_ptr 1
		.amdhsa_user_sgpr_dispatch_id 0
		.amdhsa_user_sgpr_private_segment_size 0
		.amdhsa_wavefront_size32 1
		.amdhsa_uses_dynamic_stack 0
		.amdhsa_enable_private_segment 0
		.amdhsa_system_sgpr_workgroup_id_x 1
		.amdhsa_system_sgpr_workgroup_id_y 0
		.amdhsa_system_sgpr_workgroup_id_z 0
		.amdhsa_system_sgpr_workgroup_info 0
		.amdhsa_system_vgpr_workitem_id 0
		.amdhsa_next_free_vgpr 10
		.amdhsa_next_free_sgpr 16
		.amdhsa_reserve_vcc 1
		.amdhsa_float_round_mode_32 0
		.amdhsa_float_round_mode_16_64 0
		.amdhsa_float_denorm_mode_32 3
		.amdhsa_float_denorm_mode_16_64 3
		.amdhsa_dx10_clamp 1
		.amdhsa_ieee_mode 1
		.amdhsa_fp16_overflow 0
		.amdhsa_workgroup_processor_mode 1
		.amdhsa_memory_ordered 1
		.amdhsa_forward_progress 0
		.amdhsa_shared_vgpr_count 0
		.amdhsa_exception_fp_ieee_invalid_op 0
		.amdhsa_exception_fp_denorm_src 0
		.amdhsa_exception_fp_ieee_div_zero 0
		.amdhsa_exception_fp_ieee_overflow 0
		.amdhsa_exception_fp_ieee_underflow 0
		.amdhsa_exception_fp_ieee_inexact 0
		.amdhsa_exception_int_div_zero 0
	.end_amdhsa_kernel
	.section	.text._Z21exclusive_scan_kernelILj64ELN6hipcub18BlockScanAlgorithmE0EjEvPT1_S2_,"axG",@progbits,_Z21exclusive_scan_kernelILj64ELN6hipcub18BlockScanAlgorithmE0EjEvPT1_S2_,comdat
.Lfunc_end87:
	.size	_Z21exclusive_scan_kernelILj64ELN6hipcub18BlockScanAlgorithmE0EjEvPT1_S2_, .Lfunc_end87-_Z21exclusive_scan_kernelILj64ELN6hipcub18BlockScanAlgorithmE0EjEvPT1_S2_
                                        ; -- End function
	.section	.AMDGPU.csdata,"",@progbits
; Kernel info:
; codeLenInByte = 476
; NumSgprs: 18
; NumVgprs: 10
; ScratchSize: 0
; MemoryBound: 0
; FloatMode: 240
; IeeeMode: 1
; LDSByteSize: 8 bytes/workgroup (compile time only)
; SGPRBlocks: 2
; VGPRBlocks: 1
; NumSGPRsForWavesPerEU: 18
; NumVGPRsForWavesPerEU: 10
; Occupancy: 16
; WaveLimiterHint : 0
; COMPUTE_PGM_RSRC2:SCRATCH_EN: 0
; COMPUTE_PGM_RSRC2:USER_SGPR: 15
; COMPUTE_PGM_RSRC2:TRAP_HANDLER: 0
; COMPUTE_PGM_RSRC2:TGID_X_EN: 1
; COMPUTE_PGM_RSRC2:TGID_Y_EN: 0
; COMPUTE_PGM_RSRC2:TGID_Z_EN: 0
; COMPUTE_PGM_RSRC2:TIDIG_COMP_CNT: 0
	.section	.text._Z21exclusive_scan_kernelILj255ELN6hipcub18BlockScanAlgorithmE0EiEvPT1_S2_,"axG",@progbits,_Z21exclusive_scan_kernelILj255ELN6hipcub18BlockScanAlgorithmE0EiEvPT1_S2_,comdat
	.protected	_Z21exclusive_scan_kernelILj255ELN6hipcub18BlockScanAlgorithmE0EiEvPT1_S2_ ; -- Begin function _Z21exclusive_scan_kernelILj255ELN6hipcub18BlockScanAlgorithmE0EiEvPT1_S2_
	.globl	_Z21exclusive_scan_kernelILj255ELN6hipcub18BlockScanAlgorithmE0EiEvPT1_S2_
	.p2align	8
	.type	_Z21exclusive_scan_kernelILj255ELN6hipcub18BlockScanAlgorithmE0EiEvPT1_S2_,@function
_Z21exclusive_scan_kernelILj255ELN6hipcub18BlockScanAlgorithmE0EiEvPT1_S2_: ; @_Z21exclusive_scan_kernelILj255ELN6hipcub18BlockScanAlgorithmE0EiEvPT1_S2_
; %bb.0:
	s_load_b64 s[2:3], s[0:1], 0x0
	v_mad_u64_u32 v[1:2], null, 0xff, s15, v[0:1]
	v_mbcnt_lo_u32_b32 v3, -1, 0
	s_delay_alu instid0(VALU_DEP_1) | instskip(NEXT) | instid1(VALU_DEP_1)
	v_dual_mov_b32 v2, 0 :: v_dual_and_b32 v5, 15, v3
	v_lshlrev_b64 v[1:2], 2, v[1:2]
	v_bfe_i32 v7, v3, 4, 1
	s_waitcnt lgkmcnt(0)
	s_delay_alu instid0(VALU_DEP_2) | instskip(NEXT) | instid1(VALU_DEP_3)
	v_add_co_u32 v1, vcc_lo, s2, v1
	v_add_co_ci_u32_e32 v2, vcc_lo, s3, v2, vcc_lo
	v_cmp_ne_u32_e32 vcc_lo, 0, v5
	s_mov_b32 s2, exec_lo
	global_load_b32 v4, v[1:2], off
	s_waitcnt vmcnt(0)
	v_mov_b32_dpp v6, v4 row_shr:1 row_mask:0xf bank_mask:0xf
	s_delay_alu instid0(VALU_DEP_1) | instskip(SKIP_1) | instid1(VALU_DEP_2)
	v_cndmask_b32_e32 v6, 0, v6, vcc_lo
	v_cmp_lt_u32_e32 vcc_lo, 1, v5
	v_add_nc_u32_e32 v4, v6, v4
	s_delay_alu instid0(VALU_DEP_1) | instskip(NEXT) | instid1(VALU_DEP_1)
	v_mov_b32_dpp v6, v4 row_shr:2 row_mask:0xf bank_mask:0xf
	v_cndmask_b32_e32 v6, 0, v6, vcc_lo
	v_cmp_lt_u32_e32 vcc_lo, 3, v5
	s_delay_alu instid0(VALU_DEP_2) | instskip(NEXT) | instid1(VALU_DEP_1)
	v_add_nc_u32_e32 v4, v4, v6
	v_mov_b32_dpp v6, v4 row_shr:4 row_mask:0xf bank_mask:0xf
	s_delay_alu instid0(VALU_DEP_1) | instskip(SKIP_1) | instid1(VALU_DEP_2)
	v_cndmask_b32_e32 v6, 0, v6, vcc_lo
	v_cmp_lt_u32_e32 vcc_lo, 7, v5
	v_add_nc_u32_e32 v4, v4, v6
	s_delay_alu instid0(VALU_DEP_1) | instskip(NEXT) | instid1(VALU_DEP_1)
	v_mov_b32_dpp v6, v4 row_shr:8 row_mask:0xf bank_mask:0xf
	v_dual_cndmask_b32 v5, 0, v6 :: v_dual_and_b32 v6, 0xe0, v0
	s_delay_alu instid0(VALU_DEP_1) | instskip(NEXT) | instid1(VALU_DEP_2)
	v_add_nc_u32_e32 v4, v4, v5
	v_min_u32_e32 v6, 0xdf, v6
	ds_swizzle_b32 v5, v4 offset:swizzle(BROADCAST,32,15)
	v_add_nc_u32_e32 v6, 31, v6
	s_waitcnt lgkmcnt(0)
	v_and_b32_e32 v7, v7, v5
	v_lshrrev_b32_e32 v5, 5, v0
	s_delay_alu instid0(VALU_DEP_2)
	v_add_nc_u32_e32 v4, v4, v7
	v_cmpx_eq_u32_e64 v6, v0
	s_cbranch_execz .LBB88_2
; %bb.1:
	s_delay_alu instid0(VALU_DEP_3)
	v_lshlrev_b32_e32 v6, 2, v5
	ds_store_b32 v6, v4
.LBB88_2:
	s_or_b32 exec_lo, exec_lo, s2
	s_delay_alu instid0(SALU_CYCLE_1)
	s_mov_b32 s2, exec_lo
	s_waitcnt lgkmcnt(0)
	s_barrier
	buffer_gl0_inv
	v_cmpx_gt_u32_e32 8, v0
	s_cbranch_execz .LBB88_4
; %bb.3:
	v_and_b32_e32 v8, 7, v3
	s_delay_alu instid0(VALU_DEP_1) | instskip(SKIP_4) | instid1(VALU_DEP_1)
	v_cmp_ne_u32_e32 vcc_lo, 0, v8
	v_lshlrev_b32_e32 v6, 2, v0
	ds_load_b32 v7, v6
	s_waitcnt lgkmcnt(0)
	v_mov_b32_dpp v9, v7 row_shr:1 row_mask:0xf bank_mask:0xf
	v_cndmask_b32_e32 v9, 0, v9, vcc_lo
	v_cmp_lt_u32_e32 vcc_lo, 1, v8
	s_delay_alu instid0(VALU_DEP_2) | instskip(NEXT) | instid1(VALU_DEP_1)
	v_add_nc_u32_e32 v7, v9, v7
	v_mov_b32_dpp v9, v7 row_shr:2 row_mask:0xf bank_mask:0xf
	s_delay_alu instid0(VALU_DEP_1) | instskip(SKIP_1) | instid1(VALU_DEP_2)
	v_cndmask_b32_e32 v9, 0, v9, vcc_lo
	v_cmp_lt_u32_e32 vcc_lo, 3, v8
	v_add_nc_u32_e32 v7, v7, v9
	s_delay_alu instid0(VALU_DEP_1) | instskip(NEXT) | instid1(VALU_DEP_1)
	v_mov_b32_dpp v9, v7 row_shr:4 row_mask:0xf bank_mask:0xf
	v_cndmask_b32_e32 v8, 0, v9, vcc_lo
	s_delay_alu instid0(VALU_DEP_1)
	v_add_nc_u32_e32 v7, v7, v8
	ds_store_b32 v6, v7
.LBB88_4:
	s_or_b32 exec_lo, exec_lo, s2
	s_load_b32 s0, s[0:1], 0x8
	v_cmp_lt_u32_e32 vcc_lo, 31, v0
	s_waitcnt lgkmcnt(0)
	s_barrier
	buffer_gl0_inv
	v_mov_b32_e32 v0, s0
	s_and_saveexec_b32 s1, vcc_lo
	s_cbranch_execz .LBB88_6
; %bb.5:
	v_lshl_add_u32 v0, v5, 2, -4
	ds_load_b32 v0, v0
	s_waitcnt lgkmcnt(0)
	v_add_nc_u32_e32 v0, s0, v0
.LBB88_6:
	s_or_b32 exec_lo, exec_lo, s1
	v_add_nc_u32_e32 v5, -1, v3
	s_delay_alu instid0(VALU_DEP_2) | instskip(NEXT) | instid1(VALU_DEP_2)
	v_add_nc_u32_e32 v4, v0, v4
	v_cmp_gt_i32_e32 vcc_lo, 0, v5
	v_cndmask_b32_e32 v5, v5, v3, vcc_lo
	v_cmp_eq_u32_e32 vcc_lo, 0, v3
	s_delay_alu instid0(VALU_DEP_2)
	v_lshlrev_b32_e32 v5, 2, v5
	ds_bpermute_b32 v4, v5, v4
	s_waitcnt lgkmcnt(0)
	v_cndmask_b32_e32 v0, v4, v0, vcc_lo
	global_store_b32 v[1:2], v0, off
	s_nop 0
	s_sendmsg sendmsg(MSG_DEALLOC_VGPRS)
	s_endpgm
	.section	.rodata,"a",@progbits
	.p2align	6, 0x0
	.amdhsa_kernel _Z21exclusive_scan_kernelILj255ELN6hipcub18BlockScanAlgorithmE0EiEvPT1_S2_
		.amdhsa_group_segment_fixed_size 32
		.amdhsa_private_segment_fixed_size 0
		.amdhsa_kernarg_size 12
		.amdhsa_user_sgpr_count 15
		.amdhsa_user_sgpr_dispatch_ptr 0
		.amdhsa_user_sgpr_queue_ptr 0
		.amdhsa_user_sgpr_kernarg_segment_ptr 1
		.amdhsa_user_sgpr_dispatch_id 0
		.amdhsa_user_sgpr_private_segment_size 0
		.amdhsa_wavefront_size32 1
		.amdhsa_uses_dynamic_stack 0
		.amdhsa_enable_private_segment 0
		.amdhsa_system_sgpr_workgroup_id_x 1
		.amdhsa_system_sgpr_workgroup_id_y 0
		.amdhsa_system_sgpr_workgroup_id_z 0
		.amdhsa_system_sgpr_workgroup_info 0
		.amdhsa_system_vgpr_workitem_id 0
		.amdhsa_next_free_vgpr 10
		.amdhsa_next_free_sgpr 16
		.amdhsa_reserve_vcc 1
		.amdhsa_float_round_mode_32 0
		.amdhsa_float_round_mode_16_64 0
		.amdhsa_float_denorm_mode_32 3
		.amdhsa_float_denorm_mode_16_64 3
		.amdhsa_dx10_clamp 1
		.amdhsa_ieee_mode 1
		.amdhsa_fp16_overflow 0
		.amdhsa_workgroup_processor_mode 1
		.amdhsa_memory_ordered 1
		.amdhsa_forward_progress 0
		.amdhsa_shared_vgpr_count 0
		.amdhsa_exception_fp_ieee_invalid_op 0
		.amdhsa_exception_fp_denorm_src 0
		.amdhsa_exception_fp_ieee_div_zero 0
		.amdhsa_exception_fp_ieee_overflow 0
		.amdhsa_exception_fp_ieee_underflow 0
		.amdhsa_exception_fp_ieee_inexact 0
		.amdhsa_exception_int_div_zero 0
	.end_amdhsa_kernel
	.section	.text._Z21exclusive_scan_kernelILj255ELN6hipcub18BlockScanAlgorithmE0EiEvPT1_S2_,"axG",@progbits,_Z21exclusive_scan_kernelILj255ELN6hipcub18BlockScanAlgorithmE0EiEvPT1_S2_,comdat
.Lfunc_end88:
	.size	_Z21exclusive_scan_kernelILj255ELN6hipcub18BlockScanAlgorithmE0EiEvPT1_S2_, .Lfunc_end88-_Z21exclusive_scan_kernelILj255ELN6hipcub18BlockScanAlgorithmE0EiEvPT1_S2_
                                        ; -- End function
	.section	.AMDGPU.csdata,"",@progbits
; Kernel info:
; codeLenInByte = 556
; NumSgprs: 18
; NumVgprs: 10
; ScratchSize: 0
; MemoryBound: 0
; FloatMode: 240
; IeeeMode: 1
; LDSByteSize: 32 bytes/workgroup (compile time only)
; SGPRBlocks: 2
; VGPRBlocks: 1
; NumSGPRsForWavesPerEU: 18
; NumVGPRsForWavesPerEU: 10
; Occupancy: 16
; WaveLimiterHint : 0
; COMPUTE_PGM_RSRC2:SCRATCH_EN: 0
; COMPUTE_PGM_RSRC2:USER_SGPR: 15
; COMPUTE_PGM_RSRC2:TRAP_HANDLER: 0
; COMPUTE_PGM_RSRC2:TGID_X_EN: 1
; COMPUTE_PGM_RSRC2:TGID_Y_EN: 0
; COMPUTE_PGM_RSRC2:TGID_Z_EN: 0
; COMPUTE_PGM_RSRC2:TIDIG_COMP_CNT: 0
	.section	.text._Z21exclusive_scan_kernelILj162ELN6hipcub18BlockScanAlgorithmE0EiEvPT1_S2_,"axG",@progbits,_Z21exclusive_scan_kernelILj162ELN6hipcub18BlockScanAlgorithmE0EiEvPT1_S2_,comdat
	.protected	_Z21exclusive_scan_kernelILj162ELN6hipcub18BlockScanAlgorithmE0EiEvPT1_S2_ ; -- Begin function _Z21exclusive_scan_kernelILj162ELN6hipcub18BlockScanAlgorithmE0EiEvPT1_S2_
	.globl	_Z21exclusive_scan_kernelILj162ELN6hipcub18BlockScanAlgorithmE0EiEvPT1_S2_
	.p2align	8
	.type	_Z21exclusive_scan_kernelILj162ELN6hipcub18BlockScanAlgorithmE0EiEvPT1_S2_,@function
_Z21exclusive_scan_kernelILj162ELN6hipcub18BlockScanAlgorithmE0EiEvPT1_S2_: ; @_Z21exclusive_scan_kernelILj162ELN6hipcub18BlockScanAlgorithmE0EiEvPT1_S2_
; %bb.0:
	s_load_b64 s[2:3], s[0:1], 0x0
	v_mad_u64_u32 v[1:2], null, 0xa2, s15, v[0:1]
	v_mbcnt_lo_u32_b32 v3, -1, 0
	s_delay_alu instid0(VALU_DEP_1) | instskip(NEXT) | instid1(VALU_DEP_1)
	v_dual_mov_b32 v2, 0 :: v_dual_and_b32 v5, 15, v3
	v_lshlrev_b64 v[1:2], 2, v[1:2]
	v_bfe_i32 v7, v3, 4, 1
	s_waitcnt lgkmcnt(0)
	s_delay_alu instid0(VALU_DEP_2) | instskip(NEXT) | instid1(VALU_DEP_3)
	v_add_co_u32 v1, vcc_lo, s2, v1
	v_add_co_ci_u32_e32 v2, vcc_lo, s3, v2, vcc_lo
	v_cmp_ne_u32_e32 vcc_lo, 0, v5
	s_mov_b32 s2, exec_lo
	global_load_b32 v4, v[1:2], off
	s_waitcnt vmcnt(0)
	v_mov_b32_dpp v6, v4 row_shr:1 row_mask:0xf bank_mask:0xf
	s_delay_alu instid0(VALU_DEP_1) | instskip(SKIP_1) | instid1(VALU_DEP_2)
	v_cndmask_b32_e32 v6, 0, v6, vcc_lo
	v_cmp_lt_u32_e32 vcc_lo, 1, v5
	v_add_nc_u32_e32 v4, v6, v4
	s_delay_alu instid0(VALU_DEP_1) | instskip(NEXT) | instid1(VALU_DEP_1)
	v_mov_b32_dpp v6, v4 row_shr:2 row_mask:0xf bank_mask:0xf
	v_cndmask_b32_e32 v6, 0, v6, vcc_lo
	v_cmp_lt_u32_e32 vcc_lo, 3, v5
	s_delay_alu instid0(VALU_DEP_2) | instskip(NEXT) | instid1(VALU_DEP_1)
	v_add_nc_u32_e32 v4, v4, v6
	v_mov_b32_dpp v6, v4 row_shr:4 row_mask:0xf bank_mask:0xf
	s_delay_alu instid0(VALU_DEP_1) | instskip(SKIP_1) | instid1(VALU_DEP_2)
	v_cndmask_b32_e32 v6, 0, v6, vcc_lo
	v_cmp_lt_u32_e32 vcc_lo, 7, v5
	v_add_nc_u32_e32 v4, v4, v6
	s_delay_alu instid0(VALU_DEP_1) | instskip(NEXT) | instid1(VALU_DEP_1)
	v_mov_b32_dpp v6, v4 row_shr:8 row_mask:0xf bank_mask:0xf
	v_dual_cndmask_b32 v5, 0, v6 :: v_dual_and_b32 v6, 0xe0, v0
	s_delay_alu instid0(VALU_DEP_1) | instskip(NEXT) | instid1(VALU_DEP_2)
	v_add_nc_u32_e32 v4, v4, v5
	v_min_u32_e32 v6, 0x82, v6
	ds_swizzle_b32 v5, v4 offset:swizzle(BROADCAST,32,15)
	v_add_nc_u32_e32 v6, 31, v6
	s_waitcnt lgkmcnt(0)
	v_and_b32_e32 v7, v7, v5
	v_lshrrev_b32_e32 v5, 5, v0
	s_delay_alu instid0(VALU_DEP_2)
	v_add_nc_u32_e32 v4, v4, v7
	v_cmpx_eq_u32_e64 v6, v0
	s_cbranch_execz .LBB89_2
; %bb.1:
	s_delay_alu instid0(VALU_DEP_3)
	v_lshlrev_b32_e32 v6, 2, v5
	ds_store_b32 v6, v4
.LBB89_2:
	s_or_b32 exec_lo, exec_lo, s2
	s_delay_alu instid0(SALU_CYCLE_1)
	s_mov_b32 s2, exec_lo
	s_waitcnt lgkmcnt(0)
	s_barrier
	buffer_gl0_inv
	v_cmpx_gt_u32_e32 6, v0
	s_cbranch_execz .LBB89_4
; %bb.3:
	v_and_b32_e32 v8, 7, v3
	s_delay_alu instid0(VALU_DEP_1) | instskip(SKIP_4) | instid1(VALU_DEP_1)
	v_cmp_ne_u32_e32 vcc_lo, 0, v8
	v_lshlrev_b32_e32 v6, 2, v0
	ds_load_b32 v7, v6
	s_waitcnt lgkmcnt(0)
	v_mov_b32_dpp v9, v7 row_shr:1 row_mask:0xf bank_mask:0xf
	v_cndmask_b32_e32 v9, 0, v9, vcc_lo
	v_cmp_lt_u32_e32 vcc_lo, 1, v8
	s_delay_alu instid0(VALU_DEP_2) | instskip(NEXT) | instid1(VALU_DEP_1)
	v_add_nc_u32_e32 v7, v9, v7
	v_mov_b32_dpp v9, v7 row_shr:2 row_mask:0xf bank_mask:0xf
	s_delay_alu instid0(VALU_DEP_1) | instskip(SKIP_1) | instid1(VALU_DEP_2)
	v_cndmask_b32_e32 v9, 0, v9, vcc_lo
	v_cmp_lt_u32_e32 vcc_lo, 3, v8
	v_add_nc_u32_e32 v7, v7, v9
	s_delay_alu instid0(VALU_DEP_1) | instskip(NEXT) | instid1(VALU_DEP_1)
	v_mov_b32_dpp v9, v7 row_shr:4 row_mask:0xf bank_mask:0xf
	v_cndmask_b32_e32 v8, 0, v9, vcc_lo
	s_delay_alu instid0(VALU_DEP_1)
	v_add_nc_u32_e32 v7, v7, v8
	ds_store_b32 v6, v7
.LBB89_4:
	s_or_b32 exec_lo, exec_lo, s2
	s_load_b32 s0, s[0:1], 0x8
	v_cmp_lt_u32_e32 vcc_lo, 31, v0
	s_waitcnt lgkmcnt(0)
	s_barrier
	buffer_gl0_inv
	v_mov_b32_e32 v0, s0
	s_and_saveexec_b32 s1, vcc_lo
	s_cbranch_execz .LBB89_6
; %bb.5:
	v_lshl_add_u32 v0, v5, 2, -4
	ds_load_b32 v0, v0
	s_waitcnt lgkmcnt(0)
	v_add_nc_u32_e32 v0, s0, v0
.LBB89_6:
	s_or_b32 exec_lo, exec_lo, s1
	v_add_nc_u32_e32 v5, -1, v3
	s_delay_alu instid0(VALU_DEP_2) | instskip(NEXT) | instid1(VALU_DEP_2)
	v_add_nc_u32_e32 v4, v0, v4
	v_cmp_gt_i32_e32 vcc_lo, 0, v5
	v_cndmask_b32_e32 v5, v5, v3, vcc_lo
	v_cmp_eq_u32_e32 vcc_lo, 0, v3
	s_delay_alu instid0(VALU_DEP_2)
	v_lshlrev_b32_e32 v5, 2, v5
	ds_bpermute_b32 v4, v5, v4
	s_waitcnt lgkmcnt(0)
	v_cndmask_b32_e32 v0, v4, v0, vcc_lo
	global_store_b32 v[1:2], v0, off
	s_nop 0
	s_sendmsg sendmsg(MSG_DEALLOC_VGPRS)
	s_endpgm
	.section	.rodata,"a",@progbits
	.p2align	6, 0x0
	.amdhsa_kernel _Z21exclusive_scan_kernelILj162ELN6hipcub18BlockScanAlgorithmE0EiEvPT1_S2_
		.amdhsa_group_segment_fixed_size 24
		.amdhsa_private_segment_fixed_size 0
		.amdhsa_kernarg_size 12
		.amdhsa_user_sgpr_count 15
		.amdhsa_user_sgpr_dispatch_ptr 0
		.amdhsa_user_sgpr_queue_ptr 0
		.amdhsa_user_sgpr_kernarg_segment_ptr 1
		.amdhsa_user_sgpr_dispatch_id 0
		.amdhsa_user_sgpr_private_segment_size 0
		.amdhsa_wavefront_size32 1
		.amdhsa_uses_dynamic_stack 0
		.amdhsa_enable_private_segment 0
		.amdhsa_system_sgpr_workgroup_id_x 1
		.amdhsa_system_sgpr_workgroup_id_y 0
		.amdhsa_system_sgpr_workgroup_id_z 0
		.amdhsa_system_sgpr_workgroup_info 0
		.amdhsa_system_vgpr_workitem_id 0
		.amdhsa_next_free_vgpr 10
		.amdhsa_next_free_sgpr 16
		.amdhsa_reserve_vcc 1
		.amdhsa_float_round_mode_32 0
		.amdhsa_float_round_mode_16_64 0
		.amdhsa_float_denorm_mode_32 3
		.amdhsa_float_denorm_mode_16_64 3
		.amdhsa_dx10_clamp 1
		.amdhsa_ieee_mode 1
		.amdhsa_fp16_overflow 0
		.amdhsa_workgroup_processor_mode 1
		.amdhsa_memory_ordered 1
		.amdhsa_forward_progress 0
		.amdhsa_shared_vgpr_count 0
		.amdhsa_exception_fp_ieee_invalid_op 0
		.amdhsa_exception_fp_denorm_src 0
		.amdhsa_exception_fp_ieee_div_zero 0
		.amdhsa_exception_fp_ieee_overflow 0
		.amdhsa_exception_fp_ieee_underflow 0
		.amdhsa_exception_fp_ieee_inexact 0
		.amdhsa_exception_int_div_zero 0
	.end_amdhsa_kernel
	.section	.text._Z21exclusive_scan_kernelILj162ELN6hipcub18BlockScanAlgorithmE0EiEvPT1_S2_,"axG",@progbits,_Z21exclusive_scan_kernelILj162ELN6hipcub18BlockScanAlgorithmE0EiEvPT1_S2_,comdat
.Lfunc_end89:
	.size	_Z21exclusive_scan_kernelILj162ELN6hipcub18BlockScanAlgorithmE0EiEvPT1_S2_, .Lfunc_end89-_Z21exclusive_scan_kernelILj162ELN6hipcub18BlockScanAlgorithmE0EiEvPT1_S2_
                                        ; -- End function
	.section	.AMDGPU.csdata,"",@progbits
; Kernel info:
; codeLenInByte = 556
; NumSgprs: 18
; NumVgprs: 10
; ScratchSize: 0
; MemoryBound: 0
; FloatMode: 240
; IeeeMode: 1
; LDSByteSize: 24 bytes/workgroup (compile time only)
; SGPRBlocks: 2
; VGPRBlocks: 1
; NumSGPRsForWavesPerEU: 18
; NumVGPRsForWavesPerEU: 10
; Occupancy: 15
; WaveLimiterHint : 0
; COMPUTE_PGM_RSRC2:SCRATCH_EN: 0
; COMPUTE_PGM_RSRC2:USER_SGPR: 15
; COMPUTE_PGM_RSRC2:TRAP_HANDLER: 0
; COMPUTE_PGM_RSRC2:TGID_X_EN: 1
; COMPUTE_PGM_RSRC2:TGID_Y_EN: 0
; COMPUTE_PGM_RSRC2:TGID_Z_EN: 0
; COMPUTE_PGM_RSRC2:TIDIG_COMP_CNT: 0
	.section	.text._Z21exclusive_scan_kernelILj37ELN6hipcub18BlockScanAlgorithmE0EiEvPT1_S2_,"axG",@progbits,_Z21exclusive_scan_kernelILj37ELN6hipcub18BlockScanAlgorithmE0EiEvPT1_S2_,comdat
	.protected	_Z21exclusive_scan_kernelILj37ELN6hipcub18BlockScanAlgorithmE0EiEvPT1_S2_ ; -- Begin function _Z21exclusive_scan_kernelILj37ELN6hipcub18BlockScanAlgorithmE0EiEvPT1_S2_
	.globl	_Z21exclusive_scan_kernelILj37ELN6hipcub18BlockScanAlgorithmE0EiEvPT1_S2_
	.p2align	8
	.type	_Z21exclusive_scan_kernelILj37ELN6hipcub18BlockScanAlgorithmE0EiEvPT1_S2_,@function
_Z21exclusive_scan_kernelILj37ELN6hipcub18BlockScanAlgorithmE0EiEvPT1_S2_: ; @_Z21exclusive_scan_kernelILj37ELN6hipcub18BlockScanAlgorithmE0EiEvPT1_S2_
; %bb.0:
	s_load_b64 s[2:3], s[0:1], 0x0
	v_mad_u64_u32 v[1:2], null, s15, 37, v[0:1]
	v_mbcnt_lo_u32_b32 v3, -1, 0
	s_delay_alu instid0(VALU_DEP_1) | instskip(NEXT) | instid1(VALU_DEP_1)
	v_dual_mov_b32 v2, 0 :: v_dual_and_b32 v5, 15, v3
	v_lshlrev_b64 v[1:2], 2, v[1:2]
	v_bfe_i32 v7, v3, 4, 1
	s_waitcnt lgkmcnt(0)
	s_delay_alu instid0(VALU_DEP_2) | instskip(NEXT) | instid1(VALU_DEP_3)
	v_add_co_u32 v1, vcc_lo, s2, v1
	v_add_co_ci_u32_e32 v2, vcc_lo, s3, v2, vcc_lo
	v_cmp_ne_u32_e32 vcc_lo, 0, v5
	s_mov_b32 s2, exec_lo
	global_load_b32 v4, v[1:2], off
	s_waitcnt vmcnt(0)
	v_mov_b32_dpp v6, v4 row_shr:1 row_mask:0xf bank_mask:0xf
	s_delay_alu instid0(VALU_DEP_1) | instskip(SKIP_1) | instid1(VALU_DEP_2)
	v_cndmask_b32_e32 v6, 0, v6, vcc_lo
	v_cmp_lt_u32_e32 vcc_lo, 1, v5
	v_add_nc_u32_e32 v4, v6, v4
	s_delay_alu instid0(VALU_DEP_1) | instskip(NEXT) | instid1(VALU_DEP_1)
	v_mov_b32_dpp v6, v4 row_shr:2 row_mask:0xf bank_mask:0xf
	v_cndmask_b32_e32 v6, 0, v6, vcc_lo
	v_cmp_lt_u32_e32 vcc_lo, 3, v5
	s_delay_alu instid0(VALU_DEP_2) | instskip(NEXT) | instid1(VALU_DEP_1)
	v_add_nc_u32_e32 v4, v4, v6
	v_mov_b32_dpp v6, v4 row_shr:4 row_mask:0xf bank_mask:0xf
	s_delay_alu instid0(VALU_DEP_1) | instskip(SKIP_1) | instid1(VALU_DEP_2)
	v_cndmask_b32_e32 v6, 0, v6, vcc_lo
	v_cmp_lt_u32_e32 vcc_lo, 7, v5
	v_add_nc_u32_e32 v4, v4, v6
	s_delay_alu instid0(VALU_DEP_1) | instskip(NEXT) | instid1(VALU_DEP_1)
	v_mov_b32_dpp v6, v4 row_shr:8 row_mask:0xf bank_mask:0xf
	v_dual_cndmask_b32 v5, 0, v6 :: v_dual_and_b32 v6, 32, v0
	s_delay_alu instid0(VALU_DEP_1) | instskip(NEXT) | instid1(VALU_DEP_2)
	v_add_nc_u32_e32 v4, v4, v5
	v_min_u32_e32 v6, 5, v6
	ds_swizzle_b32 v5, v4 offset:swizzle(BROADCAST,32,15)
	v_add_nc_u32_e32 v6, 31, v6
	s_waitcnt lgkmcnt(0)
	v_and_b32_e32 v7, v7, v5
	v_lshrrev_b32_e32 v5, 5, v0
	s_delay_alu instid0(VALU_DEP_2)
	v_add_nc_u32_e32 v4, v4, v7
	v_cmpx_eq_u32_e64 v6, v0
	s_cbranch_execz .LBB90_2
; %bb.1:
	s_delay_alu instid0(VALU_DEP_3)
	v_lshlrev_b32_e32 v6, 2, v5
	ds_store_b32 v6, v4
.LBB90_2:
	s_or_b32 exec_lo, exec_lo, s2
	s_delay_alu instid0(SALU_CYCLE_1)
	s_mov_b32 s2, exec_lo
	s_waitcnt lgkmcnt(0)
	s_barrier
	buffer_gl0_inv
	v_cmpx_gt_u32_e32 2, v0
	s_cbranch_execz .LBB90_4
; %bb.3:
	v_lshlrev_b32_e32 v6, 2, v0
	v_bfe_i32 v8, v3, 0, 1
	ds_load_b32 v7, v6
	s_waitcnt lgkmcnt(0)
	v_mov_b32_dpp v9, v7 row_shr:1 row_mask:0xf bank_mask:0xf
	s_delay_alu instid0(VALU_DEP_1) | instskip(NEXT) | instid1(VALU_DEP_1)
	v_and_b32_e32 v8, v8, v9
	v_add_nc_u32_e32 v7, v8, v7
	ds_store_b32 v6, v7
.LBB90_4:
	s_or_b32 exec_lo, exec_lo, s2
	s_load_b32 s0, s[0:1], 0x8
	v_cmp_lt_u32_e32 vcc_lo, 31, v0
	s_waitcnt lgkmcnt(0)
	s_barrier
	buffer_gl0_inv
	v_mov_b32_e32 v0, s0
	s_and_saveexec_b32 s1, vcc_lo
	s_cbranch_execz .LBB90_6
; %bb.5:
	v_lshl_add_u32 v0, v5, 2, -4
	ds_load_b32 v0, v0
	s_waitcnt lgkmcnt(0)
	v_add_nc_u32_e32 v0, s0, v0
.LBB90_6:
	s_or_b32 exec_lo, exec_lo, s1
	v_add_nc_u32_e32 v5, -1, v3
	s_delay_alu instid0(VALU_DEP_2) | instskip(NEXT) | instid1(VALU_DEP_2)
	v_add_nc_u32_e32 v4, v0, v4
	v_cmp_gt_i32_e32 vcc_lo, 0, v5
	v_cndmask_b32_e32 v5, v5, v3, vcc_lo
	v_cmp_eq_u32_e32 vcc_lo, 0, v3
	s_delay_alu instid0(VALU_DEP_2)
	v_lshlrev_b32_e32 v5, 2, v5
	ds_bpermute_b32 v4, v5, v4
	s_waitcnt lgkmcnt(0)
	v_cndmask_b32_e32 v0, v4, v0, vcc_lo
	global_store_b32 v[1:2], v0, off
	s_nop 0
	s_sendmsg sendmsg(MSG_DEALLOC_VGPRS)
	s_endpgm
	.section	.rodata,"a",@progbits
	.p2align	6, 0x0
	.amdhsa_kernel _Z21exclusive_scan_kernelILj37ELN6hipcub18BlockScanAlgorithmE0EiEvPT1_S2_
		.amdhsa_group_segment_fixed_size 8
		.amdhsa_private_segment_fixed_size 0
		.amdhsa_kernarg_size 12
		.amdhsa_user_sgpr_count 15
		.amdhsa_user_sgpr_dispatch_ptr 0
		.amdhsa_user_sgpr_queue_ptr 0
		.amdhsa_user_sgpr_kernarg_segment_ptr 1
		.amdhsa_user_sgpr_dispatch_id 0
		.amdhsa_user_sgpr_private_segment_size 0
		.amdhsa_wavefront_size32 1
		.amdhsa_uses_dynamic_stack 0
		.amdhsa_enable_private_segment 0
		.amdhsa_system_sgpr_workgroup_id_x 1
		.amdhsa_system_sgpr_workgroup_id_y 0
		.amdhsa_system_sgpr_workgroup_id_z 0
		.amdhsa_system_sgpr_workgroup_info 0
		.amdhsa_system_vgpr_workitem_id 0
		.amdhsa_next_free_vgpr 10
		.amdhsa_next_free_sgpr 16
		.amdhsa_reserve_vcc 1
		.amdhsa_float_round_mode_32 0
		.amdhsa_float_round_mode_16_64 0
		.amdhsa_float_denorm_mode_32 3
		.amdhsa_float_denorm_mode_16_64 3
		.amdhsa_dx10_clamp 1
		.amdhsa_ieee_mode 1
		.amdhsa_fp16_overflow 0
		.amdhsa_workgroup_processor_mode 1
		.amdhsa_memory_ordered 1
		.amdhsa_forward_progress 0
		.amdhsa_shared_vgpr_count 0
		.amdhsa_exception_fp_ieee_invalid_op 0
		.amdhsa_exception_fp_denorm_src 0
		.amdhsa_exception_fp_ieee_div_zero 0
		.amdhsa_exception_fp_ieee_overflow 0
		.amdhsa_exception_fp_ieee_underflow 0
		.amdhsa_exception_fp_ieee_inexact 0
		.amdhsa_exception_int_div_zero 0
	.end_amdhsa_kernel
	.section	.text._Z21exclusive_scan_kernelILj37ELN6hipcub18BlockScanAlgorithmE0EiEvPT1_S2_,"axG",@progbits,_Z21exclusive_scan_kernelILj37ELN6hipcub18BlockScanAlgorithmE0EiEvPT1_S2_,comdat
.Lfunc_end90:
	.size	_Z21exclusive_scan_kernelILj37ELN6hipcub18BlockScanAlgorithmE0EiEvPT1_S2_, .Lfunc_end90-_Z21exclusive_scan_kernelILj37ELN6hipcub18BlockScanAlgorithmE0EiEvPT1_S2_
                                        ; -- End function
	.section	.AMDGPU.csdata,"",@progbits
; Kernel info:
; codeLenInByte = 488
; NumSgprs: 18
; NumVgprs: 10
; ScratchSize: 0
; MemoryBound: 0
; FloatMode: 240
; IeeeMode: 1
; LDSByteSize: 8 bytes/workgroup (compile time only)
; SGPRBlocks: 2
; VGPRBlocks: 1
; NumSGPRsForWavesPerEU: 18
; NumVGPRsForWavesPerEU: 10
; Occupancy: 16
; WaveLimiterHint : 0
; COMPUTE_PGM_RSRC2:SCRATCH_EN: 0
; COMPUTE_PGM_RSRC2:USER_SGPR: 15
; COMPUTE_PGM_RSRC2:TRAP_HANDLER: 0
; COMPUTE_PGM_RSRC2:TGID_X_EN: 1
; COMPUTE_PGM_RSRC2:TGID_Y_EN: 0
; COMPUTE_PGM_RSRC2:TGID_Z_EN: 0
; COMPUTE_PGM_RSRC2:TIDIG_COMP_CNT: 0
	.section	.text._Z21exclusive_scan_kernelILj65ELN6hipcub18BlockScanAlgorithmE0EiEvPT1_S2_,"axG",@progbits,_Z21exclusive_scan_kernelILj65ELN6hipcub18BlockScanAlgorithmE0EiEvPT1_S2_,comdat
	.protected	_Z21exclusive_scan_kernelILj65ELN6hipcub18BlockScanAlgorithmE0EiEvPT1_S2_ ; -- Begin function _Z21exclusive_scan_kernelILj65ELN6hipcub18BlockScanAlgorithmE0EiEvPT1_S2_
	.globl	_Z21exclusive_scan_kernelILj65ELN6hipcub18BlockScanAlgorithmE0EiEvPT1_S2_
	.p2align	8
	.type	_Z21exclusive_scan_kernelILj65ELN6hipcub18BlockScanAlgorithmE0EiEvPT1_S2_,@function
_Z21exclusive_scan_kernelILj65ELN6hipcub18BlockScanAlgorithmE0EiEvPT1_S2_: ; @_Z21exclusive_scan_kernelILj65ELN6hipcub18BlockScanAlgorithmE0EiEvPT1_S2_
; %bb.0:
	s_load_b64 s[2:3], s[0:1], 0x0
	v_mad_u64_u32 v[1:2], null, 0x41, s15, v[0:1]
	v_mbcnt_lo_u32_b32 v3, -1, 0
	s_delay_alu instid0(VALU_DEP_1) | instskip(NEXT) | instid1(VALU_DEP_1)
	v_dual_mov_b32 v2, 0 :: v_dual_and_b32 v5, 15, v3
	v_lshlrev_b64 v[1:2], 2, v[1:2]
	v_bfe_i32 v7, v3, 4, 1
	s_waitcnt lgkmcnt(0)
	s_delay_alu instid0(VALU_DEP_2) | instskip(NEXT) | instid1(VALU_DEP_3)
	v_add_co_u32 v1, vcc_lo, s2, v1
	v_add_co_ci_u32_e32 v2, vcc_lo, s3, v2, vcc_lo
	v_cmp_ne_u32_e32 vcc_lo, 0, v5
	s_mov_b32 s2, exec_lo
	global_load_b32 v4, v[1:2], off
	s_waitcnt vmcnt(0)
	v_mov_b32_dpp v6, v4 row_shr:1 row_mask:0xf bank_mask:0xf
	s_delay_alu instid0(VALU_DEP_1) | instskip(SKIP_1) | instid1(VALU_DEP_2)
	v_cndmask_b32_e32 v6, 0, v6, vcc_lo
	v_cmp_lt_u32_e32 vcc_lo, 1, v5
	v_add_nc_u32_e32 v4, v6, v4
	s_delay_alu instid0(VALU_DEP_1) | instskip(NEXT) | instid1(VALU_DEP_1)
	v_mov_b32_dpp v6, v4 row_shr:2 row_mask:0xf bank_mask:0xf
	v_cndmask_b32_e32 v6, 0, v6, vcc_lo
	v_cmp_lt_u32_e32 vcc_lo, 3, v5
	s_delay_alu instid0(VALU_DEP_2) | instskip(NEXT) | instid1(VALU_DEP_1)
	v_add_nc_u32_e32 v4, v4, v6
	v_mov_b32_dpp v6, v4 row_shr:4 row_mask:0xf bank_mask:0xf
	s_delay_alu instid0(VALU_DEP_1) | instskip(SKIP_1) | instid1(VALU_DEP_2)
	v_cndmask_b32_e32 v6, 0, v6, vcc_lo
	v_cmp_lt_u32_e32 vcc_lo, 7, v5
	v_add_nc_u32_e32 v4, v4, v6
	s_delay_alu instid0(VALU_DEP_1) | instskip(NEXT) | instid1(VALU_DEP_1)
	v_mov_b32_dpp v6, v4 row_shr:8 row_mask:0xf bank_mask:0xf
	v_dual_cndmask_b32 v5, 0, v6 :: v_dual_and_b32 v6, 0x60, v0
	s_delay_alu instid0(VALU_DEP_1) | instskip(NEXT) | instid1(VALU_DEP_2)
	v_add_nc_u32_e32 v4, v4, v5
	v_min_u32_e32 v6, 33, v6
	ds_swizzle_b32 v5, v4 offset:swizzle(BROADCAST,32,15)
	v_add_nc_u32_e32 v6, 31, v6
	s_waitcnt lgkmcnt(0)
	v_and_b32_e32 v7, v7, v5
	v_lshrrev_b32_e32 v5, 5, v0
	s_delay_alu instid0(VALU_DEP_2)
	v_add_nc_u32_e32 v4, v4, v7
	v_cmpx_eq_u32_e64 v6, v0
	s_cbranch_execz .LBB91_2
; %bb.1:
	s_delay_alu instid0(VALU_DEP_3)
	v_lshlrev_b32_e32 v6, 2, v5
	ds_store_b32 v6, v4
.LBB91_2:
	s_or_b32 exec_lo, exec_lo, s2
	s_delay_alu instid0(SALU_CYCLE_1)
	s_mov_b32 s2, exec_lo
	s_waitcnt lgkmcnt(0)
	s_barrier
	buffer_gl0_inv
	v_cmpx_gt_u32_e32 3, v0
	s_cbranch_execz .LBB91_4
; %bb.3:
	v_and_b32_e32 v8, 3, v3
	s_delay_alu instid0(VALU_DEP_1) | instskip(SKIP_4) | instid1(VALU_DEP_1)
	v_cmp_ne_u32_e32 vcc_lo, 0, v8
	v_lshlrev_b32_e32 v6, 2, v0
	ds_load_b32 v7, v6
	s_waitcnt lgkmcnt(0)
	v_mov_b32_dpp v9, v7 row_shr:1 row_mask:0xf bank_mask:0xf
	v_cndmask_b32_e32 v9, 0, v9, vcc_lo
	v_cmp_lt_u32_e32 vcc_lo, 1, v8
	s_delay_alu instid0(VALU_DEP_2) | instskip(NEXT) | instid1(VALU_DEP_1)
	v_add_nc_u32_e32 v7, v9, v7
	v_mov_b32_dpp v9, v7 row_shr:2 row_mask:0xf bank_mask:0xf
	s_delay_alu instid0(VALU_DEP_1) | instskip(NEXT) | instid1(VALU_DEP_1)
	v_cndmask_b32_e32 v8, 0, v9, vcc_lo
	v_add_nc_u32_e32 v7, v7, v8
	ds_store_b32 v6, v7
.LBB91_4:
	s_or_b32 exec_lo, exec_lo, s2
	s_load_b32 s0, s[0:1], 0x8
	v_cmp_lt_u32_e32 vcc_lo, 31, v0
	s_waitcnt lgkmcnt(0)
	s_barrier
	buffer_gl0_inv
	v_mov_b32_e32 v0, s0
	s_and_saveexec_b32 s1, vcc_lo
	s_cbranch_execz .LBB91_6
; %bb.5:
	v_lshl_add_u32 v0, v5, 2, -4
	ds_load_b32 v0, v0
	s_waitcnt lgkmcnt(0)
	v_add_nc_u32_e32 v0, s0, v0
.LBB91_6:
	s_or_b32 exec_lo, exec_lo, s1
	v_add_nc_u32_e32 v5, -1, v3
	s_delay_alu instid0(VALU_DEP_2) | instskip(NEXT) | instid1(VALU_DEP_2)
	v_add_nc_u32_e32 v4, v0, v4
	v_cmp_gt_i32_e32 vcc_lo, 0, v5
	v_cndmask_b32_e32 v5, v5, v3, vcc_lo
	v_cmp_eq_u32_e32 vcc_lo, 0, v3
	s_delay_alu instid0(VALU_DEP_2)
	v_lshlrev_b32_e32 v5, 2, v5
	ds_bpermute_b32 v4, v5, v4
	s_waitcnt lgkmcnt(0)
	v_cndmask_b32_e32 v0, v4, v0, vcc_lo
	global_store_b32 v[1:2], v0, off
	s_nop 0
	s_sendmsg sendmsg(MSG_DEALLOC_VGPRS)
	s_endpgm
	.section	.rodata,"a",@progbits
	.p2align	6, 0x0
	.amdhsa_kernel _Z21exclusive_scan_kernelILj65ELN6hipcub18BlockScanAlgorithmE0EiEvPT1_S2_
		.amdhsa_group_segment_fixed_size 12
		.amdhsa_private_segment_fixed_size 0
		.amdhsa_kernarg_size 12
		.amdhsa_user_sgpr_count 15
		.amdhsa_user_sgpr_dispatch_ptr 0
		.amdhsa_user_sgpr_queue_ptr 0
		.amdhsa_user_sgpr_kernarg_segment_ptr 1
		.amdhsa_user_sgpr_dispatch_id 0
		.amdhsa_user_sgpr_private_segment_size 0
		.amdhsa_wavefront_size32 1
		.amdhsa_uses_dynamic_stack 0
		.amdhsa_enable_private_segment 0
		.amdhsa_system_sgpr_workgroup_id_x 1
		.amdhsa_system_sgpr_workgroup_id_y 0
		.amdhsa_system_sgpr_workgroup_id_z 0
		.amdhsa_system_sgpr_workgroup_info 0
		.amdhsa_system_vgpr_workitem_id 0
		.amdhsa_next_free_vgpr 10
		.amdhsa_next_free_sgpr 16
		.amdhsa_reserve_vcc 1
		.amdhsa_float_round_mode_32 0
		.amdhsa_float_round_mode_16_64 0
		.amdhsa_float_denorm_mode_32 3
		.amdhsa_float_denorm_mode_16_64 3
		.amdhsa_dx10_clamp 1
		.amdhsa_ieee_mode 1
		.amdhsa_fp16_overflow 0
		.amdhsa_workgroup_processor_mode 1
		.amdhsa_memory_ordered 1
		.amdhsa_forward_progress 0
		.amdhsa_shared_vgpr_count 0
		.amdhsa_exception_fp_ieee_invalid_op 0
		.amdhsa_exception_fp_denorm_src 0
		.amdhsa_exception_fp_ieee_div_zero 0
		.amdhsa_exception_fp_ieee_overflow 0
		.amdhsa_exception_fp_ieee_underflow 0
		.amdhsa_exception_fp_ieee_inexact 0
		.amdhsa_exception_int_div_zero 0
	.end_amdhsa_kernel
	.section	.text._Z21exclusive_scan_kernelILj65ELN6hipcub18BlockScanAlgorithmE0EiEvPT1_S2_,"axG",@progbits,_Z21exclusive_scan_kernelILj65ELN6hipcub18BlockScanAlgorithmE0EiEvPT1_S2_,comdat
.Lfunc_end91:
	.size	_Z21exclusive_scan_kernelILj65ELN6hipcub18BlockScanAlgorithmE0EiEvPT1_S2_, .Lfunc_end91-_Z21exclusive_scan_kernelILj65ELN6hipcub18BlockScanAlgorithmE0EiEvPT1_S2_
                                        ; -- End function
	.section	.AMDGPU.csdata,"",@progbits
; Kernel info:
; codeLenInByte = 524
; NumSgprs: 18
; NumVgprs: 10
; ScratchSize: 0
; MemoryBound: 0
; FloatMode: 240
; IeeeMode: 1
; LDSByteSize: 12 bytes/workgroup (compile time only)
; SGPRBlocks: 2
; VGPRBlocks: 1
; NumSGPRsForWavesPerEU: 18
; NumVGPRsForWavesPerEU: 10
; Occupancy: 16
; WaveLimiterHint : 0
; COMPUTE_PGM_RSRC2:SCRATCH_EN: 0
; COMPUTE_PGM_RSRC2:USER_SGPR: 15
; COMPUTE_PGM_RSRC2:TRAP_HANDLER: 0
; COMPUTE_PGM_RSRC2:TGID_X_EN: 1
; COMPUTE_PGM_RSRC2:TGID_Y_EN: 0
; COMPUTE_PGM_RSRC2:TGID_Z_EN: 0
; COMPUTE_PGM_RSRC2:TIDIG_COMP_CNT: 0
	.section	.text._Z21exclusive_scan_kernelILj512ELN6hipcub18BlockScanAlgorithmE0EiEvPT1_S2_,"axG",@progbits,_Z21exclusive_scan_kernelILj512ELN6hipcub18BlockScanAlgorithmE0EiEvPT1_S2_,comdat
	.protected	_Z21exclusive_scan_kernelILj512ELN6hipcub18BlockScanAlgorithmE0EiEvPT1_S2_ ; -- Begin function _Z21exclusive_scan_kernelILj512ELN6hipcub18BlockScanAlgorithmE0EiEvPT1_S2_
	.globl	_Z21exclusive_scan_kernelILj512ELN6hipcub18BlockScanAlgorithmE0EiEvPT1_S2_
	.p2align	8
	.type	_Z21exclusive_scan_kernelILj512ELN6hipcub18BlockScanAlgorithmE0EiEvPT1_S2_,@function
_Z21exclusive_scan_kernelILj512ELN6hipcub18BlockScanAlgorithmE0EiEvPT1_S2_: ; @_Z21exclusive_scan_kernelILj512ELN6hipcub18BlockScanAlgorithmE0EiEvPT1_S2_
; %bb.0:
	s_load_b64 s[2:3], s[0:1], 0x0
	v_lshl_or_b32 v1, s15, 9, v0
	v_mbcnt_lo_u32_b32 v3, -1, 0
	v_mov_b32_e32 v2, 0
	v_or_b32_e32 v7, 31, v0
	s_mov_b32 s6, exec_lo
	s_delay_alu instid0(VALU_DEP_3) | instskip(NEXT) | instid1(VALU_DEP_3)
	v_and_b32_e32 v5, 15, v3
	v_lshlrev_b64 v[1:2], 2, v[1:2]
	s_delay_alu instid0(VALU_DEP_2) | instskip(SKIP_1) | instid1(VALU_DEP_2)
	v_cmp_lt_u32_e64 s4, 7, v5
	s_waitcnt lgkmcnt(0)
	v_add_co_u32 v1, vcc_lo, s2, v1
	s_delay_alu instid0(VALU_DEP_3)
	v_add_co_ci_u32_e32 v2, vcc_lo, s3, v2, vcc_lo
	v_cmp_eq_u32_e32 vcc_lo, 0, v5
	v_cmp_lt_u32_e64 s2, 1, v5
	v_cmp_lt_u32_e64 s3, 3, v5
	global_load_b32 v4, v[1:2], off
	s_waitcnt vmcnt(0)
	v_mov_b32_dpp v6, v4 row_shr:1 row_mask:0xf bank_mask:0xf
	s_delay_alu instid0(VALU_DEP_1) | instskip(NEXT) | instid1(VALU_DEP_1)
	v_cndmask_b32_e64 v6, v6, 0, vcc_lo
	v_add_nc_u32_e32 v4, v6, v4
	s_delay_alu instid0(VALU_DEP_1) | instskip(NEXT) | instid1(VALU_DEP_1)
	v_mov_b32_dpp v6, v4 row_shr:2 row_mask:0xf bank_mask:0xf
	v_cndmask_b32_e64 v6, 0, v6, s2
	s_delay_alu instid0(VALU_DEP_1) | instskip(NEXT) | instid1(VALU_DEP_1)
	v_add_nc_u32_e32 v4, v4, v6
	v_mov_b32_dpp v6, v4 row_shr:4 row_mask:0xf bank_mask:0xf
	s_delay_alu instid0(VALU_DEP_1) | instskip(NEXT) | instid1(VALU_DEP_1)
	v_cndmask_b32_e64 v6, 0, v6, s3
	v_add_nc_u32_e32 v4, v4, v6
	s_delay_alu instid0(VALU_DEP_1) | instskip(NEXT) | instid1(VALU_DEP_1)
	v_mov_b32_dpp v6, v4 row_shr:8 row_mask:0xf bank_mask:0xf
	v_cndmask_b32_e64 v5, 0, v6, s4
	v_bfe_i32 v6, v3, 4, 1
	s_delay_alu instid0(VALU_DEP_2) | instskip(SKIP_4) | instid1(VALU_DEP_2)
	v_add_nc_u32_e32 v4, v4, v5
	ds_swizzle_b32 v5, v4 offset:swizzle(BROADCAST,32,15)
	s_waitcnt lgkmcnt(0)
	v_and_b32_e32 v6, v6, v5
	v_lshrrev_b32_e32 v5, 5, v0
	v_add_nc_u32_e32 v4, v4, v6
	v_cmpx_eq_u32_e64 v7, v0
	s_cbranch_execz .LBB92_2
; %bb.1:
	s_delay_alu instid0(VALU_DEP_3)
	v_lshlrev_b32_e32 v6, 2, v5
	ds_store_b32 v6, v4
.LBB92_2:
	s_or_b32 exec_lo, exec_lo, s6
	s_delay_alu instid0(SALU_CYCLE_1)
	s_mov_b32 s6, exec_lo
	s_waitcnt lgkmcnt(0)
	s_barrier
	buffer_gl0_inv
	v_cmpx_gt_u32_e32 16, v0
	s_cbranch_execz .LBB92_4
; %bb.3:
	v_lshlrev_b32_e32 v6, 2, v0
	ds_load_b32 v7, v6
	s_waitcnt lgkmcnt(0)
	v_mov_b32_dpp v8, v7 row_shr:1 row_mask:0xf bank_mask:0xf
	s_delay_alu instid0(VALU_DEP_1) | instskip(NEXT) | instid1(VALU_DEP_1)
	v_cndmask_b32_e64 v8, v8, 0, vcc_lo
	v_add_nc_u32_e32 v7, v8, v7
	s_delay_alu instid0(VALU_DEP_1) | instskip(NEXT) | instid1(VALU_DEP_1)
	v_mov_b32_dpp v8, v7 row_shr:2 row_mask:0xf bank_mask:0xf
	v_cndmask_b32_e64 v8, 0, v8, s2
	s_delay_alu instid0(VALU_DEP_1) | instskip(NEXT) | instid1(VALU_DEP_1)
	v_add_nc_u32_e32 v7, v7, v8
	v_mov_b32_dpp v8, v7 row_shr:4 row_mask:0xf bank_mask:0xf
	s_delay_alu instid0(VALU_DEP_1) | instskip(NEXT) | instid1(VALU_DEP_1)
	v_cndmask_b32_e64 v8, 0, v8, s3
	v_add_nc_u32_e32 v7, v7, v8
	s_delay_alu instid0(VALU_DEP_1) | instskip(NEXT) | instid1(VALU_DEP_1)
	v_mov_b32_dpp v8, v7 row_shr:8 row_mask:0xf bank_mask:0xf
	v_cndmask_b32_e64 v8, 0, v8, s4
	s_delay_alu instid0(VALU_DEP_1)
	v_add_nc_u32_e32 v7, v7, v8
	ds_store_b32 v6, v7
.LBB92_4:
	s_or_b32 exec_lo, exec_lo, s6
	s_load_b32 s0, s[0:1], 0x8
	v_cmp_lt_u32_e32 vcc_lo, 31, v0
	s_waitcnt lgkmcnt(0)
	s_barrier
	buffer_gl0_inv
	v_mov_b32_e32 v0, s0
	s_and_saveexec_b32 s1, vcc_lo
	s_cbranch_execz .LBB92_6
; %bb.5:
	v_lshl_add_u32 v0, v5, 2, -4
	ds_load_b32 v0, v0
	s_waitcnt lgkmcnt(0)
	v_add_nc_u32_e32 v0, s0, v0
.LBB92_6:
	s_or_b32 exec_lo, exec_lo, s1
	v_add_nc_u32_e32 v5, -1, v3
	s_delay_alu instid0(VALU_DEP_2) | instskip(NEXT) | instid1(VALU_DEP_2)
	v_add_nc_u32_e32 v4, v0, v4
	v_cmp_gt_i32_e32 vcc_lo, 0, v5
	v_cndmask_b32_e32 v5, v5, v3, vcc_lo
	v_cmp_eq_u32_e32 vcc_lo, 0, v3
	s_delay_alu instid0(VALU_DEP_2)
	v_lshlrev_b32_e32 v5, 2, v5
	ds_bpermute_b32 v4, v5, v4
	s_waitcnt lgkmcnt(0)
	v_cndmask_b32_e32 v0, v4, v0, vcc_lo
	global_store_b32 v[1:2], v0, off
	s_nop 0
	s_sendmsg sendmsg(MSG_DEALLOC_VGPRS)
	s_endpgm
	.section	.rodata,"a",@progbits
	.p2align	6, 0x0
	.amdhsa_kernel _Z21exclusive_scan_kernelILj512ELN6hipcub18BlockScanAlgorithmE0EiEvPT1_S2_
		.amdhsa_group_segment_fixed_size 64
		.amdhsa_private_segment_fixed_size 0
		.amdhsa_kernarg_size 12
		.amdhsa_user_sgpr_count 15
		.amdhsa_user_sgpr_dispatch_ptr 0
		.amdhsa_user_sgpr_queue_ptr 0
		.amdhsa_user_sgpr_kernarg_segment_ptr 1
		.amdhsa_user_sgpr_dispatch_id 0
		.amdhsa_user_sgpr_private_segment_size 0
		.amdhsa_wavefront_size32 1
		.amdhsa_uses_dynamic_stack 0
		.amdhsa_enable_private_segment 0
		.amdhsa_system_sgpr_workgroup_id_x 1
		.amdhsa_system_sgpr_workgroup_id_y 0
		.amdhsa_system_sgpr_workgroup_id_z 0
		.amdhsa_system_sgpr_workgroup_info 0
		.amdhsa_system_vgpr_workitem_id 0
		.amdhsa_next_free_vgpr 9
		.amdhsa_next_free_sgpr 16
		.amdhsa_reserve_vcc 1
		.amdhsa_float_round_mode_32 0
		.amdhsa_float_round_mode_16_64 0
		.amdhsa_float_denorm_mode_32 3
		.amdhsa_float_denorm_mode_16_64 3
		.amdhsa_dx10_clamp 1
		.amdhsa_ieee_mode 1
		.amdhsa_fp16_overflow 0
		.amdhsa_workgroup_processor_mode 1
		.amdhsa_memory_ordered 1
		.amdhsa_forward_progress 0
		.amdhsa_shared_vgpr_count 0
		.amdhsa_exception_fp_ieee_invalid_op 0
		.amdhsa_exception_fp_denorm_src 0
		.amdhsa_exception_fp_ieee_div_zero 0
		.amdhsa_exception_fp_ieee_overflow 0
		.amdhsa_exception_fp_ieee_underflow 0
		.amdhsa_exception_fp_ieee_inexact 0
		.amdhsa_exception_int_div_zero 0
	.end_amdhsa_kernel
	.section	.text._Z21exclusive_scan_kernelILj512ELN6hipcub18BlockScanAlgorithmE0EiEvPT1_S2_,"axG",@progbits,_Z21exclusive_scan_kernelILj512ELN6hipcub18BlockScanAlgorithmE0EiEvPT1_S2_,comdat
.Lfunc_end92:
	.size	_Z21exclusive_scan_kernelILj512ELN6hipcub18BlockScanAlgorithmE0EiEvPT1_S2_, .Lfunc_end92-_Z21exclusive_scan_kernelILj512ELN6hipcub18BlockScanAlgorithmE0EiEvPT1_S2_
                                        ; -- End function
	.section	.AMDGPU.csdata,"",@progbits
; Kernel info:
; codeLenInByte = 584
; NumSgprs: 18
; NumVgprs: 9
; ScratchSize: 0
; MemoryBound: 0
; FloatMode: 240
; IeeeMode: 1
; LDSByteSize: 64 bytes/workgroup (compile time only)
; SGPRBlocks: 2
; VGPRBlocks: 1
; NumSGPRsForWavesPerEU: 18
; NumVGPRsForWavesPerEU: 9
; Occupancy: 16
; WaveLimiterHint : 0
; COMPUTE_PGM_RSRC2:SCRATCH_EN: 0
; COMPUTE_PGM_RSRC2:USER_SGPR: 15
; COMPUTE_PGM_RSRC2:TRAP_HANDLER: 0
; COMPUTE_PGM_RSRC2:TGID_X_EN: 1
; COMPUTE_PGM_RSRC2:TGID_Y_EN: 0
; COMPUTE_PGM_RSRC2:TGID_Z_EN: 0
; COMPUTE_PGM_RSRC2:TIDIG_COMP_CNT: 0
	.section	.text._Z21exclusive_scan_kernelILj256ELN6hipcub18BlockScanAlgorithmE0EiEvPT1_S2_,"axG",@progbits,_Z21exclusive_scan_kernelILj256ELN6hipcub18BlockScanAlgorithmE0EiEvPT1_S2_,comdat
	.protected	_Z21exclusive_scan_kernelILj256ELN6hipcub18BlockScanAlgorithmE0EiEvPT1_S2_ ; -- Begin function _Z21exclusive_scan_kernelILj256ELN6hipcub18BlockScanAlgorithmE0EiEvPT1_S2_
	.globl	_Z21exclusive_scan_kernelILj256ELN6hipcub18BlockScanAlgorithmE0EiEvPT1_S2_
	.p2align	8
	.type	_Z21exclusive_scan_kernelILj256ELN6hipcub18BlockScanAlgorithmE0EiEvPT1_S2_,@function
_Z21exclusive_scan_kernelILj256ELN6hipcub18BlockScanAlgorithmE0EiEvPT1_S2_: ; @_Z21exclusive_scan_kernelILj256ELN6hipcub18BlockScanAlgorithmE0EiEvPT1_S2_
; %bb.0:
	s_load_b64 s[2:3], s[0:1], 0x0
	v_lshl_or_b32 v1, s15, 8, v0
	v_mbcnt_lo_u32_b32 v3, -1, 0
	v_mov_b32_e32 v2, 0
	v_or_b32_e32 v7, 31, v0
	s_delay_alu instid0(VALU_DEP_3) | instskip(NEXT) | instid1(VALU_DEP_3)
	v_and_b32_e32 v5, 15, v3
	v_lshlrev_b64 v[1:2], 2, v[1:2]
	s_waitcnt lgkmcnt(0)
	s_delay_alu instid0(VALU_DEP_1) | instskip(NEXT) | instid1(VALU_DEP_2)
	v_add_co_u32 v1, vcc_lo, s2, v1
	v_add_co_ci_u32_e32 v2, vcc_lo, s3, v2, vcc_lo
	v_cmp_ne_u32_e32 vcc_lo, 0, v5
	s_mov_b32 s2, exec_lo
	global_load_b32 v4, v[1:2], off
	s_waitcnt vmcnt(0)
	v_mov_b32_dpp v6, v4 row_shr:1 row_mask:0xf bank_mask:0xf
	s_delay_alu instid0(VALU_DEP_1) | instskip(SKIP_1) | instid1(VALU_DEP_2)
	v_cndmask_b32_e32 v6, 0, v6, vcc_lo
	v_cmp_lt_u32_e32 vcc_lo, 1, v5
	v_add_nc_u32_e32 v4, v6, v4
	s_delay_alu instid0(VALU_DEP_1) | instskip(NEXT) | instid1(VALU_DEP_1)
	v_mov_b32_dpp v6, v4 row_shr:2 row_mask:0xf bank_mask:0xf
	v_cndmask_b32_e32 v6, 0, v6, vcc_lo
	v_cmp_lt_u32_e32 vcc_lo, 3, v5
	s_delay_alu instid0(VALU_DEP_2) | instskip(NEXT) | instid1(VALU_DEP_1)
	v_add_nc_u32_e32 v4, v4, v6
	v_mov_b32_dpp v6, v4 row_shr:4 row_mask:0xf bank_mask:0xf
	s_delay_alu instid0(VALU_DEP_1) | instskip(SKIP_1) | instid1(VALU_DEP_2)
	v_cndmask_b32_e32 v6, 0, v6, vcc_lo
	v_cmp_lt_u32_e32 vcc_lo, 7, v5
	v_add_nc_u32_e32 v4, v4, v6
	s_delay_alu instid0(VALU_DEP_1) | instskip(NEXT) | instid1(VALU_DEP_1)
	v_mov_b32_dpp v6, v4 row_shr:8 row_mask:0xf bank_mask:0xf
	v_cndmask_b32_e32 v5, 0, v6, vcc_lo
	v_bfe_i32 v6, v3, 4, 1
	s_delay_alu instid0(VALU_DEP_2) | instskip(SKIP_4) | instid1(VALU_DEP_2)
	v_add_nc_u32_e32 v4, v4, v5
	ds_swizzle_b32 v5, v4 offset:swizzle(BROADCAST,32,15)
	s_waitcnt lgkmcnt(0)
	v_and_b32_e32 v6, v6, v5
	v_lshrrev_b32_e32 v5, 5, v0
	v_add_nc_u32_e32 v4, v4, v6
	v_cmpx_eq_u32_e64 v7, v0
	s_cbranch_execz .LBB93_2
; %bb.1:
	s_delay_alu instid0(VALU_DEP_3)
	v_lshlrev_b32_e32 v6, 2, v5
	ds_store_b32 v6, v4
.LBB93_2:
	s_or_b32 exec_lo, exec_lo, s2
	s_delay_alu instid0(SALU_CYCLE_1)
	s_mov_b32 s2, exec_lo
	s_waitcnt lgkmcnt(0)
	s_barrier
	buffer_gl0_inv
	v_cmpx_gt_u32_e32 8, v0
	s_cbranch_execz .LBB93_4
; %bb.3:
	v_and_b32_e32 v8, 7, v3
	s_delay_alu instid0(VALU_DEP_1) | instskip(SKIP_4) | instid1(VALU_DEP_1)
	v_cmp_ne_u32_e32 vcc_lo, 0, v8
	v_lshlrev_b32_e32 v6, 2, v0
	ds_load_b32 v7, v6
	s_waitcnt lgkmcnt(0)
	v_mov_b32_dpp v9, v7 row_shr:1 row_mask:0xf bank_mask:0xf
	v_cndmask_b32_e32 v9, 0, v9, vcc_lo
	v_cmp_lt_u32_e32 vcc_lo, 1, v8
	s_delay_alu instid0(VALU_DEP_2) | instskip(NEXT) | instid1(VALU_DEP_1)
	v_add_nc_u32_e32 v7, v9, v7
	v_mov_b32_dpp v9, v7 row_shr:2 row_mask:0xf bank_mask:0xf
	s_delay_alu instid0(VALU_DEP_1) | instskip(SKIP_1) | instid1(VALU_DEP_2)
	v_cndmask_b32_e32 v9, 0, v9, vcc_lo
	v_cmp_lt_u32_e32 vcc_lo, 3, v8
	v_add_nc_u32_e32 v7, v7, v9
	s_delay_alu instid0(VALU_DEP_1) | instskip(NEXT) | instid1(VALU_DEP_1)
	v_mov_b32_dpp v9, v7 row_shr:4 row_mask:0xf bank_mask:0xf
	v_cndmask_b32_e32 v8, 0, v9, vcc_lo
	s_delay_alu instid0(VALU_DEP_1)
	v_add_nc_u32_e32 v7, v7, v8
	ds_store_b32 v6, v7
.LBB93_4:
	s_or_b32 exec_lo, exec_lo, s2
	s_load_b32 s0, s[0:1], 0x8
	v_cmp_lt_u32_e32 vcc_lo, 31, v0
	s_waitcnt lgkmcnt(0)
	s_barrier
	buffer_gl0_inv
	v_mov_b32_e32 v0, s0
	s_and_saveexec_b32 s1, vcc_lo
	s_cbranch_execz .LBB93_6
; %bb.5:
	v_lshl_add_u32 v0, v5, 2, -4
	ds_load_b32 v0, v0
	s_waitcnt lgkmcnt(0)
	v_add_nc_u32_e32 v0, s0, v0
.LBB93_6:
	s_or_b32 exec_lo, exec_lo, s1
	v_add_nc_u32_e32 v5, -1, v3
	s_delay_alu instid0(VALU_DEP_2) | instskip(NEXT) | instid1(VALU_DEP_2)
	v_add_nc_u32_e32 v4, v0, v4
	v_cmp_gt_i32_e32 vcc_lo, 0, v5
	v_cndmask_b32_e32 v5, v5, v3, vcc_lo
	v_cmp_eq_u32_e32 vcc_lo, 0, v3
	s_delay_alu instid0(VALU_DEP_2)
	v_lshlrev_b32_e32 v5, 2, v5
	ds_bpermute_b32 v4, v5, v4
	s_waitcnt lgkmcnt(0)
	v_cndmask_b32_e32 v0, v4, v0, vcc_lo
	global_store_b32 v[1:2], v0, off
	s_nop 0
	s_sendmsg sendmsg(MSG_DEALLOC_VGPRS)
	s_endpgm
	.section	.rodata,"a",@progbits
	.p2align	6, 0x0
	.amdhsa_kernel _Z21exclusive_scan_kernelILj256ELN6hipcub18BlockScanAlgorithmE0EiEvPT1_S2_
		.amdhsa_group_segment_fixed_size 32
		.amdhsa_private_segment_fixed_size 0
		.amdhsa_kernarg_size 12
		.amdhsa_user_sgpr_count 15
		.amdhsa_user_sgpr_dispatch_ptr 0
		.amdhsa_user_sgpr_queue_ptr 0
		.amdhsa_user_sgpr_kernarg_segment_ptr 1
		.amdhsa_user_sgpr_dispatch_id 0
		.amdhsa_user_sgpr_private_segment_size 0
		.amdhsa_wavefront_size32 1
		.amdhsa_uses_dynamic_stack 0
		.amdhsa_enable_private_segment 0
		.amdhsa_system_sgpr_workgroup_id_x 1
		.amdhsa_system_sgpr_workgroup_id_y 0
		.amdhsa_system_sgpr_workgroup_id_z 0
		.amdhsa_system_sgpr_workgroup_info 0
		.amdhsa_system_vgpr_workitem_id 0
		.amdhsa_next_free_vgpr 10
		.amdhsa_next_free_sgpr 16
		.amdhsa_reserve_vcc 1
		.amdhsa_float_round_mode_32 0
		.amdhsa_float_round_mode_16_64 0
		.amdhsa_float_denorm_mode_32 3
		.amdhsa_float_denorm_mode_16_64 3
		.amdhsa_dx10_clamp 1
		.amdhsa_ieee_mode 1
		.amdhsa_fp16_overflow 0
		.amdhsa_workgroup_processor_mode 1
		.amdhsa_memory_ordered 1
		.amdhsa_forward_progress 0
		.amdhsa_shared_vgpr_count 0
		.amdhsa_exception_fp_ieee_invalid_op 0
		.amdhsa_exception_fp_denorm_src 0
		.amdhsa_exception_fp_ieee_div_zero 0
		.amdhsa_exception_fp_ieee_overflow 0
		.amdhsa_exception_fp_ieee_underflow 0
		.amdhsa_exception_fp_ieee_inexact 0
		.amdhsa_exception_int_div_zero 0
	.end_amdhsa_kernel
	.section	.text._Z21exclusive_scan_kernelILj256ELN6hipcub18BlockScanAlgorithmE0EiEvPT1_S2_,"axG",@progbits,_Z21exclusive_scan_kernelILj256ELN6hipcub18BlockScanAlgorithmE0EiEvPT1_S2_,comdat
.Lfunc_end93:
	.size	_Z21exclusive_scan_kernelILj256ELN6hipcub18BlockScanAlgorithmE0EiEvPT1_S2_, .Lfunc_end93-_Z21exclusive_scan_kernelILj256ELN6hipcub18BlockScanAlgorithmE0EiEvPT1_S2_
                                        ; -- End function
	.section	.AMDGPU.csdata,"",@progbits
; Kernel info:
; codeLenInByte = 532
; NumSgprs: 18
; NumVgprs: 10
; ScratchSize: 0
; MemoryBound: 0
; FloatMode: 240
; IeeeMode: 1
; LDSByteSize: 32 bytes/workgroup (compile time only)
; SGPRBlocks: 2
; VGPRBlocks: 1
; NumSGPRsForWavesPerEU: 18
; NumVGPRsForWavesPerEU: 10
; Occupancy: 16
; WaveLimiterHint : 0
; COMPUTE_PGM_RSRC2:SCRATCH_EN: 0
; COMPUTE_PGM_RSRC2:USER_SGPR: 15
; COMPUTE_PGM_RSRC2:TRAP_HANDLER: 0
; COMPUTE_PGM_RSRC2:TGID_X_EN: 1
; COMPUTE_PGM_RSRC2:TGID_Y_EN: 0
; COMPUTE_PGM_RSRC2:TGID_Z_EN: 0
; COMPUTE_PGM_RSRC2:TIDIG_COMP_CNT: 0
	.section	.text._Z21exclusive_scan_kernelILj128ELN6hipcub18BlockScanAlgorithmE0EiEvPT1_S2_,"axG",@progbits,_Z21exclusive_scan_kernelILj128ELN6hipcub18BlockScanAlgorithmE0EiEvPT1_S2_,comdat
	.protected	_Z21exclusive_scan_kernelILj128ELN6hipcub18BlockScanAlgorithmE0EiEvPT1_S2_ ; -- Begin function _Z21exclusive_scan_kernelILj128ELN6hipcub18BlockScanAlgorithmE0EiEvPT1_S2_
	.globl	_Z21exclusive_scan_kernelILj128ELN6hipcub18BlockScanAlgorithmE0EiEvPT1_S2_
	.p2align	8
	.type	_Z21exclusive_scan_kernelILj128ELN6hipcub18BlockScanAlgorithmE0EiEvPT1_S2_,@function
_Z21exclusive_scan_kernelILj128ELN6hipcub18BlockScanAlgorithmE0EiEvPT1_S2_: ; @_Z21exclusive_scan_kernelILj128ELN6hipcub18BlockScanAlgorithmE0EiEvPT1_S2_
; %bb.0:
	s_load_b64 s[2:3], s[0:1], 0x0
	v_lshl_or_b32 v1, s15, 7, v0
	v_mbcnt_lo_u32_b32 v3, -1, 0
	v_mov_b32_e32 v2, 0
	v_or_b32_e32 v7, 31, v0
	s_delay_alu instid0(VALU_DEP_3) | instskip(NEXT) | instid1(VALU_DEP_3)
	v_and_b32_e32 v5, 15, v3
	v_lshlrev_b64 v[1:2], 2, v[1:2]
	s_waitcnt lgkmcnt(0)
	s_delay_alu instid0(VALU_DEP_1) | instskip(NEXT) | instid1(VALU_DEP_2)
	v_add_co_u32 v1, vcc_lo, s2, v1
	v_add_co_ci_u32_e32 v2, vcc_lo, s3, v2, vcc_lo
	v_cmp_ne_u32_e32 vcc_lo, 0, v5
	s_mov_b32 s2, exec_lo
	global_load_b32 v4, v[1:2], off
	s_waitcnt vmcnt(0)
	v_mov_b32_dpp v6, v4 row_shr:1 row_mask:0xf bank_mask:0xf
	s_delay_alu instid0(VALU_DEP_1) | instskip(SKIP_1) | instid1(VALU_DEP_2)
	v_cndmask_b32_e32 v6, 0, v6, vcc_lo
	v_cmp_lt_u32_e32 vcc_lo, 1, v5
	v_add_nc_u32_e32 v4, v6, v4
	s_delay_alu instid0(VALU_DEP_1) | instskip(NEXT) | instid1(VALU_DEP_1)
	v_mov_b32_dpp v6, v4 row_shr:2 row_mask:0xf bank_mask:0xf
	v_cndmask_b32_e32 v6, 0, v6, vcc_lo
	v_cmp_lt_u32_e32 vcc_lo, 3, v5
	s_delay_alu instid0(VALU_DEP_2) | instskip(NEXT) | instid1(VALU_DEP_1)
	v_add_nc_u32_e32 v4, v4, v6
	v_mov_b32_dpp v6, v4 row_shr:4 row_mask:0xf bank_mask:0xf
	s_delay_alu instid0(VALU_DEP_1) | instskip(SKIP_1) | instid1(VALU_DEP_2)
	v_cndmask_b32_e32 v6, 0, v6, vcc_lo
	v_cmp_lt_u32_e32 vcc_lo, 7, v5
	v_add_nc_u32_e32 v4, v4, v6
	s_delay_alu instid0(VALU_DEP_1) | instskip(NEXT) | instid1(VALU_DEP_1)
	v_mov_b32_dpp v6, v4 row_shr:8 row_mask:0xf bank_mask:0xf
	v_cndmask_b32_e32 v5, 0, v6, vcc_lo
	v_bfe_i32 v6, v3, 4, 1
	s_delay_alu instid0(VALU_DEP_2) | instskip(SKIP_4) | instid1(VALU_DEP_2)
	v_add_nc_u32_e32 v4, v4, v5
	ds_swizzle_b32 v5, v4 offset:swizzle(BROADCAST,32,15)
	s_waitcnt lgkmcnt(0)
	v_and_b32_e32 v6, v6, v5
	v_lshrrev_b32_e32 v5, 5, v0
	v_add_nc_u32_e32 v4, v4, v6
	v_cmpx_eq_u32_e64 v7, v0
	s_cbranch_execz .LBB94_2
; %bb.1:
	s_delay_alu instid0(VALU_DEP_3)
	v_lshlrev_b32_e32 v6, 2, v5
	ds_store_b32 v6, v4
.LBB94_2:
	s_or_b32 exec_lo, exec_lo, s2
	s_delay_alu instid0(SALU_CYCLE_1)
	s_mov_b32 s2, exec_lo
	s_waitcnt lgkmcnt(0)
	s_barrier
	buffer_gl0_inv
	v_cmpx_gt_u32_e32 4, v0
	s_cbranch_execz .LBB94_4
; %bb.3:
	v_and_b32_e32 v8, 3, v3
	s_delay_alu instid0(VALU_DEP_1) | instskip(SKIP_4) | instid1(VALU_DEP_1)
	v_cmp_ne_u32_e32 vcc_lo, 0, v8
	v_lshlrev_b32_e32 v6, 2, v0
	ds_load_b32 v7, v6
	s_waitcnt lgkmcnt(0)
	v_mov_b32_dpp v9, v7 row_shr:1 row_mask:0xf bank_mask:0xf
	v_cndmask_b32_e32 v9, 0, v9, vcc_lo
	v_cmp_lt_u32_e32 vcc_lo, 1, v8
	s_delay_alu instid0(VALU_DEP_2) | instskip(NEXT) | instid1(VALU_DEP_1)
	v_add_nc_u32_e32 v7, v9, v7
	v_mov_b32_dpp v9, v7 row_shr:2 row_mask:0xf bank_mask:0xf
	s_delay_alu instid0(VALU_DEP_1) | instskip(NEXT) | instid1(VALU_DEP_1)
	v_cndmask_b32_e32 v8, 0, v9, vcc_lo
	v_add_nc_u32_e32 v7, v7, v8
	ds_store_b32 v6, v7
.LBB94_4:
	s_or_b32 exec_lo, exec_lo, s2
	s_load_b32 s0, s[0:1], 0x8
	v_cmp_lt_u32_e32 vcc_lo, 31, v0
	s_waitcnt lgkmcnt(0)
	s_barrier
	buffer_gl0_inv
	v_mov_b32_e32 v0, s0
	s_and_saveexec_b32 s1, vcc_lo
	s_cbranch_execz .LBB94_6
; %bb.5:
	v_lshl_add_u32 v0, v5, 2, -4
	ds_load_b32 v0, v0
	s_waitcnt lgkmcnt(0)
	v_add_nc_u32_e32 v0, s0, v0
.LBB94_6:
	s_or_b32 exec_lo, exec_lo, s1
	v_add_nc_u32_e32 v5, -1, v3
	s_delay_alu instid0(VALU_DEP_2) | instskip(NEXT) | instid1(VALU_DEP_2)
	v_add_nc_u32_e32 v4, v0, v4
	v_cmp_gt_i32_e32 vcc_lo, 0, v5
	v_cndmask_b32_e32 v5, v5, v3, vcc_lo
	v_cmp_eq_u32_e32 vcc_lo, 0, v3
	s_delay_alu instid0(VALU_DEP_2)
	v_lshlrev_b32_e32 v5, 2, v5
	ds_bpermute_b32 v4, v5, v4
	s_waitcnt lgkmcnt(0)
	v_cndmask_b32_e32 v0, v4, v0, vcc_lo
	global_store_b32 v[1:2], v0, off
	s_nop 0
	s_sendmsg sendmsg(MSG_DEALLOC_VGPRS)
	s_endpgm
	.section	.rodata,"a",@progbits
	.p2align	6, 0x0
	.amdhsa_kernel _Z21exclusive_scan_kernelILj128ELN6hipcub18BlockScanAlgorithmE0EiEvPT1_S2_
		.amdhsa_group_segment_fixed_size 16
		.amdhsa_private_segment_fixed_size 0
		.amdhsa_kernarg_size 12
		.amdhsa_user_sgpr_count 15
		.amdhsa_user_sgpr_dispatch_ptr 0
		.amdhsa_user_sgpr_queue_ptr 0
		.amdhsa_user_sgpr_kernarg_segment_ptr 1
		.amdhsa_user_sgpr_dispatch_id 0
		.amdhsa_user_sgpr_private_segment_size 0
		.amdhsa_wavefront_size32 1
		.amdhsa_uses_dynamic_stack 0
		.amdhsa_enable_private_segment 0
		.amdhsa_system_sgpr_workgroup_id_x 1
		.amdhsa_system_sgpr_workgroup_id_y 0
		.amdhsa_system_sgpr_workgroup_id_z 0
		.amdhsa_system_sgpr_workgroup_info 0
		.amdhsa_system_vgpr_workitem_id 0
		.amdhsa_next_free_vgpr 10
		.amdhsa_next_free_sgpr 16
		.amdhsa_reserve_vcc 1
		.amdhsa_float_round_mode_32 0
		.amdhsa_float_round_mode_16_64 0
		.amdhsa_float_denorm_mode_32 3
		.amdhsa_float_denorm_mode_16_64 3
		.amdhsa_dx10_clamp 1
		.amdhsa_ieee_mode 1
		.amdhsa_fp16_overflow 0
		.amdhsa_workgroup_processor_mode 1
		.amdhsa_memory_ordered 1
		.amdhsa_forward_progress 0
		.amdhsa_shared_vgpr_count 0
		.amdhsa_exception_fp_ieee_invalid_op 0
		.amdhsa_exception_fp_denorm_src 0
		.amdhsa_exception_fp_ieee_div_zero 0
		.amdhsa_exception_fp_ieee_overflow 0
		.amdhsa_exception_fp_ieee_underflow 0
		.amdhsa_exception_fp_ieee_inexact 0
		.amdhsa_exception_int_div_zero 0
	.end_amdhsa_kernel
	.section	.text._Z21exclusive_scan_kernelILj128ELN6hipcub18BlockScanAlgorithmE0EiEvPT1_S2_,"axG",@progbits,_Z21exclusive_scan_kernelILj128ELN6hipcub18BlockScanAlgorithmE0EiEvPT1_S2_,comdat
.Lfunc_end94:
	.size	_Z21exclusive_scan_kernelILj128ELN6hipcub18BlockScanAlgorithmE0EiEvPT1_S2_, .Lfunc_end94-_Z21exclusive_scan_kernelILj128ELN6hipcub18BlockScanAlgorithmE0EiEvPT1_S2_
                                        ; -- End function
	.section	.AMDGPU.csdata,"",@progbits
; Kernel info:
; codeLenInByte = 504
; NumSgprs: 18
; NumVgprs: 10
; ScratchSize: 0
; MemoryBound: 0
; FloatMode: 240
; IeeeMode: 1
; LDSByteSize: 16 bytes/workgroup (compile time only)
; SGPRBlocks: 2
; VGPRBlocks: 1
; NumSGPRsForWavesPerEU: 18
; NumVGPRsForWavesPerEU: 10
; Occupancy: 16
; WaveLimiterHint : 0
; COMPUTE_PGM_RSRC2:SCRATCH_EN: 0
; COMPUTE_PGM_RSRC2:USER_SGPR: 15
; COMPUTE_PGM_RSRC2:TRAP_HANDLER: 0
; COMPUTE_PGM_RSRC2:TGID_X_EN: 1
; COMPUTE_PGM_RSRC2:TGID_Y_EN: 0
; COMPUTE_PGM_RSRC2:TGID_Z_EN: 0
; COMPUTE_PGM_RSRC2:TIDIG_COMP_CNT: 0
	.section	.text._Z21exclusive_scan_kernelILj64ELN6hipcub18BlockScanAlgorithmE0EiEvPT1_S2_,"axG",@progbits,_Z21exclusive_scan_kernelILj64ELN6hipcub18BlockScanAlgorithmE0EiEvPT1_S2_,comdat
	.protected	_Z21exclusive_scan_kernelILj64ELN6hipcub18BlockScanAlgorithmE0EiEvPT1_S2_ ; -- Begin function _Z21exclusive_scan_kernelILj64ELN6hipcub18BlockScanAlgorithmE0EiEvPT1_S2_
	.globl	_Z21exclusive_scan_kernelILj64ELN6hipcub18BlockScanAlgorithmE0EiEvPT1_S2_
	.p2align	8
	.type	_Z21exclusive_scan_kernelILj64ELN6hipcub18BlockScanAlgorithmE0EiEvPT1_S2_,@function
_Z21exclusive_scan_kernelILj64ELN6hipcub18BlockScanAlgorithmE0EiEvPT1_S2_: ; @_Z21exclusive_scan_kernelILj64ELN6hipcub18BlockScanAlgorithmE0EiEvPT1_S2_
; %bb.0:
	s_load_b64 s[2:3], s[0:1], 0x0
	v_lshl_or_b32 v1, s15, 6, v0
	v_mbcnt_lo_u32_b32 v3, -1, 0
	v_mov_b32_e32 v2, 0
	v_or_b32_e32 v7, 31, v0
	s_delay_alu instid0(VALU_DEP_3) | instskip(NEXT) | instid1(VALU_DEP_3)
	v_and_b32_e32 v5, 15, v3
	v_lshlrev_b64 v[1:2], 2, v[1:2]
	s_waitcnt lgkmcnt(0)
	s_delay_alu instid0(VALU_DEP_1) | instskip(NEXT) | instid1(VALU_DEP_2)
	v_add_co_u32 v1, vcc_lo, s2, v1
	v_add_co_ci_u32_e32 v2, vcc_lo, s3, v2, vcc_lo
	v_cmp_ne_u32_e32 vcc_lo, 0, v5
	s_mov_b32 s2, exec_lo
	global_load_b32 v4, v[1:2], off
	s_waitcnt vmcnt(0)
	v_mov_b32_dpp v6, v4 row_shr:1 row_mask:0xf bank_mask:0xf
	s_delay_alu instid0(VALU_DEP_1) | instskip(SKIP_1) | instid1(VALU_DEP_2)
	v_cndmask_b32_e32 v6, 0, v6, vcc_lo
	v_cmp_lt_u32_e32 vcc_lo, 1, v5
	v_add_nc_u32_e32 v4, v6, v4
	s_delay_alu instid0(VALU_DEP_1) | instskip(NEXT) | instid1(VALU_DEP_1)
	v_mov_b32_dpp v6, v4 row_shr:2 row_mask:0xf bank_mask:0xf
	v_cndmask_b32_e32 v6, 0, v6, vcc_lo
	v_cmp_lt_u32_e32 vcc_lo, 3, v5
	s_delay_alu instid0(VALU_DEP_2) | instskip(NEXT) | instid1(VALU_DEP_1)
	v_add_nc_u32_e32 v4, v4, v6
	v_mov_b32_dpp v6, v4 row_shr:4 row_mask:0xf bank_mask:0xf
	s_delay_alu instid0(VALU_DEP_1) | instskip(SKIP_1) | instid1(VALU_DEP_2)
	v_cndmask_b32_e32 v6, 0, v6, vcc_lo
	v_cmp_lt_u32_e32 vcc_lo, 7, v5
	v_add_nc_u32_e32 v4, v4, v6
	s_delay_alu instid0(VALU_DEP_1) | instskip(NEXT) | instid1(VALU_DEP_1)
	v_mov_b32_dpp v6, v4 row_shr:8 row_mask:0xf bank_mask:0xf
	v_cndmask_b32_e32 v5, 0, v6, vcc_lo
	v_bfe_i32 v6, v3, 4, 1
	s_delay_alu instid0(VALU_DEP_2) | instskip(SKIP_4) | instid1(VALU_DEP_2)
	v_add_nc_u32_e32 v4, v4, v5
	ds_swizzle_b32 v5, v4 offset:swizzle(BROADCAST,32,15)
	s_waitcnt lgkmcnt(0)
	v_and_b32_e32 v6, v6, v5
	v_lshrrev_b32_e32 v5, 5, v0
	v_add_nc_u32_e32 v4, v4, v6
	v_cmpx_eq_u32_e64 v7, v0
	s_cbranch_execz .LBB95_2
; %bb.1:
	s_delay_alu instid0(VALU_DEP_3)
	v_lshlrev_b32_e32 v6, 2, v5
	ds_store_b32 v6, v4
.LBB95_2:
	s_or_b32 exec_lo, exec_lo, s2
	s_delay_alu instid0(SALU_CYCLE_1)
	s_mov_b32 s2, exec_lo
	s_waitcnt lgkmcnt(0)
	s_barrier
	buffer_gl0_inv
	v_cmpx_gt_u32_e32 2, v0
	s_cbranch_execz .LBB95_4
; %bb.3:
	v_lshlrev_b32_e32 v6, 2, v0
	v_bfe_i32 v8, v3, 0, 1
	ds_load_b32 v7, v6
	s_waitcnt lgkmcnt(0)
	v_mov_b32_dpp v9, v7 row_shr:1 row_mask:0xf bank_mask:0xf
	s_delay_alu instid0(VALU_DEP_1) | instskip(NEXT) | instid1(VALU_DEP_1)
	v_and_b32_e32 v8, v8, v9
	v_add_nc_u32_e32 v7, v8, v7
	ds_store_b32 v6, v7
.LBB95_4:
	s_or_b32 exec_lo, exec_lo, s2
	s_load_b32 s0, s[0:1], 0x8
	v_cmp_lt_u32_e32 vcc_lo, 31, v0
	s_waitcnt lgkmcnt(0)
	s_barrier
	buffer_gl0_inv
	v_mov_b32_e32 v0, s0
	s_and_saveexec_b32 s1, vcc_lo
	s_cbranch_execz .LBB95_6
; %bb.5:
	v_lshl_add_u32 v0, v5, 2, -4
	ds_load_b32 v0, v0
	s_waitcnt lgkmcnt(0)
	v_add_nc_u32_e32 v0, s0, v0
.LBB95_6:
	s_or_b32 exec_lo, exec_lo, s1
	v_add_nc_u32_e32 v5, -1, v3
	s_delay_alu instid0(VALU_DEP_2) | instskip(NEXT) | instid1(VALU_DEP_2)
	v_add_nc_u32_e32 v4, v0, v4
	v_cmp_gt_i32_e32 vcc_lo, 0, v5
	v_cndmask_b32_e32 v5, v5, v3, vcc_lo
	v_cmp_eq_u32_e32 vcc_lo, 0, v3
	s_delay_alu instid0(VALU_DEP_2)
	v_lshlrev_b32_e32 v5, 2, v5
	ds_bpermute_b32 v4, v5, v4
	s_waitcnt lgkmcnt(0)
	v_cndmask_b32_e32 v0, v4, v0, vcc_lo
	global_store_b32 v[1:2], v0, off
	s_nop 0
	s_sendmsg sendmsg(MSG_DEALLOC_VGPRS)
	s_endpgm
	.section	.rodata,"a",@progbits
	.p2align	6, 0x0
	.amdhsa_kernel _Z21exclusive_scan_kernelILj64ELN6hipcub18BlockScanAlgorithmE0EiEvPT1_S2_
		.amdhsa_group_segment_fixed_size 8
		.amdhsa_private_segment_fixed_size 0
		.amdhsa_kernarg_size 12
		.amdhsa_user_sgpr_count 15
		.amdhsa_user_sgpr_dispatch_ptr 0
		.amdhsa_user_sgpr_queue_ptr 0
		.amdhsa_user_sgpr_kernarg_segment_ptr 1
		.amdhsa_user_sgpr_dispatch_id 0
		.amdhsa_user_sgpr_private_segment_size 0
		.amdhsa_wavefront_size32 1
		.amdhsa_uses_dynamic_stack 0
		.amdhsa_enable_private_segment 0
		.amdhsa_system_sgpr_workgroup_id_x 1
		.amdhsa_system_sgpr_workgroup_id_y 0
		.amdhsa_system_sgpr_workgroup_id_z 0
		.amdhsa_system_sgpr_workgroup_info 0
		.amdhsa_system_vgpr_workitem_id 0
		.amdhsa_next_free_vgpr 10
		.amdhsa_next_free_sgpr 16
		.amdhsa_reserve_vcc 1
		.amdhsa_float_round_mode_32 0
		.amdhsa_float_round_mode_16_64 0
		.amdhsa_float_denorm_mode_32 3
		.amdhsa_float_denorm_mode_16_64 3
		.amdhsa_dx10_clamp 1
		.amdhsa_ieee_mode 1
		.amdhsa_fp16_overflow 0
		.amdhsa_workgroup_processor_mode 1
		.amdhsa_memory_ordered 1
		.amdhsa_forward_progress 0
		.amdhsa_shared_vgpr_count 0
		.amdhsa_exception_fp_ieee_invalid_op 0
		.amdhsa_exception_fp_denorm_src 0
		.amdhsa_exception_fp_ieee_div_zero 0
		.amdhsa_exception_fp_ieee_overflow 0
		.amdhsa_exception_fp_ieee_underflow 0
		.amdhsa_exception_fp_ieee_inexact 0
		.amdhsa_exception_int_div_zero 0
	.end_amdhsa_kernel
	.section	.text._Z21exclusive_scan_kernelILj64ELN6hipcub18BlockScanAlgorithmE0EiEvPT1_S2_,"axG",@progbits,_Z21exclusive_scan_kernelILj64ELN6hipcub18BlockScanAlgorithmE0EiEvPT1_S2_,comdat
.Lfunc_end95:
	.size	_Z21exclusive_scan_kernelILj64ELN6hipcub18BlockScanAlgorithmE0EiEvPT1_S2_, .Lfunc_end95-_Z21exclusive_scan_kernelILj64ELN6hipcub18BlockScanAlgorithmE0EiEvPT1_S2_
                                        ; -- End function
	.section	.AMDGPU.csdata,"",@progbits
; Kernel info:
; codeLenInByte = 476
; NumSgprs: 18
; NumVgprs: 10
; ScratchSize: 0
; MemoryBound: 0
; FloatMode: 240
; IeeeMode: 1
; LDSByteSize: 8 bytes/workgroup (compile time only)
; SGPRBlocks: 2
; VGPRBlocks: 1
; NumSGPRsForWavesPerEU: 18
; NumVGPRsForWavesPerEU: 10
; Occupancy: 16
; WaveLimiterHint : 0
; COMPUTE_PGM_RSRC2:SCRATCH_EN: 0
; COMPUTE_PGM_RSRC2:USER_SGPR: 15
; COMPUTE_PGM_RSRC2:TRAP_HANDLER: 0
; COMPUTE_PGM_RSRC2:TGID_X_EN: 1
; COMPUTE_PGM_RSRC2:TGID_Y_EN: 0
; COMPUTE_PGM_RSRC2:TGID_Z_EN: 0
; COMPUTE_PGM_RSRC2:TIDIG_COMP_CNT: 0
	.section	.text._Z28exclusive_scan_reduce_kernelILj377ELN6hipcub18BlockScanAlgorithmE1EhEvPT1_S3_S2_,"axG",@progbits,_Z28exclusive_scan_reduce_kernelILj377ELN6hipcub18BlockScanAlgorithmE1EhEvPT1_S3_S2_,comdat
	.protected	_Z28exclusive_scan_reduce_kernelILj377ELN6hipcub18BlockScanAlgorithmE1EhEvPT1_S3_S2_ ; -- Begin function _Z28exclusive_scan_reduce_kernelILj377ELN6hipcub18BlockScanAlgorithmE1EhEvPT1_S3_S2_
	.globl	_Z28exclusive_scan_reduce_kernelILj377ELN6hipcub18BlockScanAlgorithmE1EhEvPT1_S3_S2_
	.p2align	8
	.type	_Z28exclusive_scan_reduce_kernelILj377ELN6hipcub18BlockScanAlgorithmE1EhEvPT1_S3_S2_,@function
_Z28exclusive_scan_reduce_kernelILj377ELN6hipcub18BlockScanAlgorithmE1EhEvPT1_S3_S2_: ; @_Z28exclusive_scan_reduce_kernelILj377ELN6hipcub18BlockScanAlgorithmE1EhEvPT1_S3_S2_
; %bb.0:
	s_load_b128 s[4:7], s[0:1], 0x0
	v_mad_u64_u32 v[1:2], null, 0x179, s15, v[0:1]
	s_waitcnt lgkmcnt(0)
	global_load_u8 v3, v1, s[4:5]
	v_add_co_u32 v1, s2, s4, v1
	s_delay_alu instid0(VALU_DEP_1)
	v_add_co_ci_u32_e64 v2, null, s5, 0, s2
	s_mov_b32 s2, exec_lo
	s_waitcnt vmcnt(0)
	ds_store_b8 v0, v3
	s_waitcnt lgkmcnt(0)
	s_barrier
	buffer_gl0_inv
	v_cmpx_gt_u32_e32 32, v0
	s_cbranch_execz .LBB96_2
; %bb.1:
	v_mul_u32_u24_e32 v7, 12, v0
	v_mbcnt_lo_u32_b32 v18, -1, 0
	ds_load_b96 v[4:6], v7
	v_add_nc_u32_e32 v21, -1, v18
	s_waitcnt lgkmcnt(0)
	v_lshrrev_b32_e32 v8, 8, v4
	v_lshrrev_b32_e32 v9, 16, v4
	;; [unrolled: 1-line block ×5, first 2 shown]
	v_add_nc_u16 v10, v8, v4
	v_lshrrev_b32_e32 v14, 24, v5
	v_lshrrev_b32_e32 v15, 8, v6
	;; [unrolled: 1-line block ×4, first 2 shown]
	v_add_nc_u16 v10, v10, v9
	s_delay_alu instid0(VALU_DEP_1) | instskip(NEXT) | instid1(VALU_DEP_1)
	v_add_nc_u16 v10, v10, v11
	v_add_nc_u16 v10, v10, v5
	s_delay_alu instid0(VALU_DEP_1) | instskip(NEXT) | instid1(VALU_DEP_1)
	v_add_nc_u16 v10, v10, v12
	;; [unrolled: 3-line block ×5, first 2 shown]
	v_and_b32_e32 v19, 0xff, v10
	s_delay_alu instid0(VALU_DEP_1) | instskip(SKIP_1) | instid1(VALU_DEP_1)
	v_mov_b32_dpp v19, v19 row_shr:1 row_mask:0xf bank_mask:0xf
	v_and_b32_e32 v20, 15, v18
	v_cmp_ne_u32_e32 vcc_lo, 0, v20
	s_delay_alu instid0(VALU_DEP_3) | instskip(SKIP_1) | instid1(VALU_DEP_2)
	v_cndmask_b32_e32 v19, 0, v19, vcc_lo
	v_cmp_lt_u32_e32 vcc_lo, 1, v20
	v_add_nc_u16 v10, v19, v10
	s_delay_alu instid0(VALU_DEP_1) | instskip(NEXT) | instid1(VALU_DEP_1)
	v_and_b32_e32 v19, 0xff, v10
	v_mov_b32_dpp v19, v19 row_shr:2 row_mask:0xf bank_mask:0xf
	s_delay_alu instid0(VALU_DEP_1) | instskip(SKIP_1) | instid1(VALU_DEP_2)
	v_cndmask_b32_e32 v19, 0, v19, vcc_lo
	v_cmp_lt_u32_e32 vcc_lo, 3, v20
	v_add_nc_u16 v10, v10, v19
	s_delay_alu instid0(VALU_DEP_1) | instskip(NEXT) | instid1(VALU_DEP_1)
	v_and_b32_e32 v19, 0xff, v10
	v_mov_b32_dpp v19, v19 row_shr:4 row_mask:0xf bank_mask:0xf
	s_delay_alu instid0(VALU_DEP_1) | instskip(SKIP_2) | instid1(VALU_DEP_3)
	v_cndmask_b32_e32 v19, 0, v19, vcc_lo
	v_cmp_lt_u32_e32 vcc_lo, 7, v20
	v_and_b32_e32 v20, 16, v18
	v_add_nc_u16 v10, v10, v19
	s_delay_alu instid0(VALU_DEP_1) | instskip(NEXT) | instid1(VALU_DEP_1)
	v_and_b32_e32 v19, 0xff, v10
	v_mov_b32_dpp v19, v19 row_shr:8 row_mask:0xf bank_mask:0xf
	s_delay_alu instid0(VALU_DEP_1) | instskip(SKIP_1) | instid1(VALU_DEP_2)
	v_cndmask_b32_e32 v19, 0, v19, vcc_lo
	v_cmp_ne_u32_e32 vcc_lo, 0, v20
	v_add_nc_u16 v10, v10, v19
	s_delay_alu instid0(VALU_DEP_1) | instskip(SKIP_4) | instid1(VALU_DEP_2)
	v_and_b32_e32 v19, 0xff, v10
	ds_swizzle_b32 v19, v19 offset:swizzle(BROADCAST,32,15)
	s_waitcnt lgkmcnt(0)
	v_cndmask_b32_e32 v19, 0, v19, vcc_lo
	v_cmp_gt_i32_e32 vcc_lo, 0, v21
	v_add_nc_u16 v10, v10, v19
	v_cndmask_b32_e32 v18, v21, v18, vcc_lo
	v_cmp_eq_u32_e32 vcc_lo, 0, v0
	s_delay_alu instid0(VALU_DEP_3) | instskip(NEXT) | instid1(VALU_DEP_3)
	v_and_b32_e32 v10, 0xff, v10
	v_lshlrev_b32_e32 v18, 2, v18
	ds_bpermute_b32 v10, v18, v10
	s_waitcnt lgkmcnt(0)
	v_add_nc_u16 v4, v4, v10
	s_delay_alu instid0(VALU_DEP_1) | instskip(NEXT) | instid1(VALU_DEP_1)
	v_cndmask_b32_e32 v3, v4, v3, vcc_lo
	v_add_nc_u16 v4, v3, v8
	v_and_b32_e32 v3, 0xff, v3
	s_delay_alu instid0(VALU_DEP_2) | instskip(SKIP_1) | instid1(VALU_DEP_2)
	v_add_nc_u16 v8, v4, v9
	v_lshlrev_b16 v4, 8, v4
	v_add_nc_u16 v9, v8, v11
	s_delay_alu instid0(VALU_DEP_2) | instskip(SKIP_1) | instid1(VALU_DEP_3)
	v_or_b32_e32 v3, v3, v4
	v_and_b32_e32 v4, 0xff, v8
	v_add_nc_u16 v5, v9, v5
	v_lshlrev_b16 v9, 8, v9
	s_delay_alu instid0(VALU_DEP_4) | instskip(NEXT) | instid1(VALU_DEP_3)
	v_and_b32_e32 v3, 0xffff, v3
	v_add_nc_u16 v10, v5, v12
	v_and_b32_e32 v5, 0xff, v5
	s_delay_alu instid0(VALU_DEP_4) | instskip(NEXT) | instid1(VALU_DEP_3)
	v_or_b32_e32 v4, v4, v9
	v_add_nc_u16 v11, v10, v13
	v_lshlrev_b16 v10, 8, v10
	s_delay_alu instid0(VALU_DEP_3) | instskip(NEXT) | instid1(VALU_DEP_3)
	v_lshlrev_b32_e32 v4, 16, v4
	v_add_nc_u16 v12, v11, v14
	v_and_b32_e32 v11, 0xff, v11
	s_delay_alu instid0(VALU_DEP_4) | instskip(NEXT) | instid1(VALU_DEP_4)
	v_or_b32_e32 v5, v5, v10
	v_or_b32_e32 v3, v3, v4
	s_delay_alu instid0(VALU_DEP_4) | instskip(SKIP_1) | instid1(VALU_DEP_4)
	v_add_nc_u16 v6, v12, v6
	v_lshlrev_b16 v12, 8, v12
	v_and_b32_e32 v5, 0xffff, v5
	s_delay_alu instid0(VALU_DEP_3) | instskip(SKIP_1) | instid1(VALU_DEP_4)
	v_add_nc_u16 v13, v6, v15
	v_and_b32_e32 v6, 0xff, v6
	v_or_b32_e32 v9, v11, v12
	s_delay_alu instid0(VALU_DEP_3) | instskip(SKIP_1) | instid1(VALU_DEP_3)
	v_add_nc_u16 v8, v13, v16
	v_lshlrev_b16 v13, 8, v13
	v_lshlrev_b32_e32 v9, 16, v9
	s_delay_alu instid0(VALU_DEP_3) | instskip(SKIP_1) | instid1(VALU_DEP_4)
	v_add_nc_u16 v14, v8, v17
	v_and_b32_e32 v8, 0xff, v8
	v_or_b32_e32 v6, v6, v13
	s_delay_alu instid0(VALU_DEP_4) | instskip(NEXT) | instid1(VALU_DEP_4)
	v_or_b32_e32 v4, v5, v9
	v_lshlrev_b16 v14, 8, v14
	s_delay_alu instid0(VALU_DEP_3) | instskip(NEXT) | instid1(VALU_DEP_2)
	v_and_b32_e32 v6, 0xffff, v6
	v_or_b32_e32 v8, v8, v14
	s_delay_alu instid0(VALU_DEP_1) | instskip(NEXT) | instid1(VALU_DEP_1)
	v_lshlrev_b32_e32 v8, 16, v8
	v_or_b32_e32 v5, v6, v8
	ds_store_b96 v7, v[3:5]
.LBB96_2:
	s_or_b32 exec_lo, exec_lo, s2
	s_load_b32 s1, s[0:1], 0x10
	v_cmp_eq_u32_e32 vcc_lo, 0, v0
	s_mov_b32 s2, exec_lo
	s_waitcnt lgkmcnt(0)
	s_barrier
	buffer_gl0_inv
	v_mov_b32_e32 v3, s1
	v_cmpx_ne_u32_e32 0, v0
	s_cbranch_execnz .LBB96_5
; %bb.3:
	s_or_b32 exec_lo, exec_lo, s2
	global_store_b8 v[1:2], v3, off
	s_and_saveexec_b32 s0, vcc_lo
	s_cbranch_execnz .LBB96_6
.LBB96_4:
	s_nop 0
	s_sendmsg sendmsg(MSG_DEALLOC_VGPRS)
	s_endpgm
.LBB96_5:
	v_add_nc_u32_e32 v0, -1, v0
	ds_load_u8 v0, v0
	s_waitcnt lgkmcnt(0)
	v_add_nc_u16 v3, v0, s1
	s_or_b32 exec_lo, exec_lo, s2
	global_store_b8 v[1:2], v3, off
	s_and_saveexec_b32 s0, vcc_lo
	s_cbranch_execz .LBB96_4
.LBB96_6:
	v_dual_mov_b32 v0, 0 :: v_dual_mov_b32 v1, s15
	ds_load_u8 v0, v0 offset:376
	s_waitcnt lgkmcnt(0)
	global_store_b8 v1, v0, s[6:7]
	s_nop 0
	s_sendmsg sendmsg(MSG_DEALLOC_VGPRS)
	s_endpgm
	.section	.rodata,"a",@progbits
	.p2align	6, 0x0
	.amdhsa_kernel _Z28exclusive_scan_reduce_kernelILj377ELN6hipcub18BlockScanAlgorithmE1EhEvPT1_S3_S2_
		.amdhsa_group_segment_fixed_size 384
		.amdhsa_private_segment_fixed_size 0
		.amdhsa_kernarg_size 20
		.amdhsa_user_sgpr_count 15
		.amdhsa_user_sgpr_dispatch_ptr 0
		.amdhsa_user_sgpr_queue_ptr 0
		.amdhsa_user_sgpr_kernarg_segment_ptr 1
		.amdhsa_user_sgpr_dispatch_id 0
		.amdhsa_user_sgpr_private_segment_size 0
		.amdhsa_wavefront_size32 1
		.amdhsa_uses_dynamic_stack 0
		.amdhsa_enable_private_segment 0
		.amdhsa_system_sgpr_workgroup_id_x 1
		.amdhsa_system_sgpr_workgroup_id_y 0
		.amdhsa_system_sgpr_workgroup_id_z 0
		.amdhsa_system_sgpr_workgroup_info 0
		.amdhsa_system_vgpr_workitem_id 0
		.amdhsa_next_free_vgpr 22
		.amdhsa_next_free_sgpr 16
		.amdhsa_reserve_vcc 1
		.amdhsa_float_round_mode_32 0
		.amdhsa_float_round_mode_16_64 0
		.amdhsa_float_denorm_mode_32 3
		.amdhsa_float_denorm_mode_16_64 3
		.amdhsa_dx10_clamp 1
		.amdhsa_ieee_mode 1
		.amdhsa_fp16_overflow 0
		.amdhsa_workgroup_processor_mode 1
		.amdhsa_memory_ordered 1
		.amdhsa_forward_progress 0
		.amdhsa_shared_vgpr_count 0
		.amdhsa_exception_fp_ieee_invalid_op 0
		.amdhsa_exception_fp_denorm_src 0
		.amdhsa_exception_fp_ieee_div_zero 0
		.amdhsa_exception_fp_ieee_overflow 0
		.amdhsa_exception_fp_ieee_underflow 0
		.amdhsa_exception_fp_ieee_inexact 0
		.amdhsa_exception_int_div_zero 0
	.end_amdhsa_kernel
	.section	.text._Z28exclusive_scan_reduce_kernelILj377ELN6hipcub18BlockScanAlgorithmE1EhEvPT1_S3_S2_,"axG",@progbits,_Z28exclusive_scan_reduce_kernelILj377ELN6hipcub18BlockScanAlgorithmE1EhEvPT1_S3_S2_,comdat
.Lfunc_end96:
	.size	_Z28exclusive_scan_reduce_kernelILj377ELN6hipcub18BlockScanAlgorithmE1EhEvPT1_S3_S2_, .Lfunc_end96-_Z28exclusive_scan_reduce_kernelILj377ELN6hipcub18BlockScanAlgorithmE1EhEvPT1_S3_S2_
                                        ; -- End function
	.section	.AMDGPU.csdata,"",@progbits
; Kernel info:
; codeLenInByte = 1008
; NumSgprs: 18
; NumVgprs: 22
; ScratchSize: 0
; MemoryBound: 0
; FloatMode: 240
; IeeeMode: 1
; LDSByteSize: 384 bytes/workgroup (compile time only)
; SGPRBlocks: 2
; VGPRBlocks: 2
; NumSGPRsForWavesPerEU: 18
; NumVGPRsForWavesPerEU: 22
; Occupancy: 15
; WaveLimiterHint : 0
; COMPUTE_PGM_RSRC2:SCRATCH_EN: 0
; COMPUTE_PGM_RSRC2:USER_SGPR: 15
; COMPUTE_PGM_RSRC2:TRAP_HANDLER: 0
; COMPUTE_PGM_RSRC2:TGID_X_EN: 1
; COMPUTE_PGM_RSRC2:TGID_Y_EN: 0
; COMPUTE_PGM_RSRC2:TGID_Z_EN: 0
; COMPUTE_PGM_RSRC2:TIDIG_COMP_CNT: 0
	.section	.text._Z28exclusive_scan_reduce_kernelILj377ELN6hipcub18BlockScanAlgorithmE1EiEvPT1_S3_S2_,"axG",@progbits,_Z28exclusive_scan_reduce_kernelILj377ELN6hipcub18BlockScanAlgorithmE1EiEvPT1_S3_S2_,comdat
	.protected	_Z28exclusive_scan_reduce_kernelILj377ELN6hipcub18BlockScanAlgorithmE1EiEvPT1_S3_S2_ ; -- Begin function _Z28exclusive_scan_reduce_kernelILj377ELN6hipcub18BlockScanAlgorithmE1EiEvPT1_S3_S2_
	.globl	_Z28exclusive_scan_reduce_kernelILj377ELN6hipcub18BlockScanAlgorithmE1EiEvPT1_S3_S2_
	.p2align	8
	.type	_Z28exclusive_scan_reduce_kernelILj377ELN6hipcub18BlockScanAlgorithmE1EiEvPT1_S3_S2_,@function
_Z28exclusive_scan_reduce_kernelILj377ELN6hipcub18BlockScanAlgorithmE1EiEvPT1_S3_S2_: ; @_Z28exclusive_scan_reduce_kernelILj377ELN6hipcub18BlockScanAlgorithmE1EiEvPT1_S3_S2_
; %bb.0:
	s_load_b128 s[4:7], s[0:1], 0x0
	s_mov_b32 s2, s15
	s_mov_b32 s3, exec_lo
	v_mad_u64_u32 v[1:2], null, 0x179, s2, v[0:1]
	v_dual_mov_b32 v2, 0 :: v_dual_lshlrev_b32 v3, 2, v0
	s_delay_alu instid0(VALU_DEP_1) | instskip(SKIP_1) | instid1(VALU_DEP_1)
	v_lshlrev_b64 v[1:2], 2, v[1:2]
	s_waitcnt lgkmcnt(0)
	v_add_co_u32 v1, vcc_lo, s4, v1
	s_delay_alu instid0(VALU_DEP_2)
	v_add_co_ci_u32_e32 v2, vcc_lo, s5, v2, vcc_lo
	global_load_b32 v4, v[1:2], off
	s_waitcnt vmcnt(0)
	ds_store_b32 v3, v4
	s_waitcnt lgkmcnt(0)
	s_barrier
	buffer_gl0_inv
	v_cmpx_gt_u32_e32 32, v0
	s_cbranch_execz .LBB97_2
; %bb.1:
	v_mul_u32_u24_e32 v5, 12, v0
	v_mbcnt_lo_u32_b32 v19, -1, 0
	s_delay_alu instid0(VALU_DEP_2) | instskip(NEXT) | instid1(VALU_DEP_2)
	v_lshlrev_b32_e32 v17, 2, v5
	v_bfe_i32 v22, v19, 4, 1
	ds_load_2addr_b32 v[5:6], v17 offset1:1
	ds_load_2addr_b32 v[7:8], v17 offset0:2 offset1:3
	ds_load_2addr_b32 v[9:10], v17 offset0:4 offset1:5
	ds_load_2addr_b32 v[11:12], v17 offset0:6 offset1:7
	ds_load_2addr_b32 v[13:14], v17 offset0:8 offset1:9
	ds_load_2addr_b32 v[15:16], v17 offset0:10 offset1:11
	s_waitcnt lgkmcnt(5)
	v_add_nc_u32_e32 v18, v6, v5
	s_waitcnt lgkmcnt(4)
	s_delay_alu instid0(VALU_DEP_1) | instskip(SKIP_1) | instid1(VALU_DEP_1)
	v_add3_u32 v18, v18, v7, v8
	s_waitcnt lgkmcnt(3)
	v_add3_u32 v18, v18, v9, v10
	s_waitcnt lgkmcnt(2)
	s_delay_alu instid0(VALU_DEP_1) | instskip(SKIP_1) | instid1(VALU_DEP_1)
	v_add3_u32 v18, v18, v11, v12
	s_waitcnt lgkmcnt(1)
	v_add3_u32 v18, v18, v13, v14
	s_waitcnt lgkmcnt(0)
	s_delay_alu instid0(VALU_DEP_1) | instskip(NEXT) | instid1(VALU_DEP_1)
	v_add3_u32 v18, v18, v15, v16
	v_mov_b32_dpp v21, v18 row_shr:1 row_mask:0xf bank_mask:0xf
	v_and_b32_e32 v20, 15, v19
	s_delay_alu instid0(VALU_DEP_1) | instskip(NEXT) | instid1(VALU_DEP_3)
	v_cmp_ne_u32_e32 vcc_lo, 0, v20
	v_cndmask_b32_e32 v21, 0, v21, vcc_lo
	v_cmp_lt_u32_e32 vcc_lo, 1, v20
	s_delay_alu instid0(VALU_DEP_2) | instskip(NEXT) | instid1(VALU_DEP_1)
	v_add_nc_u32_e32 v18, v21, v18
	v_mov_b32_dpp v21, v18 row_shr:2 row_mask:0xf bank_mask:0xf
	s_delay_alu instid0(VALU_DEP_1) | instskip(SKIP_1) | instid1(VALU_DEP_2)
	v_cndmask_b32_e32 v21, 0, v21, vcc_lo
	v_cmp_lt_u32_e32 vcc_lo, 3, v20
	v_add_nc_u32_e32 v18, v18, v21
	s_delay_alu instid0(VALU_DEP_1) | instskip(NEXT) | instid1(VALU_DEP_1)
	v_mov_b32_dpp v21, v18 row_shr:4 row_mask:0xf bank_mask:0xf
	v_cndmask_b32_e32 v21, 0, v21, vcc_lo
	v_cmp_lt_u32_e32 vcc_lo, 7, v20
	s_delay_alu instid0(VALU_DEP_2) | instskip(NEXT) | instid1(VALU_DEP_1)
	v_add_nc_u32_e32 v18, v18, v21
	v_mov_b32_dpp v21, v18 row_shr:8 row_mask:0xf bank_mask:0xf
	s_delay_alu instid0(VALU_DEP_1) | instskip(NEXT) | instid1(VALU_DEP_1)
	v_dual_cndmask_b32 v20, 0, v21 :: v_dual_add_nc_u32 v21, -1, v19
	v_add_nc_u32_e32 v18, v18, v20
	s_delay_alu instid0(VALU_DEP_2) | instskip(SKIP_3) | instid1(VALU_DEP_2)
	v_cmp_gt_i32_e32 vcc_lo, 0, v21
	ds_swizzle_b32 v20, v18 offset:swizzle(BROADCAST,32,15)
	v_cndmask_b32_e32 v19, v21, v19, vcc_lo
	v_cmp_eq_u32_e32 vcc_lo, 0, v0
	v_lshlrev_b32_e32 v19, 2, v19
	s_waitcnt lgkmcnt(0)
	v_and_b32_e32 v20, v22, v20
	s_delay_alu instid0(VALU_DEP_1) | instskip(SKIP_3) | instid1(VALU_DEP_1)
	v_add_nc_u32_e32 v18, v18, v20
	ds_bpermute_b32 v18, v19, v18
	s_waitcnt lgkmcnt(0)
	v_add_nc_u32_e32 v5, v18, v5
	v_cndmask_b32_e32 v4, v5, v4, vcc_lo
	s_delay_alu instid0(VALU_DEP_1) | instskip(NEXT) | instid1(VALU_DEP_1)
	v_add_nc_u32_e32 v5, v4, v6
	v_add_nc_u32_e32 v6, v5, v7
	s_delay_alu instid0(VALU_DEP_1) | instskip(NEXT) | instid1(VALU_DEP_1)
	v_add_nc_u32_e32 v7, v6, v8
	v_add_nc_u32_e32 v8, v7, v9
	;; [unrolled: 3-line block ×5, first 2 shown]
	s_delay_alu instid0(VALU_DEP_1)
	v_add_nc_u32_e32 v15, v14, v16
	ds_store_2addr_b32 v17, v4, v5 offset1:1
	ds_store_2addr_b32 v17, v6, v7 offset0:2 offset1:3
	ds_store_2addr_b32 v17, v8, v9 offset0:4 offset1:5
	;; [unrolled: 1-line block ×5, first 2 shown]
.LBB97_2:
	s_or_b32 exec_lo, exec_lo, s3
	s_load_b32 s1, s[0:1], 0x10
	v_cmp_eq_u32_e32 vcc_lo, 0, v0
	v_cmp_ne_u32_e64 s0, 0, v0
	s_waitcnt lgkmcnt(0)
	s_barrier
	buffer_gl0_inv
	v_mov_b32_e32 v0, s1
	s_and_saveexec_b32 s3, s0
	s_cbranch_execnz .LBB97_5
; %bb.3:
	s_or_b32 exec_lo, exec_lo, s3
	global_store_b32 v[1:2], v0, off
	s_and_saveexec_b32 s0, vcc_lo
	s_cbranch_execnz .LBB97_6
.LBB97_4:
	s_nop 0
	s_sendmsg sendmsg(MSG_DEALLOC_VGPRS)
	s_endpgm
.LBB97_5:
	v_add_nc_u32_e32 v0, -4, v3
	ds_load_b32 v0, v0
	s_waitcnt lgkmcnt(0)
	v_add_nc_u32_e32 v0, s1, v0
	s_or_b32 exec_lo, exec_lo, s3
	global_store_b32 v[1:2], v0, off
	s_and_saveexec_b32 s0, vcc_lo
	s_cbranch_execz .LBB97_4
.LBB97_6:
	v_mov_b32_e32 v0, 0
	s_mov_b32 s3, 0
	s_delay_alu instid0(SALU_CYCLE_1) | instskip(NEXT) | instid1(SALU_CYCLE_1)
	s_lshl_b64 s[0:1], s[2:3], 2
	s_add_u32 s0, s6, s0
	ds_load_b32 v1, v0 offset:1504
	s_addc_u32 s1, s7, s1
	s_waitcnt lgkmcnt(0)
	global_store_b32 v0, v1, s[0:1]
	s_nop 0
	s_sendmsg sendmsg(MSG_DEALLOC_VGPRS)
	s_endpgm
	.section	.rodata,"a",@progbits
	.p2align	6, 0x0
	.amdhsa_kernel _Z28exclusive_scan_reduce_kernelILj377ELN6hipcub18BlockScanAlgorithmE1EiEvPT1_S3_S2_
		.amdhsa_group_segment_fixed_size 1536
		.amdhsa_private_segment_fixed_size 0
		.amdhsa_kernarg_size 20
		.amdhsa_user_sgpr_count 15
		.amdhsa_user_sgpr_dispatch_ptr 0
		.amdhsa_user_sgpr_queue_ptr 0
		.amdhsa_user_sgpr_kernarg_segment_ptr 1
		.amdhsa_user_sgpr_dispatch_id 0
		.amdhsa_user_sgpr_private_segment_size 0
		.amdhsa_wavefront_size32 1
		.amdhsa_uses_dynamic_stack 0
		.amdhsa_enable_private_segment 0
		.amdhsa_system_sgpr_workgroup_id_x 1
		.amdhsa_system_sgpr_workgroup_id_y 0
		.amdhsa_system_sgpr_workgroup_id_z 0
		.amdhsa_system_sgpr_workgroup_info 0
		.amdhsa_system_vgpr_workitem_id 0
		.amdhsa_next_free_vgpr 23
		.amdhsa_next_free_sgpr 16
		.amdhsa_reserve_vcc 1
		.amdhsa_float_round_mode_32 0
		.amdhsa_float_round_mode_16_64 0
		.amdhsa_float_denorm_mode_32 3
		.amdhsa_float_denorm_mode_16_64 3
		.amdhsa_dx10_clamp 1
		.amdhsa_ieee_mode 1
		.amdhsa_fp16_overflow 0
		.amdhsa_workgroup_processor_mode 1
		.amdhsa_memory_ordered 1
		.amdhsa_forward_progress 0
		.amdhsa_shared_vgpr_count 0
		.amdhsa_exception_fp_ieee_invalid_op 0
		.amdhsa_exception_fp_denorm_src 0
		.amdhsa_exception_fp_ieee_div_zero 0
		.amdhsa_exception_fp_ieee_overflow 0
		.amdhsa_exception_fp_ieee_underflow 0
		.amdhsa_exception_fp_ieee_inexact 0
		.amdhsa_exception_int_div_zero 0
	.end_amdhsa_kernel
	.section	.text._Z28exclusive_scan_reduce_kernelILj377ELN6hipcub18BlockScanAlgorithmE1EiEvPT1_S3_S2_,"axG",@progbits,_Z28exclusive_scan_reduce_kernelILj377ELN6hipcub18BlockScanAlgorithmE1EiEvPT1_S3_S2_,comdat
.Lfunc_end97:
	.size	_Z28exclusive_scan_reduce_kernelILj377ELN6hipcub18BlockScanAlgorithmE1EiEvPT1_S3_S2_, .Lfunc_end97-_Z28exclusive_scan_reduce_kernelILj377ELN6hipcub18BlockScanAlgorithmE1EiEvPT1_S3_S2_
                                        ; -- End function
	.section	.AMDGPU.csdata,"",@progbits
; Kernel info:
; codeLenInByte = 740
; NumSgprs: 18
; NumVgprs: 23
; ScratchSize: 0
; MemoryBound: 0
; FloatMode: 240
; IeeeMode: 1
; LDSByteSize: 1536 bytes/workgroup (compile time only)
; SGPRBlocks: 2
; VGPRBlocks: 2
; NumSGPRsForWavesPerEU: 18
; NumVGPRsForWavesPerEU: 23
; Occupancy: 15
; WaveLimiterHint : 0
; COMPUTE_PGM_RSRC2:SCRATCH_EN: 0
; COMPUTE_PGM_RSRC2:USER_SGPR: 15
; COMPUTE_PGM_RSRC2:TRAP_HANDLER: 0
; COMPUTE_PGM_RSRC2:TGID_X_EN: 1
; COMPUTE_PGM_RSRC2:TGID_Y_EN: 0
; COMPUTE_PGM_RSRC2:TGID_Z_EN: 0
; COMPUTE_PGM_RSRC2:TIDIG_COMP_CNT: 0
	.section	.text._Z28exclusive_scan_reduce_kernelILj255ELN6hipcub18BlockScanAlgorithmE1EjEvPT1_S3_S2_,"axG",@progbits,_Z28exclusive_scan_reduce_kernelILj255ELN6hipcub18BlockScanAlgorithmE1EjEvPT1_S3_S2_,comdat
	.protected	_Z28exclusive_scan_reduce_kernelILj255ELN6hipcub18BlockScanAlgorithmE1EjEvPT1_S3_S2_ ; -- Begin function _Z28exclusive_scan_reduce_kernelILj255ELN6hipcub18BlockScanAlgorithmE1EjEvPT1_S3_S2_
	.globl	_Z28exclusive_scan_reduce_kernelILj255ELN6hipcub18BlockScanAlgorithmE1EjEvPT1_S3_S2_
	.p2align	8
	.type	_Z28exclusive_scan_reduce_kernelILj255ELN6hipcub18BlockScanAlgorithmE1EjEvPT1_S3_S2_,@function
_Z28exclusive_scan_reduce_kernelILj255ELN6hipcub18BlockScanAlgorithmE1EjEvPT1_S3_S2_: ; @_Z28exclusive_scan_reduce_kernelILj255ELN6hipcub18BlockScanAlgorithmE1EjEvPT1_S3_S2_
; %bb.0:
	s_load_b128 s[4:7], s[0:1], 0x0
	s_mov_b32 s2, s15
	v_lshrrev_b32_e32 v4, 5, v0
	v_mad_u64_u32 v[1:2], null, 0xff, s2, v[0:1]
	v_mov_b32_e32 v2, 0
	s_mov_b32 s3, exec_lo
	s_delay_alu instid0(VALU_DEP_3) | instskip(NEXT) | instid1(VALU_DEP_2)
	v_add_lshl_u32 v4, v4, v0, 2
	v_lshlrev_b64 v[1:2], 2, v[1:2]
	s_waitcnt lgkmcnt(0)
	s_delay_alu instid0(VALU_DEP_1) | instskip(NEXT) | instid1(VALU_DEP_2)
	v_add_co_u32 v1, vcc_lo, s4, v1
	v_add_co_ci_u32_e32 v2, vcc_lo, s5, v2, vcc_lo
	global_load_b32 v3, v[1:2], off
	s_waitcnt vmcnt(0)
	ds_store_b32 v4, v3
	s_waitcnt lgkmcnt(0)
	s_barrier
	buffer_gl0_inv
	v_cmpx_gt_u32_e32 32, v0
	s_cbranch_execz .LBB98_2
; %bb.1:
	v_and_b32_e32 v4, 0xfc, v0
	v_mbcnt_lo_u32_b32 v14, -1, 0
	s_delay_alu instid0(VALU_DEP_2) | instskip(NEXT) | instid1(VALU_DEP_2)
	v_lshl_or_b32 v12, v0, 5, v4
	v_add_nc_u32_e32 v17, -1, v14
	ds_load_2addr_b32 v[4:5], v12 offset1:1
	ds_load_2addr_b32 v[6:7], v12 offset0:2 offset1:3
	ds_load_2addr_b32 v[8:9], v12 offset0:4 offset1:5
	;; [unrolled: 1-line block ×3, first 2 shown]
	s_waitcnt lgkmcnt(3)
	v_add_nc_u32_e32 v13, v5, v4
	s_waitcnt lgkmcnt(2)
	s_delay_alu instid0(VALU_DEP_1) | instskip(SKIP_1) | instid1(VALU_DEP_1)
	v_add3_u32 v13, v13, v6, v7
	s_waitcnt lgkmcnt(1)
	v_add3_u32 v13, v13, v8, v9
	s_waitcnt lgkmcnt(0)
	s_delay_alu instid0(VALU_DEP_1) | instskip(NEXT) | instid1(VALU_DEP_1)
	v_add3_u32 v13, v13, v10, v11
	v_mov_b32_dpp v16, v13 row_shr:1 row_mask:0xf bank_mask:0xf
	v_and_b32_e32 v15, 15, v14
	s_delay_alu instid0(VALU_DEP_1) | instskip(NEXT) | instid1(VALU_DEP_3)
	v_cmp_ne_u32_e32 vcc_lo, 0, v15
	v_cndmask_b32_e32 v16, 0, v16, vcc_lo
	v_cmp_lt_u32_e32 vcc_lo, 1, v15
	s_delay_alu instid0(VALU_DEP_2) | instskip(NEXT) | instid1(VALU_DEP_1)
	v_add_nc_u32_e32 v13, v16, v13
	v_mov_b32_dpp v16, v13 row_shr:2 row_mask:0xf bank_mask:0xf
	s_delay_alu instid0(VALU_DEP_1) | instskip(SKIP_1) | instid1(VALU_DEP_2)
	v_cndmask_b32_e32 v16, 0, v16, vcc_lo
	v_cmp_lt_u32_e32 vcc_lo, 3, v15
	v_add_nc_u32_e32 v13, v13, v16
	s_delay_alu instid0(VALU_DEP_1) | instskip(NEXT) | instid1(VALU_DEP_1)
	v_mov_b32_dpp v16, v13 row_shr:4 row_mask:0xf bank_mask:0xf
	v_cndmask_b32_e32 v16, 0, v16, vcc_lo
	v_cmp_lt_u32_e32 vcc_lo, 7, v15
	s_delay_alu instid0(VALU_DEP_2) | instskip(NEXT) | instid1(VALU_DEP_1)
	v_add_nc_u32_e32 v13, v13, v16
	v_mov_b32_dpp v16, v13 row_shr:8 row_mask:0xf bank_mask:0xf
	s_delay_alu instid0(VALU_DEP_1) | instskip(SKIP_3) | instid1(VALU_DEP_4)
	v_cndmask_b32_e32 v15, 0, v16, vcc_lo
	v_cmp_gt_i32_e32 vcc_lo, 0, v17
	v_bfe_i32 v16, v14, 4, 1
	v_cndmask_b32_e32 v14, v17, v14, vcc_lo
	v_add_nc_u32_e32 v13, v13, v15
	v_cmp_eq_u32_e32 vcc_lo, 0, v0
	s_delay_alu instid0(VALU_DEP_3) | instskip(SKIP_3) | instid1(VALU_DEP_1)
	v_lshlrev_b32_e32 v14, 2, v14
	ds_swizzle_b32 v15, v13 offset:swizzle(BROADCAST,32,15)
	s_waitcnt lgkmcnt(0)
	v_and_b32_e32 v15, v16, v15
	v_add_nc_u32_e32 v13, v13, v15
	ds_bpermute_b32 v13, v14, v13
	s_waitcnt lgkmcnt(0)
	v_add_nc_u32_e32 v4, v13, v4
	s_delay_alu instid0(VALU_DEP_1) | instskip(NEXT) | instid1(VALU_DEP_1)
	v_cndmask_b32_e32 v3, v4, v3, vcc_lo
	v_add_nc_u32_e32 v4, v3, v5
	s_delay_alu instid0(VALU_DEP_1) | instskip(NEXT) | instid1(VALU_DEP_1)
	v_add_nc_u32_e32 v5, v4, v6
	v_add_nc_u32_e32 v6, v5, v7
	s_delay_alu instid0(VALU_DEP_1) | instskip(NEXT) | instid1(VALU_DEP_1)
	v_add_nc_u32_e32 v7, v6, v8
	;; [unrolled: 3-line block ×3, first 2 shown]
	v_add_nc_u32_e32 v10, v9, v11
	ds_store_2addr_b32 v12, v3, v4 offset1:1
	ds_store_2addr_b32 v12, v5, v6 offset0:2 offset1:3
	ds_store_2addr_b32 v12, v7, v8 offset0:4 offset1:5
	;; [unrolled: 1-line block ×3, first 2 shown]
.LBB98_2:
	s_or_b32 exec_lo, exec_lo, s3
	s_load_b32 s1, s[0:1], 0x10
	v_cmp_eq_u32_e32 vcc_lo, 0, v0
	s_mov_b32 s3, exec_lo
	s_waitcnt lgkmcnt(0)
	s_barrier
	buffer_gl0_inv
	v_mov_b32_e32 v3, s1
	v_cmpx_ne_u32_e32 0, v0
	s_cbranch_execnz .LBB98_5
; %bb.3:
	s_or_b32 exec_lo, exec_lo, s3
	global_store_b32 v[1:2], v3, off
	s_and_saveexec_b32 s0, vcc_lo
	s_cbranch_execnz .LBB98_6
.LBB98_4:
	s_nop 0
	s_sendmsg sendmsg(MSG_DEALLOC_VGPRS)
	s_endpgm
.LBB98_5:
	v_add_nc_u32_e32 v0, -1, v0
	s_delay_alu instid0(VALU_DEP_1) | instskip(NEXT) | instid1(VALU_DEP_1)
	v_lshrrev_b32_e32 v3, 5, v0
	v_add_lshl_u32 v0, v3, v0, 2
	ds_load_b32 v0, v0
	s_waitcnt lgkmcnt(0)
	v_add_nc_u32_e32 v3, s1, v0
	s_or_b32 exec_lo, exec_lo, s3
	global_store_b32 v[1:2], v3, off
	s_and_saveexec_b32 s0, vcc_lo
	s_cbranch_execz .LBB98_4
.LBB98_6:
	v_mov_b32_e32 v0, 0
	s_mov_b32 s3, 0
	s_delay_alu instid0(SALU_CYCLE_1) | instskip(NEXT) | instid1(SALU_CYCLE_1)
	s_lshl_b64 s[0:1], s[2:3], 2
	s_add_u32 s0, s6, s0
	ds_load_b32 v1, v0 offset:1044
	s_addc_u32 s1, s7, s1
	s_waitcnt lgkmcnt(0)
	global_store_b32 v0, v1, s[0:1]
	s_nop 0
	s_sendmsg sendmsg(MSG_DEALLOC_VGPRS)
	s_endpgm
	.section	.rodata,"a",@progbits
	.p2align	6, 0x0
	.amdhsa_kernel _Z28exclusive_scan_reduce_kernelILj255ELN6hipcub18BlockScanAlgorithmE1EjEvPT1_S3_S2_
		.amdhsa_group_segment_fixed_size 1056
		.amdhsa_private_segment_fixed_size 0
		.amdhsa_kernarg_size 20
		.amdhsa_user_sgpr_count 15
		.amdhsa_user_sgpr_dispatch_ptr 0
		.amdhsa_user_sgpr_queue_ptr 0
		.amdhsa_user_sgpr_kernarg_segment_ptr 1
		.amdhsa_user_sgpr_dispatch_id 0
		.amdhsa_user_sgpr_private_segment_size 0
		.amdhsa_wavefront_size32 1
		.amdhsa_uses_dynamic_stack 0
		.amdhsa_enable_private_segment 0
		.amdhsa_system_sgpr_workgroup_id_x 1
		.amdhsa_system_sgpr_workgroup_id_y 0
		.amdhsa_system_sgpr_workgroup_id_z 0
		.amdhsa_system_sgpr_workgroup_info 0
		.amdhsa_system_vgpr_workitem_id 0
		.amdhsa_next_free_vgpr 18
		.amdhsa_next_free_sgpr 16
		.amdhsa_reserve_vcc 1
		.amdhsa_float_round_mode_32 0
		.amdhsa_float_round_mode_16_64 0
		.amdhsa_float_denorm_mode_32 3
		.amdhsa_float_denorm_mode_16_64 3
		.amdhsa_dx10_clamp 1
		.amdhsa_ieee_mode 1
		.amdhsa_fp16_overflow 0
		.amdhsa_workgroup_processor_mode 1
		.amdhsa_memory_ordered 1
		.amdhsa_forward_progress 0
		.amdhsa_shared_vgpr_count 0
		.amdhsa_exception_fp_ieee_invalid_op 0
		.amdhsa_exception_fp_denorm_src 0
		.amdhsa_exception_fp_ieee_div_zero 0
		.amdhsa_exception_fp_ieee_overflow 0
		.amdhsa_exception_fp_ieee_underflow 0
		.amdhsa_exception_fp_ieee_inexact 0
		.amdhsa_exception_int_div_zero 0
	.end_amdhsa_kernel
	.section	.text._Z28exclusive_scan_reduce_kernelILj255ELN6hipcub18BlockScanAlgorithmE1EjEvPT1_S3_S2_,"axG",@progbits,_Z28exclusive_scan_reduce_kernelILj255ELN6hipcub18BlockScanAlgorithmE1EjEvPT1_S3_S2_,comdat
.Lfunc_end98:
	.size	_Z28exclusive_scan_reduce_kernelILj255ELN6hipcub18BlockScanAlgorithmE1EjEvPT1_S3_S2_, .Lfunc_end98-_Z28exclusive_scan_reduce_kernelILj255ELN6hipcub18BlockScanAlgorithmE1EjEvPT1_S3_S2_
                                        ; -- End function
	.section	.AMDGPU.csdata,"",@progbits
; Kernel info:
; codeLenInByte = 680
; NumSgprs: 18
; NumVgprs: 18
; ScratchSize: 0
; MemoryBound: 0
; FloatMode: 240
; IeeeMode: 1
; LDSByteSize: 1056 bytes/workgroup (compile time only)
; SGPRBlocks: 2
; VGPRBlocks: 2
; NumSGPRsForWavesPerEU: 18
; NumVGPRsForWavesPerEU: 18
; Occupancy: 16
; WaveLimiterHint : 0
; COMPUTE_PGM_RSRC2:SCRATCH_EN: 0
; COMPUTE_PGM_RSRC2:USER_SGPR: 15
; COMPUTE_PGM_RSRC2:TRAP_HANDLER: 0
; COMPUTE_PGM_RSRC2:TGID_X_EN: 1
; COMPUTE_PGM_RSRC2:TGID_Y_EN: 0
; COMPUTE_PGM_RSRC2:TGID_Z_EN: 0
; COMPUTE_PGM_RSRC2:TIDIG_COMP_CNT: 0
	.section	.text._Z28exclusive_scan_reduce_kernelILj162ELN6hipcub18BlockScanAlgorithmE1EsEvPT1_S3_S2_,"axG",@progbits,_Z28exclusive_scan_reduce_kernelILj162ELN6hipcub18BlockScanAlgorithmE1EsEvPT1_S3_S2_,comdat
	.protected	_Z28exclusive_scan_reduce_kernelILj162ELN6hipcub18BlockScanAlgorithmE1EsEvPT1_S3_S2_ ; -- Begin function _Z28exclusive_scan_reduce_kernelILj162ELN6hipcub18BlockScanAlgorithmE1EsEvPT1_S3_S2_
	.globl	_Z28exclusive_scan_reduce_kernelILj162ELN6hipcub18BlockScanAlgorithmE1EsEvPT1_S3_S2_
	.p2align	8
	.type	_Z28exclusive_scan_reduce_kernelILj162ELN6hipcub18BlockScanAlgorithmE1EsEvPT1_S3_S2_,@function
_Z28exclusive_scan_reduce_kernelILj162ELN6hipcub18BlockScanAlgorithmE1EsEvPT1_S3_S2_: ; @_Z28exclusive_scan_reduce_kernelILj162ELN6hipcub18BlockScanAlgorithmE1EsEvPT1_S3_S2_
; %bb.0:
	s_load_b128 s[4:7], s[0:1], 0x0
	s_mov_b32 s2, s15
	s_mov_b32 s3, exec_lo
	v_mad_u64_u32 v[1:2], null, 0xa2, s2, v[0:1]
	v_dual_mov_b32 v2, 0 :: v_dual_lshlrev_b32 v3, 1, v0
	s_delay_alu instid0(VALU_DEP_1) | instskip(SKIP_1) | instid1(VALU_DEP_1)
	v_lshlrev_b64 v[1:2], 1, v[1:2]
	s_waitcnt lgkmcnt(0)
	v_add_co_u32 v1, vcc_lo, s4, v1
	s_delay_alu instid0(VALU_DEP_2)
	v_add_co_ci_u32_e32 v2, vcc_lo, s5, v2, vcc_lo
	global_load_u16 v4, v[1:2], off
	s_waitcnt vmcnt(0)
	ds_store_b16 v3, v4
	s_waitcnt lgkmcnt(0)
	s_barrier
	buffer_gl0_inv
	v_cmpx_gt_u32_e32 32, v0
	s_cbranch_execz .LBB99_2
; %bb.1:
	v_mul_u32_u24_e32 v5, 6, v0
	v_mbcnt_lo_u32_b32 v13, -1, 0
	s_delay_alu instid0(VALU_DEP_2)
	v_lshlrev_b32_e32 v8, 1, v5
	ds_load_b96 v[5:7], v8
	s_waitcnt lgkmcnt(0)
	v_lshrrev_b32_e32 v9, 16, v5
	v_lshrrev_b32_e32 v11, 16, v6
	;; [unrolled: 1-line block ×3, first 2 shown]
	s_delay_alu instid0(VALU_DEP_3) | instskip(NEXT) | instid1(VALU_DEP_1)
	v_add_nc_u16 v10, v9, v5
	v_add_nc_u16 v10, v10, v6
	s_delay_alu instid0(VALU_DEP_1) | instskip(NEXT) | instid1(VALU_DEP_1)
	v_add_nc_u16 v10, v10, v11
	v_add_nc_u16 v10, v10, v7
	s_delay_alu instid0(VALU_DEP_1) | instskip(NEXT) | instid1(VALU_DEP_1)
	v_add_nc_u16 v10, v10, v12
	v_and_b32_e32 v14, 0xffff, v10
	s_delay_alu instid0(VALU_DEP_1) | instskip(SKIP_1) | instid1(VALU_DEP_1)
	v_mov_b32_dpp v14, v14 row_shr:1 row_mask:0xf bank_mask:0xf
	v_and_b32_e32 v15, 15, v13
	v_cmp_ne_u32_e32 vcc_lo, 0, v15
	s_delay_alu instid0(VALU_DEP_3) | instskip(SKIP_1) | instid1(VALU_DEP_2)
	v_cndmask_b32_e32 v14, 0, v14, vcc_lo
	v_cmp_lt_u32_e32 vcc_lo, 1, v15
	v_add_nc_u16 v10, v14, v10
	s_delay_alu instid0(VALU_DEP_1) | instskip(NEXT) | instid1(VALU_DEP_1)
	v_and_b32_e32 v14, 0xffff, v10
	v_mov_b32_dpp v14, v14 row_shr:2 row_mask:0xf bank_mask:0xf
	s_delay_alu instid0(VALU_DEP_1) | instskip(SKIP_1) | instid1(VALU_DEP_2)
	v_cndmask_b32_e32 v14, 0, v14, vcc_lo
	v_cmp_lt_u32_e32 vcc_lo, 3, v15
	v_add_nc_u16 v10, v10, v14
	s_delay_alu instid0(VALU_DEP_1) | instskip(NEXT) | instid1(VALU_DEP_1)
	v_and_b32_e32 v14, 0xffff, v10
	v_mov_b32_dpp v14, v14 row_shr:4 row_mask:0xf bank_mask:0xf
	s_delay_alu instid0(VALU_DEP_1) | instskip(SKIP_2) | instid1(VALU_DEP_3)
	v_cndmask_b32_e32 v14, 0, v14, vcc_lo
	v_cmp_lt_u32_e32 vcc_lo, 7, v15
	v_and_b32_e32 v15, 16, v13
	v_add_nc_u16 v10, v10, v14
	s_delay_alu instid0(VALU_DEP_1) | instskip(NEXT) | instid1(VALU_DEP_1)
	v_and_b32_e32 v14, 0xffff, v10
	v_mov_b32_dpp v14, v14 row_shr:8 row_mask:0xf bank_mask:0xf
	s_delay_alu instid0(VALU_DEP_1) | instskip(SKIP_2) | instid1(VALU_DEP_3)
	v_cndmask_b32_e32 v14, 0, v14, vcc_lo
	v_cmp_ne_u32_e32 vcc_lo, 0, v15
	v_add_nc_u32_e32 v15, -1, v13
	v_add_nc_u16 v10, v10, v14
	s_delay_alu instid0(VALU_DEP_1) | instskip(SKIP_4) | instid1(VALU_DEP_2)
	v_and_b32_e32 v14, 0xffff, v10
	ds_swizzle_b32 v14, v14 offset:swizzle(BROADCAST,32,15)
	s_waitcnt lgkmcnt(0)
	v_cndmask_b32_e32 v14, 0, v14, vcc_lo
	v_cmp_gt_i32_e32 vcc_lo, 0, v15
	v_add_nc_u16 v10, v10, v14
	v_cndmask_b32_e32 v13, v15, v13, vcc_lo
	v_cmp_eq_u32_e32 vcc_lo, 0, v0
	s_delay_alu instid0(VALU_DEP_3) | instskip(NEXT) | instid1(VALU_DEP_3)
	v_and_b32_e32 v10, 0xffff, v10
	v_lshlrev_b32_e32 v13, 2, v13
	ds_bpermute_b32 v10, v13, v10
	s_waitcnt lgkmcnt(0)
	v_add_nc_u16 v5, v5, v10
	s_delay_alu instid0(VALU_DEP_1) | instskip(NEXT) | instid1(VALU_DEP_1)
	v_cndmask_b32_e32 v4, v5, v4, vcc_lo
	v_add_nc_u16 v5, v4, v9
	s_delay_alu instid0(VALU_DEP_1) | instskip(SKIP_1) | instid1(VALU_DEP_2)
	v_add_nc_u16 v6, v5, v6
	v_perm_b32 v4, v5, v4, 0x5040100
	v_add_nc_u16 v9, v6, v11
	s_delay_alu instid0(VALU_DEP_1) | instskip(SKIP_1) | instid1(VALU_DEP_2)
	v_add_nc_u16 v7, v9, v7
	v_perm_b32 v5, v9, v6, 0x5040100
	v_add_nc_u16 v10, v7, v12
	s_delay_alu instid0(VALU_DEP_1)
	v_perm_b32 v6, v10, v7, 0x5040100
	ds_store_b96 v8, v[4:6]
.LBB99_2:
	s_or_b32 exec_lo, exec_lo, s3
	s_load_b32 s1, s[0:1], 0x10
	v_cmp_eq_u32_e32 vcc_lo, 0, v0
	v_cmp_ne_u32_e64 s0, 0, v0
	s_waitcnt lgkmcnt(0)
	s_barrier
	buffer_gl0_inv
	v_mov_b32_e32 v0, s1
	s_and_saveexec_b32 s3, s0
	s_cbranch_execnz .LBB99_5
; %bb.3:
	s_or_b32 exec_lo, exec_lo, s3
	global_store_b16 v[1:2], v0, off
	s_and_saveexec_b32 s0, vcc_lo
	s_cbranch_execnz .LBB99_6
.LBB99_4:
	s_nop 0
	s_sendmsg sendmsg(MSG_DEALLOC_VGPRS)
	s_endpgm
.LBB99_5:
	v_add_nc_u32_e32 v0, -2, v3
	ds_load_u16 v0, v0
	s_waitcnt lgkmcnt(0)
	v_add_nc_u16 v0, v0, s1
	s_or_b32 exec_lo, exec_lo, s3
	global_store_b16 v[1:2], v0, off
	s_and_saveexec_b32 s0, vcc_lo
	s_cbranch_execz .LBB99_4
.LBB99_6:
	v_mov_b32_e32 v0, 0
	s_mov_b32 s3, 0
	s_delay_alu instid0(SALU_CYCLE_1) | instskip(NEXT) | instid1(SALU_CYCLE_1)
	s_lshl_b64 s[0:1], s[2:3], 1
	s_add_u32 s0, s6, s0
	ds_load_u16 v1, v0 offset:322
	s_addc_u32 s1, s7, s1
	s_waitcnt lgkmcnt(0)
	global_store_b16 v0, v1, s[0:1]
	s_nop 0
	s_sendmsg sendmsg(MSG_DEALLOC_VGPRS)
	s_endpgm
	.section	.rodata,"a",@progbits
	.p2align	6, 0x0
	.amdhsa_kernel _Z28exclusive_scan_reduce_kernelILj162ELN6hipcub18BlockScanAlgorithmE1EsEvPT1_S3_S2_
		.amdhsa_group_segment_fixed_size 384
		.amdhsa_private_segment_fixed_size 0
		.amdhsa_kernarg_size 20
		.amdhsa_user_sgpr_count 15
		.amdhsa_user_sgpr_dispatch_ptr 0
		.amdhsa_user_sgpr_queue_ptr 0
		.amdhsa_user_sgpr_kernarg_segment_ptr 1
		.amdhsa_user_sgpr_dispatch_id 0
		.amdhsa_user_sgpr_private_segment_size 0
		.amdhsa_wavefront_size32 1
		.amdhsa_uses_dynamic_stack 0
		.amdhsa_enable_private_segment 0
		.amdhsa_system_sgpr_workgroup_id_x 1
		.amdhsa_system_sgpr_workgroup_id_y 0
		.amdhsa_system_sgpr_workgroup_id_z 0
		.amdhsa_system_sgpr_workgroup_info 0
		.amdhsa_system_vgpr_workitem_id 0
		.amdhsa_next_free_vgpr 16
		.amdhsa_next_free_sgpr 16
		.amdhsa_reserve_vcc 1
		.amdhsa_float_round_mode_32 0
		.amdhsa_float_round_mode_16_64 0
		.amdhsa_float_denorm_mode_32 3
		.amdhsa_float_denorm_mode_16_64 3
		.amdhsa_dx10_clamp 1
		.amdhsa_ieee_mode 1
		.amdhsa_fp16_overflow 0
		.amdhsa_workgroup_processor_mode 1
		.amdhsa_memory_ordered 1
		.amdhsa_forward_progress 0
		.amdhsa_shared_vgpr_count 0
		.amdhsa_exception_fp_ieee_invalid_op 0
		.amdhsa_exception_fp_denorm_src 0
		.amdhsa_exception_fp_ieee_div_zero 0
		.amdhsa_exception_fp_ieee_overflow 0
		.amdhsa_exception_fp_ieee_underflow 0
		.amdhsa_exception_fp_ieee_inexact 0
		.amdhsa_exception_int_div_zero 0
	.end_amdhsa_kernel
	.section	.text._Z28exclusive_scan_reduce_kernelILj162ELN6hipcub18BlockScanAlgorithmE1EsEvPT1_S3_S2_,"axG",@progbits,_Z28exclusive_scan_reduce_kernelILj162ELN6hipcub18BlockScanAlgorithmE1EsEvPT1_S3_S2_,comdat
.Lfunc_end99:
	.size	_Z28exclusive_scan_reduce_kernelILj162ELN6hipcub18BlockScanAlgorithmE1EsEvPT1_S3_S2_, .Lfunc_end99-_Z28exclusive_scan_reduce_kernelILj162ELN6hipcub18BlockScanAlgorithmE1EsEvPT1_S3_S2_
                                        ; -- End function
	.section	.AMDGPU.csdata,"",@progbits
; Kernel info:
; codeLenInByte = 756
; NumSgprs: 18
; NumVgprs: 16
; ScratchSize: 0
; MemoryBound: 0
; FloatMode: 240
; IeeeMode: 1
; LDSByteSize: 384 bytes/workgroup (compile time only)
; SGPRBlocks: 2
; VGPRBlocks: 1
; NumSGPRsForWavesPerEU: 18
; NumVGPRsForWavesPerEU: 16
; Occupancy: 15
; WaveLimiterHint : 0
; COMPUTE_PGM_RSRC2:SCRATCH_EN: 0
; COMPUTE_PGM_RSRC2:USER_SGPR: 15
; COMPUTE_PGM_RSRC2:TRAP_HANDLER: 0
; COMPUTE_PGM_RSRC2:TGID_X_EN: 1
; COMPUTE_PGM_RSRC2:TGID_Y_EN: 0
; COMPUTE_PGM_RSRC2:TGID_Z_EN: 0
; COMPUTE_PGM_RSRC2:TIDIG_COMP_CNT: 0
	.section	.text._Z28exclusive_scan_reduce_kernelILj37ELN6hipcub18BlockScanAlgorithmE1ElEvPT1_S3_S2_,"axG",@progbits,_Z28exclusive_scan_reduce_kernelILj37ELN6hipcub18BlockScanAlgorithmE1ElEvPT1_S3_S2_,comdat
	.protected	_Z28exclusive_scan_reduce_kernelILj37ELN6hipcub18BlockScanAlgorithmE1ElEvPT1_S3_S2_ ; -- Begin function _Z28exclusive_scan_reduce_kernelILj37ELN6hipcub18BlockScanAlgorithmE1ElEvPT1_S3_S2_
	.globl	_Z28exclusive_scan_reduce_kernelILj37ELN6hipcub18BlockScanAlgorithmE1ElEvPT1_S3_S2_
	.p2align	8
	.type	_Z28exclusive_scan_reduce_kernelILj37ELN6hipcub18BlockScanAlgorithmE1ElEvPT1_S3_S2_,@function
_Z28exclusive_scan_reduce_kernelILj37ELN6hipcub18BlockScanAlgorithmE1ElEvPT1_S3_S2_: ; @_Z28exclusive_scan_reduce_kernelILj37ELN6hipcub18BlockScanAlgorithmE1ElEvPT1_S3_S2_
; %bb.0:
	s_clause 0x1
	s_load_b128 s[4:7], s[0:1], 0x0
	s_load_b64 s[8:9], s[0:1], 0x10
	s_mov_b32 s2, s15
	s_mov_b32 s0, exec_lo
	v_mad_u64_u32 v[1:2], null, s2, 37, v[0:1]
	v_mov_b32_e32 v2, 0
	s_delay_alu instid0(VALU_DEP_1) | instskip(SKIP_1) | instid1(VALU_DEP_1)
	v_lshlrev_b64 v[1:2], 3, v[1:2]
	s_waitcnt lgkmcnt(0)
	v_add_co_u32 v5, vcc_lo, s4, v1
	s_delay_alu instid0(VALU_DEP_2)
	v_add_co_ci_u32_e32 v6, vcc_lo, s5, v2, vcc_lo
	v_lshrrev_b32_e32 v1, 5, v0
	global_load_b64 v[7:8], v[5:6], off
	v_add_lshl_u32 v1, v1, v0, 3
	s_waitcnt vmcnt(0)
	ds_store_b64 v1, v[7:8]
	s_waitcnt lgkmcnt(0)
	s_barrier
	buffer_gl0_inv
	v_cmpx_gt_u32_e32 32, v0
	s_cbranch_execz .LBB100_10
; %bb.1:
	v_lshrrev_b32_e32 v1, 1, v0
	v_mbcnt_lo_u32_b32 v14, -1, 0
	s_mov_b32 s1, exec_lo
	s_delay_alu instid0(VALU_DEP_2) | instskip(NEXT) | instid1(VALU_DEP_2)
	v_and_b32_e32 v1, 24, v1
	v_and_b32_e32 v15, 15, v14
	s_delay_alu instid0(VALU_DEP_2) | instskip(SKIP_4) | instid1(VALU_DEP_2)
	v_lshl_or_b32 v13, v0, 4, v1
	ds_load_2addr_b64 v[1:4], v13 offset1:1
	s_waitcnt lgkmcnt(0)
	v_add_co_u32 v9, vcc_lo, v3, v1
	v_add_co_ci_u32_e32 v10, vcc_lo, v4, v2, vcc_lo
	v_mov_b32_dpp v17, v9 row_shr:1 row_mask:0xf bank_mask:0xf
	s_delay_alu instid0(VALU_DEP_2)
	v_mov_b32_e32 v12, v10
	v_mov_b32_dpp v16, v10 row_shr:1 row_mask:0xf bank_mask:0xf
	v_mov_b32_e32 v11, v9
	v_cmpx_ne_u32_e32 0, v15
; %bb.2:
	v_add_co_u32 v9, vcc_lo, v9, v17
	v_add_co_ci_u32_e32 v10, vcc_lo, 0, v10, vcc_lo
	s_delay_alu instid0(VALU_DEP_2) | instskip(NEXT) | instid1(VALU_DEP_2)
	v_add_co_u32 v11, vcc_lo, 0, v9
	v_add_co_ci_u32_e32 v12, vcc_lo, v16, v10, vcc_lo
	s_delay_alu instid0(VALU_DEP_1)
	v_mov_b32_e32 v10, v12
; %bb.3:
	s_or_b32 exec_lo, exec_lo, s1
	v_mov_b32_dpp v17, v9 row_shr:2 row_mask:0xf bank_mask:0xf
	s_delay_alu instid0(VALU_DEP_2)
	v_mov_b32_dpp v16, v10 row_shr:2 row_mask:0xf bank_mask:0xf
	s_mov_b32 s1, exec_lo
	v_cmpx_lt_u32_e32 1, v15
; %bb.4:
	s_delay_alu instid0(VALU_DEP_3) | instskip(SKIP_1) | instid1(VALU_DEP_2)
	v_add_co_u32 v9, vcc_lo, v11, v17
	v_add_co_ci_u32_e32 v10, vcc_lo, 0, v12, vcc_lo
	v_add_co_u32 v11, vcc_lo, 0, v9
	s_delay_alu instid0(VALU_DEP_2) | instskip(NEXT) | instid1(VALU_DEP_1)
	v_add_co_ci_u32_e32 v12, vcc_lo, v16, v10, vcc_lo
	v_mov_b32_e32 v10, v12
; %bb.5:
	s_or_b32 exec_lo, exec_lo, s1
	v_mov_b32_dpp v17, v9 row_shr:4 row_mask:0xf bank_mask:0xf
	s_delay_alu instid0(VALU_DEP_2)
	v_mov_b32_dpp v16, v10 row_shr:4 row_mask:0xf bank_mask:0xf
	s_mov_b32 s1, exec_lo
	v_cmpx_lt_u32_e32 3, v15
; %bb.6:
	s_delay_alu instid0(VALU_DEP_3) | instskip(SKIP_1) | instid1(VALU_DEP_2)
	v_add_co_u32 v9, vcc_lo, v11, v17
	v_add_co_ci_u32_e32 v10, vcc_lo, 0, v12, vcc_lo
	v_add_co_u32 v11, vcc_lo, 0, v9
	s_delay_alu instid0(VALU_DEP_2) | instskip(NEXT) | instid1(VALU_DEP_1)
	v_add_co_ci_u32_e32 v12, vcc_lo, v16, v10, vcc_lo
	;; [unrolled: 15-line block ×3, first 2 shown]
	v_mov_b32_e32 v10, v12
; %bb.9:
	s_or_b32 exec_lo, exec_lo, s1
	ds_swizzle_b32 v15, v9 offset:swizzle(BROADCAST,32,15)
	ds_swizzle_b32 v16, v10 offset:swizzle(BROADCAST,32,15)
	v_add_nc_u32_e32 v17, -1, v14
	v_and_b32_e32 v18, 16, v14
	s_delay_alu instid0(VALU_DEP_2)
	v_cmp_gt_i32_e32 vcc_lo, 0, v17
	v_cndmask_b32_e32 v14, v17, v14, vcc_lo
	s_waitcnt lgkmcnt(1)
	v_add_co_u32 v11, vcc_lo, v11, v15
	v_add_co_ci_u32_e32 v12, vcc_lo, 0, v12, vcc_lo
	v_cmp_eq_u32_e32 vcc_lo, 0, v18
	s_delay_alu instid0(VALU_DEP_3) | instskip(SKIP_1) | instid1(VALU_DEP_3)
	v_cndmask_b32_e32 v9, v11, v9, vcc_lo
	s_waitcnt lgkmcnt(0)
	v_add_nc_u32_e32 v11, v16, v12
	v_lshlrev_b32_e32 v14, 2, v14
	s_delay_alu instid0(VALU_DEP_2)
	v_cndmask_b32_e32 v10, v11, v10, vcc_lo
	ds_bpermute_b32 v9, v14, v9
	ds_bpermute_b32 v10, v14, v10
	s_waitcnt lgkmcnt(1)
	v_add_co_u32 v1, vcc_lo, v1, v9
	v_add_co_ci_u32_e32 v2, vcc_lo, 0, v2, vcc_lo
	s_delay_alu instid0(VALU_DEP_2) | instskip(SKIP_1) | instid1(VALU_DEP_2)
	v_add_co_u32 v1, vcc_lo, v1, 0
	s_waitcnt lgkmcnt(0)
	v_add_co_ci_u32_e32 v2, vcc_lo, v2, v10, vcc_lo
	v_cmp_eq_u32_e32 vcc_lo, 0, v0
	s_delay_alu instid0(VALU_DEP_2) | instskip(NEXT) | instid1(VALU_DEP_1)
	v_dual_cndmask_b32 v1, v1, v7 :: v_dual_cndmask_b32 v2, v2, v8
	v_add_co_u32 v3, vcc_lo, v1, v3
	s_delay_alu instid0(VALU_DEP_2)
	v_add_co_ci_u32_e32 v4, vcc_lo, v2, v4, vcc_lo
	ds_store_2addr_b64 v13, v[1:2], v[3:4] offset1:1
.LBB100_10:
	s_or_b32 exec_lo, exec_lo, s0
	v_cmp_eq_u32_e32 vcc_lo, 0, v0
	v_dual_mov_b32 v1, s8 :: v_dual_mov_b32 v2, s9
	s_mov_b32 s1, exec_lo
	s_waitcnt lgkmcnt(0)
	s_barrier
	buffer_gl0_inv
	v_cmpx_ne_u32_e32 0, v0
	s_cbranch_execnz .LBB100_13
; %bb.11:
	s_or_b32 exec_lo, exec_lo, s1
	global_store_b64 v[5:6], v[1:2], off
	s_and_saveexec_b32 s0, vcc_lo
	s_cbranch_execnz .LBB100_14
.LBB100_12:
	s_nop 0
	s_sendmsg sendmsg(MSG_DEALLOC_VGPRS)
	s_endpgm
.LBB100_13:
	v_add_nc_u32_e32 v0, -1, v0
	s_delay_alu instid0(VALU_DEP_1) | instskip(NEXT) | instid1(VALU_DEP_1)
	v_lshrrev_b32_e32 v1, 5, v0
	v_add_lshl_u32 v0, v1, v0, 3
	ds_load_b64 v[1:2], v0
	s_waitcnt lgkmcnt(0)
	v_add_co_u32 v1, s0, v1, s8
	s_delay_alu instid0(VALU_DEP_1)
	v_add_co_ci_u32_e64 v2, s0, s9, v2, s0
	s_or_b32 exec_lo, exec_lo, s1
	global_store_b64 v[5:6], v[1:2], off
	s_and_saveexec_b32 s0, vcc_lo
	s_cbranch_execz .LBB100_12
.LBB100_14:
	v_mov_b32_e32 v2, 0
	s_mov_b32 s3, 0
	s_delay_alu instid0(SALU_CYCLE_1) | instskip(NEXT) | instid1(SALU_CYCLE_1)
	s_lshl_b64 s[0:1], s[2:3], 3
	s_add_u32 s0, s6, s0
	ds_load_b64 v[0:1], v2 offset:296
	s_addc_u32 s1, s7, s1
	s_waitcnt lgkmcnt(0)
	global_store_b64 v2, v[0:1], s[0:1]
	s_nop 0
	s_sendmsg sendmsg(MSG_DEALLOC_VGPRS)
	s_endpgm
	.section	.rodata,"a",@progbits
	.p2align	6, 0x0
	.amdhsa_kernel _Z28exclusive_scan_reduce_kernelILj37ELN6hipcub18BlockScanAlgorithmE1ElEvPT1_S3_S2_
		.amdhsa_group_segment_fixed_size 528
		.amdhsa_private_segment_fixed_size 0
		.amdhsa_kernarg_size 24
		.amdhsa_user_sgpr_count 15
		.amdhsa_user_sgpr_dispatch_ptr 0
		.amdhsa_user_sgpr_queue_ptr 0
		.amdhsa_user_sgpr_kernarg_segment_ptr 1
		.amdhsa_user_sgpr_dispatch_id 0
		.amdhsa_user_sgpr_private_segment_size 0
		.amdhsa_wavefront_size32 1
		.amdhsa_uses_dynamic_stack 0
		.amdhsa_enable_private_segment 0
		.amdhsa_system_sgpr_workgroup_id_x 1
		.amdhsa_system_sgpr_workgroup_id_y 0
		.amdhsa_system_sgpr_workgroup_id_z 0
		.amdhsa_system_sgpr_workgroup_info 0
		.amdhsa_system_vgpr_workitem_id 0
		.amdhsa_next_free_vgpr 19
		.amdhsa_next_free_sgpr 16
		.amdhsa_reserve_vcc 1
		.amdhsa_float_round_mode_32 0
		.amdhsa_float_round_mode_16_64 0
		.amdhsa_float_denorm_mode_32 3
		.amdhsa_float_denorm_mode_16_64 3
		.amdhsa_dx10_clamp 1
		.amdhsa_ieee_mode 1
		.amdhsa_fp16_overflow 0
		.amdhsa_workgroup_processor_mode 1
		.amdhsa_memory_ordered 1
		.amdhsa_forward_progress 0
		.amdhsa_shared_vgpr_count 0
		.amdhsa_exception_fp_ieee_invalid_op 0
		.amdhsa_exception_fp_denorm_src 0
		.amdhsa_exception_fp_ieee_div_zero 0
		.amdhsa_exception_fp_ieee_overflow 0
		.amdhsa_exception_fp_ieee_underflow 0
		.amdhsa_exception_fp_ieee_inexact 0
		.amdhsa_exception_int_div_zero 0
	.end_amdhsa_kernel
	.section	.text._Z28exclusive_scan_reduce_kernelILj37ELN6hipcub18BlockScanAlgorithmE1ElEvPT1_S3_S2_,"axG",@progbits,_Z28exclusive_scan_reduce_kernelILj37ELN6hipcub18BlockScanAlgorithmE1ElEvPT1_S3_S2_,comdat
.Lfunc_end100:
	.size	_Z28exclusive_scan_reduce_kernelILj37ELN6hipcub18BlockScanAlgorithmE1ElEvPT1_S3_S2_, .Lfunc_end100-_Z28exclusive_scan_reduce_kernelILj37ELN6hipcub18BlockScanAlgorithmE1ElEvPT1_S3_S2_
                                        ; -- End function
	.section	.AMDGPU.csdata,"",@progbits
; Kernel info:
; codeLenInByte = 848
; NumSgprs: 18
; NumVgprs: 19
; ScratchSize: 0
; MemoryBound: 0
; FloatMode: 240
; IeeeMode: 1
; LDSByteSize: 528 bytes/workgroup (compile time only)
; SGPRBlocks: 2
; VGPRBlocks: 2
; NumSGPRsForWavesPerEU: 18
; NumVGPRsForWavesPerEU: 19
; Occupancy: 16
; WaveLimiterHint : 0
; COMPUTE_PGM_RSRC2:SCRATCH_EN: 0
; COMPUTE_PGM_RSRC2:USER_SGPR: 15
; COMPUTE_PGM_RSRC2:TRAP_HANDLER: 0
; COMPUTE_PGM_RSRC2:TGID_X_EN: 1
; COMPUTE_PGM_RSRC2:TGID_Y_EN: 0
; COMPUTE_PGM_RSRC2:TGID_Z_EN: 0
; COMPUTE_PGM_RSRC2:TIDIG_COMP_CNT: 0
	.section	.text._Z28exclusive_scan_reduce_kernelILj65ELN6hipcub18BlockScanAlgorithmE1EmEvPT1_S3_S2_,"axG",@progbits,_Z28exclusive_scan_reduce_kernelILj65ELN6hipcub18BlockScanAlgorithmE1EmEvPT1_S3_S2_,comdat
	.protected	_Z28exclusive_scan_reduce_kernelILj65ELN6hipcub18BlockScanAlgorithmE1EmEvPT1_S3_S2_ ; -- Begin function _Z28exclusive_scan_reduce_kernelILj65ELN6hipcub18BlockScanAlgorithmE1EmEvPT1_S3_S2_
	.globl	_Z28exclusive_scan_reduce_kernelILj65ELN6hipcub18BlockScanAlgorithmE1EmEvPT1_S3_S2_
	.p2align	8
	.type	_Z28exclusive_scan_reduce_kernelILj65ELN6hipcub18BlockScanAlgorithmE1EmEvPT1_S3_S2_,@function
_Z28exclusive_scan_reduce_kernelILj65ELN6hipcub18BlockScanAlgorithmE1EmEvPT1_S3_S2_: ; @_Z28exclusive_scan_reduce_kernelILj65ELN6hipcub18BlockScanAlgorithmE1EmEvPT1_S3_S2_
; %bb.0:
	s_clause 0x1
	s_load_b128 s[4:7], s[0:1], 0x0
	s_load_b64 s[8:9], s[0:1], 0x10
	s_mov_b32 s2, s15
	v_lshlrev_b32_e32 v15, 3, v0
	v_mad_u64_u32 v[1:2], null, 0x41, s2, v[0:1]
	v_mov_b32_e32 v2, 0
	s_mov_b32 s0, exec_lo
	s_delay_alu instid0(VALU_DEP_1) | instskip(SKIP_1) | instid1(VALU_DEP_1)
	v_lshlrev_b64 v[1:2], 3, v[1:2]
	s_waitcnt lgkmcnt(0)
	v_add_co_u32 v5, vcc_lo, s4, v1
	s_delay_alu instid0(VALU_DEP_2)
	v_add_co_ci_u32_e32 v6, vcc_lo, s5, v2, vcc_lo
	global_load_b64 v[7:8], v[5:6], off
	s_waitcnt vmcnt(0)
	ds_store_b64 v15, v[7:8]
	s_waitcnt lgkmcnt(0)
	s_barrier
	buffer_gl0_inv
	v_cmpx_gt_u32_e32 32, v0
	s_cbranch_execz .LBB101_10
; %bb.1:
	v_mul_u32_u24_e32 v1, 3, v0
	v_mbcnt_lo_u32_b32 v17, -1, 0
	s_mov_b32 s1, exec_lo
	s_delay_alu instid0(VALU_DEP_2) | instskip(NEXT) | instid1(VALU_DEP_2)
	v_lshlrev_b32_e32 v16, 3, v1
	v_and_b32_e32 v18, 15, v17
	ds_load_2addr_b64 v[1:4], v16 offset1:1
	ds_load_b64 v[9:10], v16 offset:16
	s_waitcnt lgkmcnt(1)
	v_add_co_u32 v11, vcc_lo, v3, v1
	v_add_co_ci_u32_e32 v12, vcc_lo, v4, v2, vcc_lo
	s_waitcnt lgkmcnt(0)
	s_delay_alu instid0(VALU_DEP_2) | instskip(NEXT) | instid1(VALU_DEP_2)
	v_add_co_u32 v11, vcc_lo, v11, v9
	v_add_co_ci_u32_e32 v12, vcc_lo, v12, v10, vcc_lo
	s_delay_alu instid0(VALU_DEP_2) | instskip(NEXT) | instid1(VALU_DEP_2)
	v_mov_b32_dpp v20, v11 row_shr:1 row_mask:0xf bank_mask:0xf
	v_dual_mov_b32 v14, v12 :: v_dual_mov_b32 v13, v11
	v_mov_b32_dpp v19, v12 row_shr:1 row_mask:0xf bank_mask:0xf
	v_cmpx_ne_u32_e32 0, v18
; %bb.2:
	s_delay_alu instid0(VALU_DEP_4) | instskip(SKIP_1) | instid1(VALU_DEP_2)
	v_add_co_u32 v11, vcc_lo, v11, v20
	v_add_co_ci_u32_e32 v12, vcc_lo, 0, v12, vcc_lo
	v_add_co_u32 v13, vcc_lo, 0, v11
	s_delay_alu instid0(VALU_DEP_2) | instskip(NEXT) | instid1(VALU_DEP_1)
	v_add_co_ci_u32_e32 v14, vcc_lo, v19, v12, vcc_lo
	v_mov_b32_e32 v12, v14
; %bb.3:
	s_or_b32 exec_lo, exec_lo, s1
	v_mov_b32_dpp v20, v11 row_shr:2 row_mask:0xf bank_mask:0xf
	s_delay_alu instid0(VALU_DEP_2)
	v_mov_b32_dpp v19, v12 row_shr:2 row_mask:0xf bank_mask:0xf
	s_mov_b32 s1, exec_lo
	v_cmpx_lt_u32_e32 1, v18
; %bb.4:
	s_delay_alu instid0(VALU_DEP_3) | instskip(SKIP_1) | instid1(VALU_DEP_2)
	v_add_co_u32 v11, vcc_lo, v13, v20
	v_add_co_ci_u32_e32 v12, vcc_lo, 0, v14, vcc_lo
	v_add_co_u32 v13, vcc_lo, 0, v11
	s_delay_alu instid0(VALU_DEP_2) | instskip(NEXT) | instid1(VALU_DEP_1)
	v_add_co_ci_u32_e32 v14, vcc_lo, v19, v12, vcc_lo
	v_mov_b32_e32 v12, v14
; %bb.5:
	s_or_b32 exec_lo, exec_lo, s1
	v_mov_b32_dpp v20, v11 row_shr:4 row_mask:0xf bank_mask:0xf
	s_delay_alu instid0(VALU_DEP_2)
	v_mov_b32_dpp v19, v12 row_shr:4 row_mask:0xf bank_mask:0xf
	s_mov_b32 s1, exec_lo
	v_cmpx_lt_u32_e32 3, v18
; %bb.6:
	s_delay_alu instid0(VALU_DEP_3) | instskip(SKIP_1) | instid1(VALU_DEP_2)
	v_add_co_u32 v11, vcc_lo, v13, v20
	v_add_co_ci_u32_e32 v12, vcc_lo, 0, v14, vcc_lo
	v_add_co_u32 v13, vcc_lo, 0, v11
	s_delay_alu instid0(VALU_DEP_2) | instskip(NEXT) | instid1(VALU_DEP_1)
	v_add_co_ci_u32_e32 v14, vcc_lo, v19, v12, vcc_lo
	v_mov_b32_e32 v12, v14
; %bb.7:
	s_or_b32 exec_lo, exec_lo, s1
	v_mov_b32_dpp v20, v11 row_shr:8 row_mask:0xf bank_mask:0xf
	s_delay_alu instid0(VALU_DEP_2)
	v_mov_b32_dpp v19, v12 row_shr:8 row_mask:0xf bank_mask:0xf
	s_mov_b32 s1, exec_lo
	v_cmpx_lt_u32_e32 7, v18
; %bb.8:
	s_delay_alu instid0(VALU_DEP_3) | instskip(SKIP_1) | instid1(VALU_DEP_2)
	v_add_co_u32 v11, vcc_lo, v13, v20
	v_add_co_ci_u32_e32 v12, vcc_lo, 0, v14, vcc_lo
	v_add_co_u32 v13, vcc_lo, 0, v11
	s_delay_alu instid0(VALU_DEP_2) | instskip(NEXT) | instid1(VALU_DEP_1)
	v_add_co_ci_u32_e32 v14, vcc_lo, v19, v12, vcc_lo
	v_mov_b32_e32 v12, v14
; %bb.9:
	s_or_b32 exec_lo, exec_lo, s1
	ds_swizzle_b32 v18, v11 offset:swizzle(BROADCAST,32,15)
	ds_swizzle_b32 v19, v12 offset:swizzle(BROADCAST,32,15)
	v_add_nc_u32_e32 v20, -1, v17
	v_and_b32_e32 v21, 16, v17
	s_delay_alu instid0(VALU_DEP_2) | instskip(SKIP_1) | instid1(VALU_DEP_1)
	v_cmp_gt_i32_e32 vcc_lo, 0, v20
	v_cndmask_b32_e32 v17, v20, v17, vcc_lo
	v_lshlrev_b32_e32 v17, 2, v17
	s_waitcnt lgkmcnt(1)
	v_add_co_u32 v13, vcc_lo, v13, v18
	v_add_co_ci_u32_e32 v14, vcc_lo, 0, v14, vcc_lo
	v_cmp_eq_u32_e32 vcc_lo, 0, v21
	s_delay_alu instid0(VALU_DEP_3) | instskip(SKIP_1) | instid1(VALU_DEP_3)
	v_cndmask_b32_e32 v11, v13, v11, vcc_lo
	s_waitcnt lgkmcnt(0)
	v_add_nc_u32_e32 v13, v19, v14
	ds_bpermute_b32 v11, v17, v11
	v_cndmask_b32_e32 v12, v13, v12, vcc_lo
	ds_bpermute_b32 v12, v17, v12
	s_waitcnt lgkmcnt(1)
	v_add_co_u32 v1, vcc_lo, v1, v11
	v_add_co_ci_u32_e32 v2, vcc_lo, 0, v2, vcc_lo
	s_delay_alu instid0(VALU_DEP_2) | instskip(SKIP_1) | instid1(VALU_DEP_2)
	v_add_co_u32 v1, vcc_lo, v1, 0
	s_waitcnt lgkmcnt(0)
	v_add_co_ci_u32_e32 v2, vcc_lo, v2, v12, vcc_lo
	v_cmp_eq_u32_e32 vcc_lo, 0, v0
	s_delay_alu instid0(VALU_DEP_2) | instskip(NEXT) | instid1(VALU_DEP_1)
	v_dual_cndmask_b32 v2, v2, v8 :: v_dual_cndmask_b32 v1, v1, v7
	v_add_co_u32 v3, vcc_lo, v1, v3
	s_delay_alu instid0(VALU_DEP_2) | instskip(NEXT) | instid1(VALU_DEP_2)
	v_add_co_ci_u32_e32 v4, vcc_lo, v2, v4, vcc_lo
	v_add_co_u32 v7, vcc_lo, v3, v9
	s_delay_alu instid0(VALU_DEP_2)
	v_add_co_ci_u32_e32 v8, vcc_lo, v4, v10, vcc_lo
	ds_store_2addr_b64 v16, v[1:2], v[3:4] offset1:1
	ds_store_b64 v16, v[7:8] offset:16
.LBB101_10:
	s_or_b32 exec_lo, exec_lo, s0
	v_cmp_eq_u32_e32 vcc_lo, 0, v0
	v_cmp_ne_u32_e64 s0, 0, v0
	v_dual_mov_b32 v0, s8 :: v_dual_mov_b32 v1, s9
	s_waitcnt lgkmcnt(0)
	s_barrier
	buffer_gl0_inv
	s_and_saveexec_b32 s1, s0
	s_cbranch_execnz .LBB101_13
; %bb.11:
	s_or_b32 exec_lo, exec_lo, s1
	global_store_b64 v[5:6], v[0:1], off
	s_and_saveexec_b32 s0, vcc_lo
	s_cbranch_execnz .LBB101_14
.LBB101_12:
	s_nop 0
	s_sendmsg sendmsg(MSG_DEALLOC_VGPRS)
	s_endpgm
.LBB101_13:
	v_add_nc_u32_e32 v0, -8, v15
	ds_load_b64 v[0:1], v0
	s_waitcnt lgkmcnt(0)
	v_add_co_u32 v0, s0, v0, s8
	s_delay_alu instid0(VALU_DEP_1)
	v_add_co_ci_u32_e64 v1, s0, s9, v1, s0
	s_or_b32 exec_lo, exec_lo, s1
	global_store_b64 v[5:6], v[0:1], off
	s_and_saveexec_b32 s0, vcc_lo
	s_cbranch_execz .LBB101_12
.LBB101_14:
	v_mov_b32_e32 v2, 0
	s_mov_b32 s3, 0
	s_delay_alu instid0(SALU_CYCLE_1) | instskip(NEXT) | instid1(SALU_CYCLE_1)
	s_lshl_b64 s[0:1], s[2:3], 3
	s_add_u32 s0, s6, s0
	ds_load_b64 v[0:1], v2 offset:512
	s_addc_u32 s1, s7, s1
	s_waitcnt lgkmcnt(0)
	global_store_b64 v2, v[0:1], s[0:1]
	s_nop 0
	s_sendmsg sendmsg(MSG_DEALLOC_VGPRS)
	s_endpgm
	.section	.rodata,"a",@progbits
	.p2align	6, 0x0
	.amdhsa_kernel _Z28exclusive_scan_reduce_kernelILj65ELN6hipcub18BlockScanAlgorithmE1EmEvPT1_S3_S2_
		.amdhsa_group_segment_fixed_size 768
		.amdhsa_private_segment_fixed_size 0
		.amdhsa_kernarg_size 24
		.amdhsa_user_sgpr_count 15
		.amdhsa_user_sgpr_dispatch_ptr 0
		.amdhsa_user_sgpr_queue_ptr 0
		.amdhsa_user_sgpr_kernarg_segment_ptr 1
		.amdhsa_user_sgpr_dispatch_id 0
		.amdhsa_user_sgpr_private_segment_size 0
		.amdhsa_wavefront_size32 1
		.amdhsa_uses_dynamic_stack 0
		.amdhsa_enable_private_segment 0
		.amdhsa_system_sgpr_workgroup_id_x 1
		.amdhsa_system_sgpr_workgroup_id_y 0
		.amdhsa_system_sgpr_workgroup_id_z 0
		.amdhsa_system_sgpr_workgroup_info 0
		.amdhsa_system_vgpr_workitem_id 0
		.amdhsa_next_free_vgpr 22
		.amdhsa_next_free_sgpr 16
		.amdhsa_reserve_vcc 1
		.amdhsa_float_round_mode_32 0
		.amdhsa_float_round_mode_16_64 0
		.amdhsa_float_denorm_mode_32 3
		.amdhsa_float_denorm_mode_16_64 3
		.amdhsa_dx10_clamp 1
		.amdhsa_ieee_mode 1
		.amdhsa_fp16_overflow 0
		.amdhsa_workgroup_processor_mode 1
		.amdhsa_memory_ordered 1
		.amdhsa_forward_progress 0
		.amdhsa_shared_vgpr_count 0
		.amdhsa_exception_fp_ieee_invalid_op 0
		.amdhsa_exception_fp_denorm_src 0
		.amdhsa_exception_fp_ieee_div_zero 0
		.amdhsa_exception_fp_ieee_overflow 0
		.amdhsa_exception_fp_ieee_underflow 0
		.amdhsa_exception_fp_ieee_inexact 0
		.amdhsa_exception_int_div_zero 0
	.end_amdhsa_kernel
	.section	.text._Z28exclusive_scan_reduce_kernelILj65ELN6hipcub18BlockScanAlgorithmE1EmEvPT1_S3_S2_,"axG",@progbits,_Z28exclusive_scan_reduce_kernelILj65ELN6hipcub18BlockScanAlgorithmE1EmEvPT1_S3_S2_,comdat
.Lfunc_end101:
	.size	_Z28exclusive_scan_reduce_kernelILj65ELN6hipcub18BlockScanAlgorithmE1EmEvPT1_S3_S2_, .Lfunc_end101-_Z28exclusive_scan_reduce_kernelILj65ELN6hipcub18BlockScanAlgorithmE1EmEvPT1_S3_S2_
                                        ; -- End function
	.section	.AMDGPU.csdata,"",@progbits
; Kernel info:
; codeLenInByte = 868
; NumSgprs: 18
; NumVgprs: 22
; ScratchSize: 0
; MemoryBound: 0
; FloatMode: 240
; IeeeMode: 1
; LDSByteSize: 768 bytes/workgroup (compile time only)
; SGPRBlocks: 2
; VGPRBlocks: 2
; NumSGPRsForWavesPerEU: 18
; NumVGPRsForWavesPerEU: 22
; Occupancy: 16
; WaveLimiterHint : 0
; COMPUTE_PGM_RSRC2:SCRATCH_EN: 0
; COMPUTE_PGM_RSRC2:USER_SGPR: 15
; COMPUTE_PGM_RSRC2:TRAP_HANDLER: 0
; COMPUTE_PGM_RSRC2:TGID_X_EN: 1
; COMPUTE_PGM_RSRC2:TGID_Y_EN: 0
; COMPUTE_PGM_RSRC2:TGID_Z_EN: 0
; COMPUTE_PGM_RSRC2:TIDIG_COMP_CNT: 0
	.section	.text._Z28exclusive_scan_reduce_kernelILj512ELN6hipcub18BlockScanAlgorithmE1EiEvPT1_S3_S2_,"axG",@progbits,_Z28exclusive_scan_reduce_kernelILj512ELN6hipcub18BlockScanAlgorithmE1EiEvPT1_S3_S2_,comdat
	.protected	_Z28exclusive_scan_reduce_kernelILj512ELN6hipcub18BlockScanAlgorithmE1EiEvPT1_S3_S2_ ; -- Begin function _Z28exclusive_scan_reduce_kernelILj512ELN6hipcub18BlockScanAlgorithmE1EiEvPT1_S3_S2_
	.globl	_Z28exclusive_scan_reduce_kernelILj512ELN6hipcub18BlockScanAlgorithmE1EiEvPT1_S3_S2_
	.p2align	8
	.type	_Z28exclusive_scan_reduce_kernelILj512ELN6hipcub18BlockScanAlgorithmE1EiEvPT1_S3_S2_,@function
_Z28exclusive_scan_reduce_kernelILj512ELN6hipcub18BlockScanAlgorithmE1EiEvPT1_S3_S2_: ; @_Z28exclusive_scan_reduce_kernelILj512ELN6hipcub18BlockScanAlgorithmE1EiEvPT1_S3_S2_
; %bb.0:
	s_load_b128 s[4:7], s[0:1], 0x0
	s_mov_b32 s2, s15
	v_mov_b32_e32 v2, 0
	v_lshl_or_b32 v1, s2, 9, v0
	v_lshrrev_b32_e32 v4, 5, v0
	s_mov_b32 s3, exec_lo
	s_delay_alu instid0(VALU_DEP_2) | instskip(NEXT) | instid1(VALU_DEP_2)
	v_lshlrev_b64 v[1:2], 2, v[1:2]
	v_add_lshl_u32 v4, v4, v0, 2
	s_waitcnt lgkmcnt(0)
	s_delay_alu instid0(VALU_DEP_2) | instskip(NEXT) | instid1(VALU_DEP_3)
	v_add_co_u32 v1, vcc_lo, s4, v1
	v_add_co_ci_u32_e32 v2, vcc_lo, s5, v2, vcc_lo
	global_load_b32 v3, v[1:2], off
	s_waitcnt vmcnt(0)
	ds_store_b32 v4, v3
	s_waitcnt lgkmcnt(0)
	s_barrier
	buffer_gl0_inv
	v_cmpx_gt_u32_e32 32, v0
	s_cbranch_execz .LBB102_2
; %bb.1:
	v_lshlrev_b32_e32 v4, 1, v0
	v_mbcnt_lo_u32_b32 v22, -1, 0
	s_delay_alu instid0(VALU_DEP_2) | instskip(NEXT) | instid1(VALU_DEP_2)
	v_and_b32_e32 v4, 0x3fc, v4
	v_bfe_i32 v25, v22, 4, 1
	s_delay_alu instid0(VALU_DEP_2)
	v_lshl_or_b32 v20, v0, 6, v4
	ds_load_2addr_b32 v[4:5], v20 offset1:1
	ds_load_2addr_b32 v[6:7], v20 offset0:2 offset1:3
	ds_load_2addr_b32 v[8:9], v20 offset0:4 offset1:5
	;; [unrolled: 1-line block ×4, first 2 shown]
	s_waitcnt lgkmcnt(4)
	v_add_nc_u32_e32 v14, v5, v4
	s_waitcnt lgkmcnt(3)
	s_delay_alu instid0(VALU_DEP_1)
	v_add3_u32 v16, v14, v6, v7
	ds_load_2addr_b32 v[14:15], v20 offset0:10 offset1:11
	s_waitcnt lgkmcnt(3)
	v_add3_u32 v21, v16, v8, v9
	ds_load_2addr_b32 v[16:17], v20 offset0:12 offset1:13
	ds_load_2addr_b32 v[18:19], v20 offset0:14 offset1:15
	s_waitcnt lgkmcnt(4)
	v_add3_u32 v21, v21, v10, v11
	s_waitcnt lgkmcnt(3)
	s_delay_alu instid0(VALU_DEP_1) | instskip(SKIP_1) | instid1(VALU_DEP_1)
	v_add3_u32 v21, v21, v12, v13
	s_waitcnt lgkmcnt(2)
	v_add3_u32 v21, v21, v14, v15
	s_waitcnt lgkmcnt(1)
	s_delay_alu instid0(VALU_DEP_1) | instskip(SKIP_1) | instid1(VALU_DEP_1)
	v_add3_u32 v21, v21, v16, v17
	s_waitcnt lgkmcnt(0)
	v_add3_u32 v21, v21, v18, v19
	s_delay_alu instid0(VALU_DEP_1) | instskip(SKIP_1) | instid1(VALU_DEP_1)
	v_mov_b32_dpp v24, v21 row_shr:1 row_mask:0xf bank_mask:0xf
	v_and_b32_e32 v23, 15, v22
	v_cmp_ne_u32_e32 vcc_lo, 0, v23
	s_delay_alu instid0(VALU_DEP_3) | instskip(SKIP_1) | instid1(VALU_DEP_2)
	v_cndmask_b32_e32 v24, 0, v24, vcc_lo
	v_cmp_lt_u32_e32 vcc_lo, 1, v23
	v_add_nc_u32_e32 v21, v24, v21
	s_delay_alu instid0(VALU_DEP_1) | instskip(NEXT) | instid1(VALU_DEP_1)
	v_mov_b32_dpp v24, v21 row_shr:2 row_mask:0xf bank_mask:0xf
	v_cndmask_b32_e32 v24, 0, v24, vcc_lo
	v_cmp_lt_u32_e32 vcc_lo, 3, v23
	s_delay_alu instid0(VALU_DEP_2) | instskip(NEXT) | instid1(VALU_DEP_1)
	v_add_nc_u32_e32 v21, v21, v24
	v_mov_b32_dpp v24, v21 row_shr:4 row_mask:0xf bank_mask:0xf
	s_delay_alu instid0(VALU_DEP_1) | instskip(SKIP_1) | instid1(VALU_DEP_2)
	v_cndmask_b32_e32 v24, 0, v24, vcc_lo
	v_cmp_lt_u32_e32 vcc_lo, 7, v23
	v_add_nc_u32_e32 v21, v21, v24
	s_delay_alu instid0(VALU_DEP_1) | instskip(NEXT) | instid1(VALU_DEP_1)
	v_mov_b32_dpp v24, v21 row_shr:8 row_mask:0xf bank_mask:0xf
	v_dual_cndmask_b32 v23, 0, v24 :: v_dual_add_nc_u32 v24, -1, v22
	s_delay_alu instid0(VALU_DEP_1) | instskip(NEXT) | instid1(VALU_DEP_2)
	v_add_nc_u32_e32 v21, v21, v23
	v_cmp_gt_i32_e32 vcc_lo, 0, v24
	ds_swizzle_b32 v23, v21 offset:swizzle(BROADCAST,32,15)
	v_cndmask_b32_e32 v22, v24, v22, vcc_lo
	v_cmp_eq_u32_e32 vcc_lo, 0, v0
	s_delay_alu instid0(VALU_DEP_2) | instskip(SKIP_2) | instid1(VALU_DEP_1)
	v_lshlrev_b32_e32 v22, 2, v22
	s_waitcnt lgkmcnt(0)
	v_and_b32_e32 v23, v25, v23
	v_add_nc_u32_e32 v21, v21, v23
	ds_bpermute_b32 v21, v22, v21
	s_waitcnt lgkmcnt(0)
	v_add_nc_u32_e32 v4, v21, v4
	s_delay_alu instid0(VALU_DEP_1) | instskip(NEXT) | instid1(VALU_DEP_1)
	v_cndmask_b32_e32 v3, v4, v3, vcc_lo
	v_add_nc_u32_e32 v4, v3, v5
	s_delay_alu instid0(VALU_DEP_1) | instskip(NEXT) | instid1(VALU_DEP_1)
	v_add_nc_u32_e32 v5, v4, v6
	v_add_nc_u32_e32 v6, v5, v7
	s_delay_alu instid0(VALU_DEP_1) | instskip(NEXT) | instid1(VALU_DEP_1)
	v_add_nc_u32_e32 v7, v6, v8
	v_add_nc_u32_e32 v8, v7, v9
	s_delay_alu instid0(VALU_DEP_1) | instskip(NEXT) | instid1(VALU_DEP_1)
	v_add_nc_u32_e32 v9, v8, v10
	v_add_nc_u32_e32 v10, v9, v11
	s_delay_alu instid0(VALU_DEP_1) | instskip(NEXT) | instid1(VALU_DEP_1)
	v_add_nc_u32_e32 v11, v10, v12
	v_add_nc_u32_e32 v12, v11, v13
	s_delay_alu instid0(VALU_DEP_1) | instskip(NEXT) | instid1(VALU_DEP_1)
	v_add_nc_u32_e32 v13, v12, v14
	v_add_nc_u32_e32 v14, v13, v15
	s_delay_alu instid0(VALU_DEP_1) | instskip(NEXT) | instid1(VALU_DEP_1)
	v_add_nc_u32_e32 v15, v14, v16
	v_add_nc_u32_e32 v16, v15, v17
	s_delay_alu instid0(VALU_DEP_1) | instskip(NEXT) | instid1(VALU_DEP_1)
	v_add_nc_u32_e32 v17, v16, v18
	v_add_nc_u32_e32 v18, v17, v19
	ds_store_2addr_b32 v20, v3, v4 offset1:1
	ds_store_2addr_b32 v20, v5, v6 offset0:2 offset1:3
	ds_store_2addr_b32 v20, v7, v8 offset0:4 offset1:5
	;; [unrolled: 1-line block ×7, first 2 shown]
.LBB102_2:
	s_or_b32 exec_lo, exec_lo, s3
	s_load_b32 s1, s[0:1], 0x10
	v_cmp_eq_u32_e32 vcc_lo, 0, v0
	s_mov_b32 s3, exec_lo
	s_waitcnt lgkmcnt(0)
	s_barrier
	buffer_gl0_inv
	v_mov_b32_e32 v3, s1
	v_cmpx_ne_u32_e32 0, v0
	s_cbranch_execnz .LBB102_5
; %bb.3:
	s_or_b32 exec_lo, exec_lo, s3
	global_store_b32 v[1:2], v3, off
	s_and_saveexec_b32 s0, vcc_lo
	s_cbranch_execnz .LBB102_6
.LBB102_4:
	s_nop 0
	s_sendmsg sendmsg(MSG_DEALLOC_VGPRS)
	s_endpgm
.LBB102_5:
	v_add_nc_u32_e32 v0, -1, v0
	s_delay_alu instid0(VALU_DEP_1) | instskip(NEXT) | instid1(VALU_DEP_1)
	v_lshrrev_b32_e32 v3, 5, v0
	v_add_lshl_u32 v0, v3, v0, 2
	ds_load_b32 v0, v0
	s_waitcnt lgkmcnt(0)
	v_add_nc_u32_e32 v3, s1, v0
	s_or_b32 exec_lo, exec_lo, s3
	global_store_b32 v[1:2], v3, off
	s_and_saveexec_b32 s0, vcc_lo
	s_cbranch_execz .LBB102_4
.LBB102_6:
	v_mov_b32_e32 v0, 0
	s_mov_b32 s3, 0
	s_delay_alu instid0(SALU_CYCLE_1) | instskip(NEXT) | instid1(SALU_CYCLE_1)
	s_lshl_b64 s[0:1], s[2:3], 2
	s_add_u32 s0, s6, s0
	ds_load_b32 v1, v0 offset:2104
	s_addc_u32 s1, s7, s1
	s_waitcnt lgkmcnt(0)
	global_store_b32 v0, v1, s[0:1]
	s_nop 0
	s_sendmsg sendmsg(MSG_DEALLOC_VGPRS)
	s_endpgm
	.section	.rodata,"a",@progbits
	.p2align	6, 0x0
	.amdhsa_kernel _Z28exclusive_scan_reduce_kernelILj512ELN6hipcub18BlockScanAlgorithmE1EiEvPT1_S3_S2_
		.amdhsa_group_segment_fixed_size 2112
		.amdhsa_private_segment_fixed_size 0
		.amdhsa_kernarg_size 20
		.amdhsa_user_sgpr_count 15
		.amdhsa_user_sgpr_dispatch_ptr 0
		.amdhsa_user_sgpr_queue_ptr 0
		.amdhsa_user_sgpr_kernarg_segment_ptr 1
		.amdhsa_user_sgpr_dispatch_id 0
		.amdhsa_user_sgpr_private_segment_size 0
		.amdhsa_wavefront_size32 1
		.amdhsa_uses_dynamic_stack 0
		.amdhsa_enable_private_segment 0
		.amdhsa_system_sgpr_workgroup_id_x 1
		.amdhsa_system_sgpr_workgroup_id_y 0
		.amdhsa_system_sgpr_workgroup_id_z 0
		.amdhsa_system_sgpr_workgroup_info 0
		.amdhsa_system_vgpr_workitem_id 0
		.amdhsa_next_free_vgpr 26
		.amdhsa_next_free_sgpr 16
		.amdhsa_reserve_vcc 1
		.amdhsa_float_round_mode_32 0
		.amdhsa_float_round_mode_16_64 0
		.amdhsa_float_denorm_mode_32 3
		.amdhsa_float_denorm_mode_16_64 3
		.amdhsa_dx10_clamp 1
		.amdhsa_ieee_mode 1
		.amdhsa_fp16_overflow 0
		.amdhsa_workgroup_processor_mode 1
		.amdhsa_memory_ordered 1
		.amdhsa_forward_progress 0
		.amdhsa_shared_vgpr_count 0
		.amdhsa_exception_fp_ieee_invalid_op 0
		.amdhsa_exception_fp_denorm_src 0
		.amdhsa_exception_fp_ieee_div_zero 0
		.amdhsa_exception_fp_ieee_overflow 0
		.amdhsa_exception_fp_ieee_underflow 0
		.amdhsa_exception_fp_ieee_inexact 0
		.amdhsa_exception_int_div_zero 0
	.end_amdhsa_kernel
	.section	.text._Z28exclusive_scan_reduce_kernelILj512ELN6hipcub18BlockScanAlgorithmE1EiEvPT1_S3_S2_,"axG",@progbits,_Z28exclusive_scan_reduce_kernelILj512ELN6hipcub18BlockScanAlgorithmE1EiEvPT1_S3_S2_,comdat
.Lfunc_end102:
	.size	_Z28exclusive_scan_reduce_kernelILj512ELN6hipcub18BlockScanAlgorithmE1EiEvPT1_S3_S2_, .Lfunc_end102-_Z28exclusive_scan_reduce_kernelILj512ELN6hipcub18BlockScanAlgorithmE1EiEvPT1_S3_S2_
                                        ; -- End function
	.section	.AMDGPU.csdata,"",@progbits
; Kernel info:
; codeLenInByte = 852
; NumSgprs: 18
; NumVgprs: 26
; ScratchSize: 0
; MemoryBound: 0
; FloatMode: 240
; IeeeMode: 1
; LDSByteSize: 2112 bytes/workgroup (compile time only)
; SGPRBlocks: 2
; VGPRBlocks: 3
; NumSGPRsForWavesPerEU: 18
; NumVGPRsForWavesPerEU: 26
; Occupancy: 16
; WaveLimiterHint : 0
; COMPUTE_PGM_RSRC2:SCRATCH_EN: 0
; COMPUTE_PGM_RSRC2:USER_SGPR: 15
; COMPUTE_PGM_RSRC2:TRAP_HANDLER: 0
; COMPUTE_PGM_RSRC2:TGID_X_EN: 1
; COMPUTE_PGM_RSRC2:TGID_Y_EN: 0
; COMPUTE_PGM_RSRC2:TGID_Z_EN: 0
; COMPUTE_PGM_RSRC2:TIDIG_COMP_CNT: 0
	.section	.text._Z28exclusive_scan_reduce_kernelILj256ELN6hipcub18BlockScanAlgorithmE1EiEvPT1_S3_S2_,"axG",@progbits,_Z28exclusive_scan_reduce_kernelILj256ELN6hipcub18BlockScanAlgorithmE1EiEvPT1_S3_S2_,comdat
	.protected	_Z28exclusive_scan_reduce_kernelILj256ELN6hipcub18BlockScanAlgorithmE1EiEvPT1_S3_S2_ ; -- Begin function _Z28exclusive_scan_reduce_kernelILj256ELN6hipcub18BlockScanAlgorithmE1EiEvPT1_S3_S2_
	.globl	_Z28exclusive_scan_reduce_kernelILj256ELN6hipcub18BlockScanAlgorithmE1EiEvPT1_S3_S2_
	.p2align	8
	.type	_Z28exclusive_scan_reduce_kernelILj256ELN6hipcub18BlockScanAlgorithmE1EiEvPT1_S3_S2_,@function
_Z28exclusive_scan_reduce_kernelILj256ELN6hipcub18BlockScanAlgorithmE1EiEvPT1_S3_S2_: ; @_Z28exclusive_scan_reduce_kernelILj256ELN6hipcub18BlockScanAlgorithmE1EiEvPT1_S3_S2_
; %bb.0:
	s_load_b128 s[4:7], s[0:1], 0x0
	s_mov_b32 s2, s15
	v_mov_b32_e32 v2, 0
	v_lshl_or_b32 v1, s2, 8, v0
	v_lshrrev_b32_e32 v4, 5, v0
	s_mov_b32 s3, exec_lo
	s_delay_alu instid0(VALU_DEP_2) | instskip(NEXT) | instid1(VALU_DEP_2)
	v_lshlrev_b64 v[1:2], 2, v[1:2]
	v_add_lshl_u32 v4, v4, v0, 2
	s_waitcnt lgkmcnt(0)
	s_delay_alu instid0(VALU_DEP_2) | instskip(NEXT) | instid1(VALU_DEP_3)
	v_add_co_u32 v1, vcc_lo, s4, v1
	v_add_co_ci_u32_e32 v2, vcc_lo, s5, v2, vcc_lo
	global_load_b32 v3, v[1:2], off
	s_waitcnt vmcnt(0)
	ds_store_b32 v4, v3
	s_waitcnt lgkmcnt(0)
	s_barrier
	buffer_gl0_inv
	v_cmpx_gt_u32_e32 32, v0
	s_cbranch_execz .LBB103_2
; %bb.1:
	v_and_b32_e32 v4, 0xfc, v0
	v_mbcnt_lo_u32_b32 v14, -1, 0
	s_delay_alu instid0(VALU_DEP_2) | instskip(NEXT) | instid1(VALU_DEP_2)
	v_lshl_or_b32 v12, v0, 5, v4
	v_add_nc_u32_e32 v17, -1, v14
	ds_load_2addr_b32 v[4:5], v12 offset1:1
	ds_load_2addr_b32 v[6:7], v12 offset0:2 offset1:3
	ds_load_2addr_b32 v[8:9], v12 offset0:4 offset1:5
	;; [unrolled: 1-line block ×3, first 2 shown]
	s_waitcnt lgkmcnt(3)
	v_add_nc_u32_e32 v13, v5, v4
	s_waitcnt lgkmcnt(2)
	s_delay_alu instid0(VALU_DEP_1) | instskip(SKIP_1) | instid1(VALU_DEP_1)
	v_add3_u32 v13, v13, v6, v7
	s_waitcnt lgkmcnt(1)
	v_add3_u32 v13, v13, v8, v9
	s_waitcnt lgkmcnt(0)
	s_delay_alu instid0(VALU_DEP_1) | instskip(NEXT) | instid1(VALU_DEP_1)
	v_add3_u32 v13, v13, v10, v11
	v_mov_b32_dpp v16, v13 row_shr:1 row_mask:0xf bank_mask:0xf
	v_and_b32_e32 v15, 15, v14
	s_delay_alu instid0(VALU_DEP_1) | instskip(NEXT) | instid1(VALU_DEP_3)
	v_cmp_ne_u32_e32 vcc_lo, 0, v15
	v_cndmask_b32_e32 v16, 0, v16, vcc_lo
	v_cmp_lt_u32_e32 vcc_lo, 1, v15
	s_delay_alu instid0(VALU_DEP_2) | instskip(NEXT) | instid1(VALU_DEP_1)
	v_add_nc_u32_e32 v13, v16, v13
	v_mov_b32_dpp v16, v13 row_shr:2 row_mask:0xf bank_mask:0xf
	s_delay_alu instid0(VALU_DEP_1) | instskip(SKIP_1) | instid1(VALU_DEP_2)
	v_cndmask_b32_e32 v16, 0, v16, vcc_lo
	v_cmp_lt_u32_e32 vcc_lo, 3, v15
	v_add_nc_u32_e32 v13, v13, v16
	s_delay_alu instid0(VALU_DEP_1) | instskip(NEXT) | instid1(VALU_DEP_1)
	v_mov_b32_dpp v16, v13 row_shr:4 row_mask:0xf bank_mask:0xf
	v_cndmask_b32_e32 v16, 0, v16, vcc_lo
	v_cmp_lt_u32_e32 vcc_lo, 7, v15
	s_delay_alu instid0(VALU_DEP_2) | instskip(NEXT) | instid1(VALU_DEP_1)
	v_add_nc_u32_e32 v13, v13, v16
	v_mov_b32_dpp v16, v13 row_shr:8 row_mask:0xf bank_mask:0xf
	s_delay_alu instid0(VALU_DEP_1) | instskip(SKIP_3) | instid1(VALU_DEP_4)
	v_cndmask_b32_e32 v15, 0, v16, vcc_lo
	v_cmp_gt_i32_e32 vcc_lo, 0, v17
	v_bfe_i32 v16, v14, 4, 1
	v_cndmask_b32_e32 v14, v17, v14, vcc_lo
	v_add_nc_u32_e32 v13, v13, v15
	v_cmp_eq_u32_e32 vcc_lo, 0, v0
	s_delay_alu instid0(VALU_DEP_3) | instskip(SKIP_3) | instid1(VALU_DEP_1)
	v_lshlrev_b32_e32 v14, 2, v14
	ds_swizzle_b32 v15, v13 offset:swizzle(BROADCAST,32,15)
	s_waitcnt lgkmcnt(0)
	v_and_b32_e32 v15, v16, v15
	v_add_nc_u32_e32 v13, v13, v15
	ds_bpermute_b32 v13, v14, v13
	s_waitcnt lgkmcnt(0)
	v_add_nc_u32_e32 v4, v13, v4
	s_delay_alu instid0(VALU_DEP_1) | instskip(NEXT) | instid1(VALU_DEP_1)
	v_cndmask_b32_e32 v3, v4, v3, vcc_lo
	v_add_nc_u32_e32 v4, v3, v5
	s_delay_alu instid0(VALU_DEP_1) | instskip(NEXT) | instid1(VALU_DEP_1)
	v_add_nc_u32_e32 v5, v4, v6
	v_add_nc_u32_e32 v6, v5, v7
	s_delay_alu instid0(VALU_DEP_1) | instskip(NEXT) | instid1(VALU_DEP_1)
	v_add_nc_u32_e32 v7, v6, v8
	;; [unrolled: 3-line block ×3, first 2 shown]
	v_add_nc_u32_e32 v10, v9, v11
	ds_store_2addr_b32 v12, v3, v4 offset1:1
	ds_store_2addr_b32 v12, v5, v6 offset0:2 offset1:3
	ds_store_2addr_b32 v12, v7, v8 offset0:4 offset1:5
	;; [unrolled: 1-line block ×3, first 2 shown]
.LBB103_2:
	s_or_b32 exec_lo, exec_lo, s3
	s_load_b32 s1, s[0:1], 0x10
	v_cmp_eq_u32_e32 vcc_lo, 0, v0
	s_mov_b32 s3, exec_lo
	s_waitcnt lgkmcnt(0)
	s_barrier
	buffer_gl0_inv
	v_mov_b32_e32 v3, s1
	v_cmpx_ne_u32_e32 0, v0
	s_cbranch_execnz .LBB103_5
; %bb.3:
	s_or_b32 exec_lo, exec_lo, s3
	global_store_b32 v[1:2], v3, off
	s_and_saveexec_b32 s0, vcc_lo
	s_cbranch_execnz .LBB103_6
.LBB103_4:
	s_nop 0
	s_sendmsg sendmsg(MSG_DEALLOC_VGPRS)
	s_endpgm
.LBB103_5:
	v_add_nc_u32_e32 v0, -1, v0
	s_delay_alu instid0(VALU_DEP_1) | instskip(NEXT) | instid1(VALU_DEP_1)
	v_lshrrev_b32_e32 v3, 5, v0
	v_add_lshl_u32 v0, v3, v0, 2
	ds_load_b32 v0, v0
	s_waitcnt lgkmcnt(0)
	v_add_nc_u32_e32 v3, s1, v0
	s_or_b32 exec_lo, exec_lo, s3
	global_store_b32 v[1:2], v3, off
	s_and_saveexec_b32 s0, vcc_lo
	s_cbranch_execz .LBB103_4
.LBB103_6:
	v_mov_b32_e32 v0, 0
	s_mov_b32 s3, 0
	s_delay_alu instid0(SALU_CYCLE_1) | instskip(NEXT) | instid1(SALU_CYCLE_1)
	s_lshl_b64 s[0:1], s[2:3], 2
	s_add_u32 s0, s6, s0
	ds_load_b32 v1, v0 offset:1048
	s_addc_u32 s1, s7, s1
	s_waitcnt lgkmcnt(0)
	global_store_b32 v0, v1, s[0:1]
	s_nop 0
	s_sendmsg sendmsg(MSG_DEALLOC_VGPRS)
	s_endpgm
	.section	.rodata,"a",@progbits
	.p2align	6, 0x0
	.amdhsa_kernel _Z28exclusive_scan_reduce_kernelILj256ELN6hipcub18BlockScanAlgorithmE1EiEvPT1_S3_S2_
		.amdhsa_group_segment_fixed_size 1056
		.amdhsa_private_segment_fixed_size 0
		.amdhsa_kernarg_size 20
		.amdhsa_user_sgpr_count 15
		.amdhsa_user_sgpr_dispatch_ptr 0
		.amdhsa_user_sgpr_queue_ptr 0
		.amdhsa_user_sgpr_kernarg_segment_ptr 1
		.amdhsa_user_sgpr_dispatch_id 0
		.amdhsa_user_sgpr_private_segment_size 0
		.amdhsa_wavefront_size32 1
		.amdhsa_uses_dynamic_stack 0
		.amdhsa_enable_private_segment 0
		.amdhsa_system_sgpr_workgroup_id_x 1
		.amdhsa_system_sgpr_workgroup_id_y 0
		.amdhsa_system_sgpr_workgroup_id_z 0
		.amdhsa_system_sgpr_workgroup_info 0
		.amdhsa_system_vgpr_workitem_id 0
		.amdhsa_next_free_vgpr 18
		.amdhsa_next_free_sgpr 16
		.amdhsa_reserve_vcc 1
		.amdhsa_float_round_mode_32 0
		.amdhsa_float_round_mode_16_64 0
		.amdhsa_float_denorm_mode_32 3
		.amdhsa_float_denorm_mode_16_64 3
		.amdhsa_dx10_clamp 1
		.amdhsa_ieee_mode 1
		.amdhsa_fp16_overflow 0
		.amdhsa_workgroup_processor_mode 1
		.amdhsa_memory_ordered 1
		.amdhsa_forward_progress 0
		.amdhsa_shared_vgpr_count 0
		.amdhsa_exception_fp_ieee_invalid_op 0
		.amdhsa_exception_fp_denorm_src 0
		.amdhsa_exception_fp_ieee_div_zero 0
		.amdhsa_exception_fp_ieee_overflow 0
		.amdhsa_exception_fp_ieee_underflow 0
		.amdhsa_exception_fp_ieee_inexact 0
		.amdhsa_exception_int_div_zero 0
	.end_amdhsa_kernel
	.section	.text._Z28exclusive_scan_reduce_kernelILj256ELN6hipcub18BlockScanAlgorithmE1EiEvPT1_S3_S2_,"axG",@progbits,_Z28exclusive_scan_reduce_kernelILj256ELN6hipcub18BlockScanAlgorithmE1EiEvPT1_S3_S2_,comdat
.Lfunc_end103:
	.size	_Z28exclusive_scan_reduce_kernelILj256ELN6hipcub18BlockScanAlgorithmE1EiEvPT1_S3_S2_, .Lfunc_end103-_Z28exclusive_scan_reduce_kernelILj256ELN6hipcub18BlockScanAlgorithmE1EiEvPT1_S3_S2_
                                        ; -- End function
	.section	.AMDGPU.csdata,"",@progbits
; Kernel info:
; codeLenInByte = 676
; NumSgprs: 18
; NumVgprs: 18
; ScratchSize: 0
; MemoryBound: 0
; FloatMode: 240
; IeeeMode: 1
; LDSByteSize: 1056 bytes/workgroup (compile time only)
; SGPRBlocks: 2
; VGPRBlocks: 2
; NumSGPRsForWavesPerEU: 18
; NumVGPRsForWavesPerEU: 18
; Occupancy: 16
; WaveLimiterHint : 0
; COMPUTE_PGM_RSRC2:SCRATCH_EN: 0
; COMPUTE_PGM_RSRC2:USER_SGPR: 15
; COMPUTE_PGM_RSRC2:TRAP_HANDLER: 0
; COMPUTE_PGM_RSRC2:TGID_X_EN: 1
; COMPUTE_PGM_RSRC2:TGID_Y_EN: 0
; COMPUTE_PGM_RSRC2:TGID_Z_EN: 0
; COMPUTE_PGM_RSRC2:TIDIG_COMP_CNT: 0
	.section	.text._Z28exclusive_scan_reduce_kernelILj128ELN6hipcub18BlockScanAlgorithmE1EiEvPT1_S3_S2_,"axG",@progbits,_Z28exclusive_scan_reduce_kernelILj128ELN6hipcub18BlockScanAlgorithmE1EiEvPT1_S3_S2_,comdat
	.protected	_Z28exclusive_scan_reduce_kernelILj128ELN6hipcub18BlockScanAlgorithmE1EiEvPT1_S3_S2_ ; -- Begin function _Z28exclusive_scan_reduce_kernelILj128ELN6hipcub18BlockScanAlgorithmE1EiEvPT1_S3_S2_
	.globl	_Z28exclusive_scan_reduce_kernelILj128ELN6hipcub18BlockScanAlgorithmE1EiEvPT1_S3_S2_
	.p2align	8
	.type	_Z28exclusive_scan_reduce_kernelILj128ELN6hipcub18BlockScanAlgorithmE1EiEvPT1_S3_S2_,@function
_Z28exclusive_scan_reduce_kernelILj128ELN6hipcub18BlockScanAlgorithmE1EiEvPT1_S3_S2_: ; @_Z28exclusive_scan_reduce_kernelILj128ELN6hipcub18BlockScanAlgorithmE1EiEvPT1_S3_S2_
; %bb.0:
	s_load_b128 s[4:7], s[0:1], 0x0
	s_mov_b32 s2, s15
	v_mov_b32_e32 v2, 0
	v_lshl_or_b32 v1, s2, 7, v0
	v_lshrrev_b32_e32 v4, 5, v0
	s_mov_b32 s3, exec_lo
	s_delay_alu instid0(VALU_DEP_2) | instskip(NEXT) | instid1(VALU_DEP_2)
	v_lshlrev_b64 v[1:2], 2, v[1:2]
	v_add_lshl_u32 v4, v4, v0, 2
	s_waitcnt lgkmcnt(0)
	s_delay_alu instid0(VALU_DEP_2) | instskip(NEXT) | instid1(VALU_DEP_3)
	v_add_co_u32 v1, vcc_lo, s4, v1
	v_add_co_ci_u32_e32 v2, vcc_lo, s5, v2, vcc_lo
	global_load_b32 v3, v[1:2], off
	s_waitcnt vmcnt(0)
	ds_store_b32 v4, v3
	s_waitcnt lgkmcnt(0)
	s_barrier
	buffer_gl0_inv
	v_cmpx_gt_u32_e32 32, v0
	s_cbranch_execz .LBB104_2
; %bb.1:
	v_lshrrev_b32_e32 v4, 1, v0
	v_mbcnt_lo_u32_b32 v10, -1, 0
	s_delay_alu instid0(VALU_DEP_2) | instskip(NEXT) | instid1(VALU_DEP_2)
	v_and_b32_e32 v4, 60, v4
	v_add_nc_u32_e32 v13, -1, v10
	s_delay_alu instid0(VALU_DEP_2)
	v_lshl_or_b32 v8, v0, 4, v4
	ds_load_2addr_b32 v[4:5], v8 offset1:1
	ds_load_2addr_b32 v[6:7], v8 offset0:2 offset1:3
	s_waitcnt lgkmcnt(1)
	v_add_nc_u32_e32 v9, v5, v4
	s_waitcnt lgkmcnt(0)
	s_delay_alu instid0(VALU_DEP_1) | instskip(NEXT) | instid1(VALU_DEP_1)
	v_add3_u32 v9, v9, v6, v7
	v_mov_b32_dpp v12, v9 row_shr:1 row_mask:0xf bank_mask:0xf
	v_and_b32_e32 v11, 15, v10
	s_delay_alu instid0(VALU_DEP_1) | instskip(NEXT) | instid1(VALU_DEP_3)
	v_cmp_ne_u32_e32 vcc_lo, 0, v11
	v_cndmask_b32_e32 v12, 0, v12, vcc_lo
	v_cmp_lt_u32_e32 vcc_lo, 1, v11
	s_delay_alu instid0(VALU_DEP_2) | instskip(NEXT) | instid1(VALU_DEP_1)
	v_add_nc_u32_e32 v9, v12, v9
	v_mov_b32_dpp v12, v9 row_shr:2 row_mask:0xf bank_mask:0xf
	s_delay_alu instid0(VALU_DEP_1) | instskip(SKIP_1) | instid1(VALU_DEP_2)
	v_cndmask_b32_e32 v12, 0, v12, vcc_lo
	v_cmp_lt_u32_e32 vcc_lo, 3, v11
	v_add_nc_u32_e32 v9, v9, v12
	s_delay_alu instid0(VALU_DEP_1) | instskip(NEXT) | instid1(VALU_DEP_1)
	v_mov_b32_dpp v12, v9 row_shr:4 row_mask:0xf bank_mask:0xf
	v_cndmask_b32_e32 v12, 0, v12, vcc_lo
	v_cmp_lt_u32_e32 vcc_lo, 7, v11
	s_delay_alu instid0(VALU_DEP_2) | instskip(NEXT) | instid1(VALU_DEP_1)
	v_add_nc_u32_e32 v9, v9, v12
	v_mov_b32_dpp v12, v9 row_shr:8 row_mask:0xf bank_mask:0xf
	s_delay_alu instid0(VALU_DEP_1) | instskip(SKIP_3) | instid1(VALU_DEP_4)
	v_cndmask_b32_e32 v11, 0, v12, vcc_lo
	v_cmp_gt_i32_e32 vcc_lo, 0, v13
	v_bfe_i32 v12, v10, 4, 1
	v_cndmask_b32_e32 v10, v13, v10, vcc_lo
	v_add_nc_u32_e32 v9, v9, v11
	v_cmp_eq_u32_e32 vcc_lo, 0, v0
	s_delay_alu instid0(VALU_DEP_3) | instskip(SKIP_3) | instid1(VALU_DEP_1)
	v_lshlrev_b32_e32 v10, 2, v10
	ds_swizzle_b32 v11, v9 offset:swizzle(BROADCAST,32,15)
	s_waitcnt lgkmcnt(0)
	v_and_b32_e32 v11, v12, v11
	v_add_nc_u32_e32 v9, v9, v11
	ds_bpermute_b32 v9, v10, v9
	s_waitcnt lgkmcnt(0)
	v_add_nc_u32_e32 v4, v9, v4
	s_delay_alu instid0(VALU_DEP_1) | instskip(NEXT) | instid1(VALU_DEP_1)
	v_cndmask_b32_e32 v3, v4, v3, vcc_lo
	v_add_nc_u32_e32 v4, v3, v5
	s_delay_alu instid0(VALU_DEP_1) | instskip(NEXT) | instid1(VALU_DEP_1)
	v_add_nc_u32_e32 v5, v4, v6
	v_add_nc_u32_e32 v6, v5, v7
	ds_store_2addr_b32 v8, v3, v4 offset1:1
	ds_store_2addr_b32 v8, v5, v6 offset0:2 offset1:3
.LBB104_2:
	s_or_b32 exec_lo, exec_lo, s3
	s_load_b32 s1, s[0:1], 0x10
	v_cmp_eq_u32_e32 vcc_lo, 0, v0
	s_mov_b32 s3, exec_lo
	s_waitcnt lgkmcnt(0)
	s_barrier
	buffer_gl0_inv
	v_mov_b32_e32 v3, s1
	v_cmpx_ne_u32_e32 0, v0
	s_cbranch_execnz .LBB104_5
; %bb.3:
	s_or_b32 exec_lo, exec_lo, s3
	global_store_b32 v[1:2], v3, off
	s_and_saveexec_b32 s0, vcc_lo
	s_cbranch_execnz .LBB104_6
.LBB104_4:
	s_nop 0
	s_sendmsg sendmsg(MSG_DEALLOC_VGPRS)
	s_endpgm
.LBB104_5:
	v_add_nc_u32_e32 v0, -1, v0
	s_delay_alu instid0(VALU_DEP_1) | instskip(NEXT) | instid1(VALU_DEP_1)
	v_lshrrev_b32_e32 v3, 5, v0
	v_add_lshl_u32 v0, v3, v0, 2
	ds_load_b32 v0, v0
	s_waitcnt lgkmcnt(0)
	v_add_nc_u32_e32 v3, s1, v0
	s_or_b32 exec_lo, exec_lo, s3
	global_store_b32 v[1:2], v3, off
	s_and_saveexec_b32 s0, vcc_lo
	s_cbranch_execz .LBB104_4
.LBB104_6:
	v_mov_b32_e32 v0, 0
	s_mov_b32 s3, 0
	s_delay_alu instid0(SALU_CYCLE_1) | instskip(NEXT) | instid1(SALU_CYCLE_1)
	s_lshl_b64 s[0:1], s[2:3], 2
	s_add_u32 s0, s6, s0
	ds_load_b32 v1, v0 offset:520
	s_addc_u32 s1, s7, s1
	s_waitcnt lgkmcnt(0)
	global_store_b32 v0, v1, s[0:1]
	s_nop 0
	s_sendmsg sendmsg(MSG_DEALLOC_VGPRS)
	s_endpgm
	.section	.rodata,"a",@progbits
	.p2align	6, 0x0
	.amdhsa_kernel _Z28exclusive_scan_reduce_kernelILj128ELN6hipcub18BlockScanAlgorithmE1EiEvPT1_S3_S2_
		.amdhsa_group_segment_fixed_size 528
		.amdhsa_private_segment_fixed_size 0
		.amdhsa_kernarg_size 20
		.amdhsa_user_sgpr_count 15
		.amdhsa_user_sgpr_dispatch_ptr 0
		.amdhsa_user_sgpr_queue_ptr 0
		.amdhsa_user_sgpr_kernarg_segment_ptr 1
		.amdhsa_user_sgpr_dispatch_id 0
		.amdhsa_user_sgpr_private_segment_size 0
		.amdhsa_wavefront_size32 1
		.amdhsa_uses_dynamic_stack 0
		.amdhsa_enable_private_segment 0
		.amdhsa_system_sgpr_workgroup_id_x 1
		.amdhsa_system_sgpr_workgroup_id_y 0
		.amdhsa_system_sgpr_workgroup_id_z 0
		.amdhsa_system_sgpr_workgroup_info 0
		.amdhsa_system_vgpr_workitem_id 0
		.amdhsa_next_free_vgpr 14
		.amdhsa_next_free_sgpr 16
		.amdhsa_reserve_vcc 1
		.amdhsa_float_round_mode_32 0
		.amdhsa_float_round_mode_16_64 0
		.amdhsa_float_denorm_mode_32 3
		.amdhsa_float_denorm_mode_16_64 3
		.amdhsa_dx10_clamp 1
		.amdhsa_ieee_mode 1
		.amdhsa_fp16_overflow 0
		.amdhsa_workgroup_processor_mode 1
		.amdhsa_memory_ordered 1
		.amdhsa_forward_progress 0
		.amdhsa_shared_vgpr_count 0
		.amdhsa_exception_fp_ieee_invalid_op 0
		.amdhsa_exception_fp_denorm_src 0
		.amdhsa_exception_fp_ieee_div_zero 0
		.amdhsa_exception_fp_ieee_overflow 0
		.amdhsa_exception_fp_ieee_underflow 0
		.amdhsa_exception_fp_ieee_inexact 0
		.amdhsa_exception_int_div_zero 0
	.end_amdhsa_kernel
	.section	.text._Z28exclusive_scan_reduce_kernelILj128ELN6hipcub18BlockScanAlgorithmE1EiEvPT1_S3_S2_,"axG",@progbits,_Z28exclusive_scan_reduce_kernelILj128ELN6hipcub18BlockScanAlgorithmE1EiEvPT1_S3_S2_,comdat
.Lfunc_end104:
	.size	_Z28exclusive_scan_reduce_kernelILj128ELN6hipcub18BlockScanAlgorithmE1EiEvPT1_S3_S2_, .Lfunc_end104-_Z28exclusive_scan_reduce_kernelILj128ELN6hipcub18BlockScanAlgorithmE1EiEvPT1_S3_S2_
                                        ; -- End function
	.section	.AMDGPU.csdata,"",@progbits
; Kernel info:
; codeLenInByte = 596
; NumSgprs: 18
; NumVgprs: 14
; ScratchSize: 0
; MemoryBound: 0
; FloatMode: 240
; IeeeMode: 1
; LDSByteSize: 528 bytes/workgroup (compile time only)
; SGPRBlocks: 2
; VGPRBlocks: 1
; NumSGPRsForWavesPerEU: 18
; NumVGPRsForWavesPerEU: 14
; Occupancy: 16
; WaveLimiterHint : 0
; COMPUTE_PGM_RSRC2:SCRATCH_EN: 0
; COMPUTE_PGM_RSRC2:USER_SGPR: 15
; COMPUTE_PGM_RSRC2:TRAP_HANDLER: 0
; COMPUTE_PGM_RSRC2:TGID_X_EN: 1
; COMPUTE_PGM_RSRC2:TGID_Y_EN: 0
; COMPUTE_PGM_RSRC2:TGID_Z_EN: 0
; COMPUTE_PGM_RSRC2:TIDIG_COMP_CNT: 0
	.section	.text._Z28exclusive_scan_reduce_kernelILj64ELN6hipcub18BlockScanAlgorithmE1EiEvPT1_S3_S2_,"axG",@progbits,_Z28exclusive_scan_reduce_kernelILj64ELN6hipcub18BlockScanAlgorithmE1EiEvPT1_S3_S2_,comdat
	.protected	_Z28exclusive_scan_reduce_kernelILj64ELN6hipcub18BlockScanAlgorithmE1EiEvPT1_S3_S2_ ; -- Begin function _Z28exclusive_scan_reduce_kernelILj64ELN6hipcub18BlockScanAlgorithmE1EiEvPT1_S3_S2_
	.globl	_Z28exclusive_scan_reduce_kernelILj64ELN6hipcub18BlockScanAlgorithmE1EiEvPT1_S3_S2_
	.p2align	8
	.type	_Z28exclusive_scan_reduce_kernelILj64ELN6hipcub18BlockScanAlgorithmE1EiEvPT1_S3_S2_,@function
_Z28exclusive_scan_reduce_kernelILj64ELN6hipcub18BlockScanAlgorithmE1EiEvPT1_S3_S2_: ; @_Z28exclusive_scan_reduce_kernelILj64ELN6hipcub18BlockScanAlgorithmE1EiEvPT1_S3_S2_
; %bb.0:
	s_load_b128 s[4:7], s[0:1], 0x0
	s_mov_b32 s2, s15
	v_mov_b32_e32 v2, 0
	v_lshl_or_b32 v1, s2, 6, v0
	v_lshrrev_b32_e32 v4, 5, v0
	s_mov_b32 s3, exec_lo
	s_delay_alu instid0(VALU_DEP_2) | instskip(NEXT) | instid1(VALU_DEP_2)
	v_lshlrev_b64 v[1:2], 2, v[1:2]
	v_add_lshl_u32 v4, v4, v0, 2
	s_waitcnt lgkmcnt(0)
	s_delay_alu instid0(VALU_DEP_2) | instskip(NEXT) | instid1(VALU_DEP_3)
	v_add_co_u32 v1, vcc_lo, s4, v1
	v_add_co_ci_u32_e32 v2, vcc_lo, s5, v2, vcc_lo
	global_load_b32 v3, v[1:2], off
	s_waitcnt vmcnt(0)
	ds_store_b32 v4, v3
	s_waitcnt lgkmcnt(0)
	s_barrier
	buffer_gl0_inv
	v_cmpx_gt_u32_e32 32, v0
	s_cbranch_execz .LBB105_2
; %bb.1:
	v_lshrrev_b32_e32 v4, 2, v0
	v_mbcnt_lo_u32_b32 v7, -1, 0
	s_delay_alu instid0(VALU_DEP_2) | instskip(NEXT) | instid1(VALU_DEP_2)
	v_and_b32_e32 v4, 12, v4
	v_add_nc_u32_e32 v11, -1, v7
	s_delay_alu instid0(VALU_DEP_2) | instskip(SKIP_3) | instid1(VALU_DEP_1)
	v_lshl_or_b32 v6, v0, 3, v4
	ds_load_2addr_b32 v[4:5], v6 offset1:1
	s_waitcnt lgkmcnt(0)
	v_add_nc_u32_e32 v8, v5, v4
	v_mov_b32_dpp v10, v8 row_shr:1 row_mask:0xf bank_mask:0xf
	v_and_b32_e32 v9, 15, v7
	s_delay_alu instid0(VALU_DEP_1) | instskip(NEXT) | instid1(VALU_DEP_3)
	v_cmp_ne_u32_e32 vcc_lo, 0, v9
	v_cndmask_b32_e32 v10, 0, v10, vcc_lo
	v_cmp_lt_u32_e32 vcc_lo, 1, v9
	s_delay_alu instid0(VALU_DEP_2) | instskip(NEXT) | instid1(VALU_DEP_1)
	v_add_nc_u32_e32 v8, v10, v8
	v_mov_b32_dpp v10, v8 row_shr:2 row_mask:0xf bank_mask:0xf
	s_delay_alu instid0(VALU_DEP_1) | instskip(SKIP_1) | instid1(VALU_DEP_2)
	v_cndmask_b32_e32 v10, 0, v10, vcc_lo
	v_cmp_lt_u32_e32 vcc_lo, 3, v9
	v_add_nc_u32_e32 v8, v8, v10
	s_delay_alu instid0(VALU_DEP_1) | instskip(NEXT) | instid1(VALU_DEP_1)
	v_mov_b32_dpp v10, v8 row_shr:4 row_mask:0xf bank_mask:0xf
	v_cndmask_b32_e32 v10, 0, v10, vcc_lo
	v_cmp_lt_u32_e32 vcc_lo, 7, v9
	s_delay_alu instid0(VALU_DEP_2) | instskip(NEXT) | instid1(VALU_DEP_1)
	v_add_nc_u32_e32 v8, v8, v10
	v_mov_b32_dpp v10, v8 row_shr:8 row_mask:0xf bank_mask:0xf
	s_delay_alu instid0(VALU_DEP_1) | instskip(SKIP_2) | instid1(VALU_DEP_3)
	v_cndmask_b32_e32 v9, 0, v10, vcc_lo
	v_bfe_i32 v10, v7, 4, 1
	v_cmp_gt_i32_e32 vcc_lo, 0, v11
	v_dual_cndmask_b32 v7, v11, v7 :: v_dual_add_nc_u32 v8, v8, v9
	v_cmp_eq_u32_e32 vcc_lo, 0, v0
	ds_swizzle_b32 v9, v8 offset:swizzle(BROADCAST,32,15)
	v_lshlrev_b32_e32 v7, 2, v7
	s_waitcnt lgkmcnt(0)
	v_and_b32_e32 v9, v10, v9
	s_delay_alu instid0(VALU_DEP_1) | instskip(SKIP_3) | instid1(VALU_DEP_1)
	v_add_nc_u32_e32 v8, v8, v9
	ds_bpermute_b32 v7, v7, v8
	s_waitcnt lgkmcnt(0)
	v_add_nc_u32_e32 v4, v7, v4
	v_cndmask_b32_e32 v3, v4, v3, vcc_lo
	s_delay_alu instid0(VALU_DEP_1)
	v_add_nc_u32_e32 v4, v3, v5
	ds_store_2addr_b32 v6, v3, v4 offset1:1
.LBB105_2:
	s_or_b32 exec_lo, exec_lo, s3
	s_load_b32 s1, s[0:1], 0x10
	v_cmp_eq_u32_e32 vcc_lo, 0, v0
	s_mov_b32 s3, exec_lo
	s_waitcnt lgkmcnt(0)
	s_barrier
	buffer_gl0_inv
	v_mov_b32_e32 v3, s1
	v_cmpx_ne_u32_e32 0, v0
	s_cbranch_execnz .LBB105_5
; %bb.3:
	s_or_b32 exec_lo, exec_lo, s3
	global_store_b32 v[1:2], v3, off
	s_and_saveexec_b32 s0, vcc_lo
	s_cbranch_execnz .LBB105_6
.LBB105_4:
	s_nop 0
	s_sendmsg sendmsg(MSG_DEALLOC_VGPRS)
	s_endpgm
.LBB105_5:
	v_add_nc_u32_e32 v0, -1, v0
	s_delay_alu instid0(VALU_DEP_1) | instskip(NEXT) | instid1(VALU_DEP_1)
	v_lshrrev_b32_e32 v3, 5, v0
	v_add_lshl_u32 v0, v3, v0, 2
	ds_load_b32 v0, v0
	s_waitcnt lgkmcnt(0)
	v_add_nc_u32_e32 v3, s1, v0
	s_or_b32 exec_lo, exec_lo, s3
	global_store_b32 v[1:2], v3, off
	s_and_saveexec_b32 s0, vcc_lo
	s_cbranch_execz .LBB105_4
.LBB105_6:
	v_mov_b32_e32 v0, 0
	s_mov_b32 s3, 0
	s_delay_alu instid0(SALU_CYCLE_1) | instskip(NEXT) | instid1(SALU_CYCLE_1)
	s_lshl_b64 s[0:1], s[2:3], 2
	s_add_u32 s0, s6, s0
	ds_load_b32 v1, v0 offset:256
	s_addc_u32 s1, s7, s1
	s_waitcnt lgkmcnt(0)
	global_store_b32 v0, v1, s[0:1]
	s_nop 0
	s_sendmsg sendmsg(MSG_DEALLOC_VGPRS)
	s_endpgm
	.section	.rodata,"a",@progbits
	.p2align	6, 0x0
	.amdhsa_kernel _Z28exclusive_scan_reduce_kernelILj64ELN6hipcub18BlockScanAlgorithmE1EiEvPT1_S3_S2_
		.amdhsa_group_segment_fixed_size 264
		.amdhsa_private_segment_fixed_size 0
		.amdhsa_kernarg_size 20
		.amdhsa_user_sgpr_count 15
		.amdhsa_user_sgpr_dispatch_ptr 0
		.amdhsa_user_sgpr_queue_ptr 0
		.amdhsa_user_sgpr_kernarg_segment_ptr 1
		.amdhsa_user_sgpr_dispatch_id 0
		.amdhsa_user_sgpr_private_segment_size 0
		.amdhsa_wavefront_size32 1
		.amdhsa_uses_dynamic_stack 0
		.amdhsa_enable_private_segment 0
		.amdhsa_system_sgpr_workgroup_id_x 1
		.amdhsa_system_sgpr_workgroup_id_y 0
		.amdhsa_system_sgpr_workgroup_id_z 0
		.amdhsa_system_sgpr_workgroup_info 0
		.amdhsa_system_vgpr_workitem_id 0
		.amdhsa_next_free_vgpr 12
		.amdhsa_next_free_sgpr 16
		.amdhsa_reserve_vcc 1
		.amdhsa_float_round_mode_32 0
		.amdhsa_float_round_mode_16_64 0
		.amdhsa_float_denorm_mode_32 3
		.amdhsa_float_denorm_mode_16_64 3
		.amdhsa_dx10_clamp 1
		.amdhsa_ieee_mode 1
		.amdhsa_fp16_overflow 0
		.amdhsa_workgroup_processor_mode 1
		.amdhsa_memory_ordered 1
		.amdhsa_forward_progress 0
		.amdhsa_shared_vgpr_count 0
		.amdhsa_exception_fp_ieee_invalid_op 0
		.amdhsa_exception_fp_denorm_src 0
		.amdhsa_exception_fp_ieee_div_zero 0
		.amdhsa_exception_fp_ieee_overflow 0
		.amdhsa_exception_fp_ieee_underflow 0
		.amdhsa_exception_fp_ieee_inexact 0
		.amdhsa_exception_int_div_zero 0
	.end_amdhsa_kernel
	.section	.text._Z28exclusive_scan_reduce_kernelILj64ELN6hipcub18BlockScanAlgorithmE1EiEvPT1_S3_S2_,"axG",@progbits,_Z28exclusive_scan_reduce_kernelILj64ELN6hipcub18BlockScanAlgorithmE1EiEvPT1_S3_S2_,comdat
.Lfunc_end105:
	.size	_Z28exclusive_scan_reduce_kernelILj64ELN6hipcub18BlockScanAlgorithmE1EiEvPT1_S3_S2_, .Lfunc_end105-_Z28exclusive_scan_reduce_kernelILj64ELN6hipcub18BlockScanAlgorithmE1EiEvPT1_S3_S2_
                                        ; -- End function
	.section	.AMDGPU.csdata,"",@progbits
; Kernel info:
; codeLenInByte = 552
; NumSgprs: 18
; NumVgprs: 12
; ScratchSize: 0
; MemoryBound: 0
; FloatMode: 240
; IeeeMode: 1
; LDSByteSize: 264 bytes/workgroup (compile time only)
; SGPRBlocks: 2
; VGPRBlocks: 1
; NumSGPRsForWavesPerEU: 18
; NumVGPRsForWavesPerEU: 12
; Occupancy: 16
; WaveLimiterHint : 0
; COMPUTE_PGM_RSRC2:SCRATCH_EN: 0
; COMPUTE_PGM_RSRC2:USER_SGPR: 15
; COMPUTE_PGM_RSRC2:TRAP_HANDLER: 0
; COMPUTE_PGM_RSRC2:TGID_X_EN: 1
; COMPUTE_PGM_RSRC2:TGID_Y_EN: 0
; COMPUTE_PGM_RSRC2:TGID_Z_EN: 0
; COMPUTE_PGM_RSRC2:TIDIG_COMP_CNT: 0
	.section	.text._Z28exclusive_scan_reduce_kernelILj377ELN6hipcub18BlockScanAlgorithmE0ElEvPT1_S3_S2_,"axG",@progbits,_Z28exclusive_scan_reduce_kernelILj377ELN6hipcub18BlockScanAlgorithmE0ElEvPT1_S3_S2_,comdat
	.protected	_Z28exclusive_scan_reduce_kernelILj377ELN6hipcub18BlockScanAlgorithmE0ElEvPT1_S3_S2_ ; -- Begin function _Z28exclusive_scan_reduce_kernelILj377ELN6hipcub18BlockScanAlgorithmE0ElEvPT1_S3_S2_
	.globl	_Z28exclusive_scan_reduce_kernelILj377ELN6hipcub18BlockScanAlgorithmE0ElEvPT1_S3_S2_
	.p2align	8
	.type	_Z28exclusive_scan_reduce_kernelILj377ELN6hipcub18BlockScanAlgorithmE0ElEvPT1_S3_S2_,@function
_Z28exclusive_scan_reduce_kernelILj377ELN6hipcub18BlockScanAlgorithmE0ElEvPT1_S3_S2_: ; @_Z28exclusive_scan_reduce_kernelILj377ELN6hipcub18BlockScanAlgorithmE0ElEvPT1_S3_S2_
; %bb.0:
	s_load_b128 s[4:7], s[0:1], 0x0
	s_mov_b32 s8, s15
	v_mbcnt_lo_u32_b32 v7, -1, 0
	v_mad_u64_u32 v[1:2], null, 0x179, s8, v[0:1]
	v_mov_b32_e32 v2, 0
	s_delay_alu instid0(VALU_DEP_3) | instskip(NEXT) | instid1(VALU_DEP_2)
	v_and_b32_e32 v6, 15, v7
	v_lshlrev_b64 v[1:2], 3, v[1:2]
	s_waitcnt lgkmcnt(0)
	s_delay_alu instid0(VALU_DEP_1) | instskip(NEXT) | instid1(VALU_DEP_2)
	v_add_co_u32 v1, vcc_lo, s4, v1
	v_add_co_ci_u32_e32 v2, vcc_lo, s5, v2, vcc_lo
	v_cmp_ne_u32_e32 vcc_lo, 0, v6
	global_load_b64 v[3:4], v[1:2], off
	s_waitcnt vmcnt(0)
	v_mov_b32_e32 v5, v3
	v_mov_b32_dpp v9, v3 row_shr:1 row_mask:0xf bank_mask:0xf
	v_mov_b32_dpp v8, v4 row_shr:1 row_mask:0xf bank_mask:0xf
	s_and_saveexec_b32 s3, vcc_lo
; %bb.1:
	s_delay_alu instid0(VALU_DEP_2) | instskip(NEXT) | instid1(VALU_DEP_1)
	v_add_co_u32 v5, s2, v3, v9
	v_add_co_ci_u32_e64 v4, s2, 0, v4, s2
	s_delay_alu instid0(VALU_DEP_2) | instskip(NEXT) | instid1(VALU_DEP_1)
	v_add_co_u32 v3, s2, 0, v5
	v_add_co_ci_u32_e64 v4, s2, v8, v4, s2
; %bb.2:
	s_or_b32 exec_lo, exec_lo, s3
	v_mov_b32_dpp v9, v5 row_shr:2 row_mask:0xf bank_mask:0xf
	s_delay_alu instid0(VALU_DEP_2) | instskip(SKIP_1) | instid1(VALU_DEP_1)
	v_mov_b32_dpp v8, v4 row_shr:2 row_mask:0xf bank_mask:0xf
	v_cmp_lt_u32_e64 s2, 1, v6
	s_and_saveexec_b32 s4, s2
; %bb.3:
	s_delay_alu instid0(VALU_DEP_3) | instskip(NEXT) | instid1(VALU_DEP_1)
	v_add_co_u32 v5, s3, v3, v9
	v_add_co_ci_u32_e64 v4, s3, 0, v4, s3
	s_delay_alu instid0(VALU_DEP_2) | instskip(NEXT) | instid1(VALU_DEP_1)
	v_add_co_u32 v3, s3, 0, v5
	v_add_co_ci_u32_e64 v4, s3, v8, v4, s3
; %bb.4:
	s_or_b32 exec_lo, exec_lo, s4
	v_mov_b32_dpp v9, v5 row_shr:4 row_mask:0xf bank_mask:0xf
	s_delay_alu instid0(VALU_DEP_2) | instskip(SKIP_1) | instid1(VALU_DEP_1)
	v_mov_b32_dpp v8, v4 row_shr:4 row_mask:0xf bank_mask:0xf
	v_cmp_lt_u32_e64 s3, 3, v6
	s_and_saveexec_b32 s5, s3
; %bb.5:
	s_delay_alu instid0(VALU_DEP_3) | instskip(NEXT) | instid1(VALU_DEP_1)
	;; [unrolled: 14-line block ×3, first 2 shown]
	v_add_co_u32 v5, s5, v3, v9
	v_add_co_ci_u32_e64 v4, s5, 0, v4, s5
	s_delay_alu instid0(VALU_DEP_2) | instskip(NEXT) | instid1(VALU_DEP_1)
	v_add_co_u32 v3, s5, 0, v5
	v_add_co_ci_u32_e64 v4, s5, v8, v4, s5
; %bb.8:
	s_or_b32 exec_lo, exec_lo, s9
	ds_swizzle_b32 v6, v5 offset:swizzle(BROADCAST,32,15)
	ds_swizzle_b32 v5, v4 offset:swizzle(BROADCAST,32,15)
	v_and_b32_e32 v8, 16, v7
	s_mov_b32 s9, exec_lo
	s_delay_alu instid0(VALU_DEP_1)
	v_cmpx_ne_u32_e32 0, v8
	s_cbranch_execz .LBB106_10
; %bb.9:
	s_waitcnt lgkmcnt(1)
	v_add_co_u32 v3, s5, v3, v6
	s_delay_alu instid0(VALU_DEP_1) | instskip(NEXT) | instid1(VALU_DEP_2)
	v_add_co_ci_u32_e64 v4, s5, 0, v4, s5
	v_add_co_u32 v3, s5, v3, 0
	s_waitcnt lgkmcnt(0)
	s_delay_alu instid0(VALU_DEP_2)
	v_add_co_ci_u32_e64 v4, s5, v4, v5, s5
.LBB106_10:
	s_or_b32 exec_lo, exec_lo, s9
	s_load_b64 s[10:11], s[0:1], 0x10
	s_waitcnt lgkmcnt(0)
	v_and_b32_e32 v5, 0x1e0, v0
	v_lshrrev_b32_e32 v8, 5, v0
	s_mov_b32 s1, exec_lo
	s_delay_alu instid0(VALU_DEP_2) | instskip(NEXT) | instid1(VALU_DEP_1)
	v_min_u32_e32 v5, 0x159, v5
	v_add_nc_u32_e32 v5, 31, v5
	s_delay_alu instid0(VALU_DEP_1)
	v_cmpx_eq_u32_e64 v5, v0
	s_cbranch_execz .LBB106_12
; %bb.11:
	v_lshlrev_b32_e32 v5, 3, v8
	ds_store_b64 v5, v[3:4]
.LBB106_12:
	s_or_b32 exec_lo, exec_lo, s1
	s_delay_alu instid0(SALU_CYCLE_1)
	s_mov_b32 s1, exec_lo
	s_waitcnt lgkmcnt(0)
	s_barrier
	buffer_gl0_inv
	v_cmpx_gt_u32_e32 12, v0
	s_cbranch_execz .LBB106_22
; %bb.13:
	v_lshlrev_b32_e32 v9, 3, v0
	ds_load_b64 v[5:6], v9
	s_waitcnt lgkmcnt(0)
	v_mov_b32_e32 v10, v5
	v_mov_b32_dpp v12, v5 row_shr:1 row_mask:0xf bank_mask:0xf
	v_mov_b32_dpp v11, v6 row_shr:1 row_mask:0xf bank_mask:0xf
	s_and_saveexec_b32 s0, vcc_lo
; %bb.14:
	s_delay_alu instid0(VALU_DEP_2) | instskip(SKIP_1) | instid1(VALU_DEP_2)
	v_add_co_u32 v10, vcc_lo, v5, v12
	v_add_co_ci_u32_e32 v6, vcc_lo, 0, v6, vcc_lo
	v_add_co_u32 v5, vcc_lo, 0, v10
	s_delay_alu instid0(VALU_DEP_2)
	v_add_co_ci_u32_e32 v6, vcc_lo, v11, v6, vcc_lo
; %bb.15:
	s_or_b32 exec_lo, exec_lo, s0
	v_mov_b32_dpp v12, v10 row_shr:2 row_mask:0xf bank_mask:0xf
	s_delay_alu instid0(VALU_DEP_2)
	v_mov_b32_dpp v11, v6 row_shr:2 row_mask:0xf bank_mask:0xf
	s_and_saveexec_b32 s0, s2
; %bb.16:
	s_delay_alu instid0(VALU_DEP_2) | instskip(SKIP_1) | instid1(VALU_DEP_2)
	v_add_co_u32 v10, vcc_lo, v5, v12
	v_add_co_ci_u32_e32 v6, vcc_lo, 0, v6, vcc_lo
	v_add_co_u32 v5, vcc_lo, 0, v10
	s_delay_alu instid0(VALU_DEP_2)
	v_add_co_ci_u32_e32 v6, vcc_lo, v11, v6, vcc_lo
; %bb.17:
	s_or_b32 exec_lo, exec_lo, s0
	v_mov_b32_dpp v12, v10 row_shr:4 row_mask:0xf bank_mask:0xf
	s_delay_alu instid0(VALU_DEP_2)
	v_mov_b32_dpp v11, v6 row_shr:4 row_mask:0xf bank_mask:0xf
	s_and_saveexec_b32 s0, s3
	;; [unrolled: 13-line block ×3, first 2 shown]
; %bb.20:
	s_delay_alu instid0(VALU_DEP_2) | instskip(SKIP_1) | instid1(VALU_DEP_2)
	v_add_co_u32 v5, vcc_lo, v5, v11
	v_add_co_ci_u32_e32 v6, vcc_lo, 0, v6, vcc_lo
	v_add_co_u32 v5, vcc_lo, v5, 0
	s_delay_alu instid0(VALU_DEP_2)
	v_add_co_ci_u32_e32 v6, vcc_lo, v6, v10, vcc_lo
; %bb.21:
	s_or_b32 exec_lo, exec_lo, s0
	ds_store_b64 v9, v[5:6]
.LBB106_22:
	s_or_b32 exec_lo, exec_lo, s1
	v_dual_mov_b32 v5, s10 :: v_dual_mov_b32 v6, s11
	s_mov_b32 s0, exec_lo
	s_waitcnt lgkmcnt(0)
	s_barrier
	buffer_gl0_inv
	v_cmpx_lt_u32_e32 31, v0
	s_cbranch_execz .LBB106_24
; %bb.23:
	v_lshl_add_u32 v5, v8, 3, -8
	ds_load_b64 v[5:6], v5
	s_waitcnt lgkmcnt(0)
	v_add_co_u32 v5, vcc_lo, v5, s10
	v_add_co_ci_u32_e32 v6, vcc_lo, s11, v6, vcc_lo
.LBB106_24:
	s_or_b32 exec_lo, exec_lo, s0
	v_add_nc_u32_e32 v8, -1, v7
	s_mov_b32 s9, 0
	s_mov_b32 s0, exec_lo
	s_delay_alu instid0(VALU_DEP_1) | instskip(SKIP_3) | instid1(VALU_DEP_3)
	v_cmp_gt_i32_e32 vcc_lo, 0, v8
	v_cndmask_b32_e32 v8, v8, v7, vcc_lo
	v_add_co_u32 v3, vcc_lo, v5, v3
	v_add_co_ci_u32_e32 v4, vcc_lo, v6, v4, vcc_lo
	v_lshlrev_b32_e32 v8, 2, v8
	v_cmp_eq_u32_e32 vcc_lo, 0, v7
	ds_bpermute_b32 v4, v8, v4
	ds_bpermute_b32 v3, v8, v3
	s_waitcnt lgkmcnt(0)
	v_dual_cndmask_b32 v4, v4, v6 :: v_dual_cndmask_b32 v3, v3, v5
	global_store_b64 v[1:2], v[3:4], off
	v_cmpx_eq_u32_e32 0, v0
	s_cbranch_execz .LBB106_26
; %bb.25:
	v_mov_b32_e32 v2, 0
	s_lshl_b64 s[0:1], s[8:9], 3
	s_delay_alu instid0(SALU_CYCLE_1)
	s_add_u32 s0, s6, s0
	s_addc_u32 s1, s7, s1
	ds_load_b64 v[0:1], v2 offset:88
	s_waitcnt lgkmcnt(0)
	global_store_b64 v2, v[0:1], s[0:1]
.LBB106_26:
	s_nop 0
	s_sendmsg sendmsg(MSG_DEALLOC_VGPRS)
	s_endpgm
	.section	.rodata,"a",@progbits
	.p2align	6, 0x0
	.amdhsa_kernel _Z28exclusive_scan_reduce_kernelILj377ELN6hipcub18BlockScanAlgorithmE0ElEvPT1_S3_S2_
		.amdhsa_group_segment_fixed_size 96
		.amdhsa_private_segment_fixed_size 0
		.amdhsa_kernarg_size 24
		.amdhsa_user_sgpr_count 15
		.amdhsa_user_sgpr_dispatch_ptr 0
		.amdhsa_user_sgpr_queue_ptr 0
		.amdhsa_user_sgpr_kernarg_segment_ptr 1
		.amdhsa_user_sgpr_dispatch_id 0
		.amdhsa_user_sgpr_private_segment_size 0
		.amdhsa_wavefront_size32 1
		.amdhsa_uses_dynamic_stack 0
		.amdhsa_enable_private_segment 0
		.amdhsa_system_sgpr_workgroup_id_x 1
		.amdhsa_system_sgpr_workgroup_id_y 0
		.amdhsa_system_sgpr_workgroup_id_z 0
		.amdhsa_system_sgpr_workgroup_info 0
		.amdhsa_system_vgpr_workitem_id 0
		.amdhsa_next_free_vgpr 13
		.amdhsa_next_free_sgpr 16
		.amdhsa_reserve_vcc 1
		.amdhsa_float_round_mode_32 0
		.amdhsa_float_round_mode_16_64 0
		.amdhsa_float_denorm_mode_32 3
		.amdhsa_float_denorm_mode_16_64 3
		.amdhsa_dx10_clamp 1
		.amdhsa_ieee_mode 1
		.amdhsa_fp16_overflow 0
		.amdhsa_workgroup_processor_mode 1
		.amdhsa_memory_ordered 1
		.amdhsa_forward_progress 0
		.amdhsa_shared_vgpr_count 0
		.amdhsa_exception_fp_ieee_invalid_op 0
		.amdhsa_exception_fp_denorm_src 0
		.amdhsa_exception_fp_ieee_div_zero 0
		.amdhsa_exception_fp_ieee_overflow 0
		.amdhsa_exception_fp_ieee_underflow 0
		.amdhsa_exception_fp_ieee_inexact 0
		.amdhsa_exception_int_div_zero 0
	.end_amdhsa_kernel
	.section	.text._Z28exclusive_scan_reduce_kernelILj377ELN6hipcub18BlockScanAlgorithmE0ElEvPT1_S3_S2_,"axG",@progbits,_Z28exclusive_scan_reduce_kernelILj377ELN6hipcub18BlockScanAlgorithmE0ElEvPT1_S3_S2_,comdat
.Lfunc_end106:
	.size	_Z28exclusive_scan_reduce_kernelILj377ELN6hipcub18BlockScanAlgorithmE0ElEvPT1_S3_S2_, .Lfunc_end106-_Z28exclusive_scan_reduce_kernelILj377ELN6hipcub18BlockScanAlgorithmE0ElEvPT1_S3_S2_
                                        ; -- End function
	.section	.AMDGPU.csdata,"",@progbits
; Kernel info:
; codeLenInByte = 1060
; NumSgprs: 18
; NumVgprs: 13
; ScratchSize: 0
; MemoryBound: 0
; FloatMode: 240
; IeeeMode: 1
; LDSByteSize: 96 bytes/workgroup (compile time only)
; SGPRBlocks: 2
; VGPRBlocks: 1
; NumSGPRsForWavesPerEU: 18
; NumVGPRsForWavesPerEU: 13
; Occupancy: 15
; WaveLimiterHint : 0
; COMPUTE_PGM_RSRC2:SCRATCH_EN: 0
; COMPUTE_PGM_RSRC2:USER_SGPR: 15
; COMPUTE_PGM_RSRC2:TRAP_HANDLER: 0
; COMPUTE_PGM_RSRC2:TGID_X_EN: 1
; COMPUTE_PGM_RSRC2:TGID_Y_EN: 0
; COMPUTE_PGM_RSRC2:TGID_Z_EN: 0
; COMPUTE_PGM_RSRC2:TIDIG_COMP_CNT: 0
	.section	.text._Z28exclusive_scan_reduce_kernelILj256ELN6hipcub18BlockScanAlgorithmE0ElEvPT1_S3_S2_,"axG",@progbits,_Z28exclusive_scan_reduce_kernelILj256ELN6hipcub18BlockScanAlgorithmE0ElEvPT1_S3_S2_,comdat
	.protected	_Z28exclusive_scan_reduce_kernelILj256ELN6hipcub18BlockScanAlgorithmE0ElEvPT1_S3_S2_ ; -- Begin function _Z28exclusive_scan_reduce_kernelILj256ELN6hipcub18BlockScanAlgorithmE0ElEvPT1_S3_S2_
	.globl	_Z28exclusive_scan_reduce_kernelILj256ELN6hipcub18BlockScanAlgorithmE0ElEvPT1_S3_S2_
	.p2align	8
	.type	_Z28exclusive_scan_reduce_kernelILj256ELN6hipcub18BlockScanAlgorithmE0ElEvPT1_S3_S2_,@function
_Z28exclusive_scan_reduce_kernelILj256ELN6hipcub18BlockScanAlgorithmE0ElEvPT1_S3_S2_: ; @_Z28exclusive_scan_reduce_kernelILj256ELN6hipcub18BlockScanAlgorithmE0ElEvPT1_S3_S2_
; %bb.0:
	s_load_b128 s[4:7], s[0:1], 0x0
	s_mov_b32 s2, s15
	v_mov_b32_e32 v2, 0
	v_lshl_or_b32 v1, s2, 8, v0
	v_mbcnt_lo_u32_b32 v7, -1, 0
	s_mov_b32 s3, exec_lo
	s_delay_alu instid0(VALU_DEP_2) | instskip(NEXT) | instid1(VALU_DEP_2)
	v_lshlrev_b64 v[1:2], 3, v[1:2]
	v_and_b32_e32 v6, 15, v7
	s_waitcnt lgkmcnt(0)
	s_delay_alu instid0(VALU_DEP_2) | instskip(NEXT) | instid1(VALU_DEP_3)
	v_add_co_u32 v1, vcc_lo, s4, v1
	v_add_co_ci_u32_e32 v2, vcc_lo, s5, v2, vcc_lo
	global_load_b64 v[3:4], v[1:2], off
	s_waitcnt vmcnt(0)
	v_mov_b32_e32 v5, v3
	v_mov_b32_dpp v9, v3 row_shr:1 row_mask:0xf bank_mask:0xf
	v_mov_b32_dpp v8, v4 row_shr:1 row_mask:0xf bank_mask:0xf
	v_cmpx_ne_u32_e32 0, v6
; %bb.1:
	s_delay_alu instid0(VALU_DEP_3) | instskip(SKIP_1) | instid1(VALU_DEP_2)
	v_add_co_u32 v5, vcc_lo, v3, v9
	v_add_co_ci_u32_e32 v4, vcc_lo, 0, v4, vcc_lo
	v_add_co_u32 v3, vcc_lo, 0, v5
	s_delay_alu instid0(VALU_DEP_2)
	v_add_co_ci_u32_e32 v4, vcc_lo, v8, v4, vcc_lo
; %bb.2:
	s_or_b32 exec_lo, exec_lo, s3
	v_mov_b32_dpp v9, v5 row_shr:2 row_mask:0xf bank_mask:0xf
	s_delay_alu instid0(VALU_DEP_2)
	v_mov_b32_dpp v8, v4 row_shr:2 row_mask:0xf bank_mask:0xf
	s_mov_b32 s3, exec_lo
	v_cmpx_lt_u32_e32 1, v6
; %bb.3:
	s_delay_alu instid0(VALU_DEP_3) | instskip(SKIP_1) | instid1(VALU_DEP_2)
	v_add_co_u32 v5, vcc_lo, v3, v9
	v_add_co_ci_u32_e32 v4, vcc_lo, 0, v4, vcc_lo
	v_add_co_u32 v3, vcc_lo, 0, v5
	s_delay_alu instid0(VALU_DEP_2)
	v_add_co_ci_u32_e32 v4, vcc_lo, v8, v4, vcc_lo
; %bb.4:
	s_or_b32 exec_lo, exec_lo, s3
	v_mov_b32_dpp v9, v5 row_shr:4 row_mask:0xf bank_mask:0xf
	s_delay_alu instid0(VALU_DEP_2)
	v_mov_b32_dpp v8, v4 row_shr:4 row_mask:0xf bank_mask:0xf
	s_mov_b32 s3, exec_lo
	v_cmpx_lt_u32_e32 3, v6
	;; [unrolled: 14-line block ×3, first 2 shown]
; %bb.7:
	s_delay_alu instid0(VALU_DEP_3) | instskip(SKIP_1) | instid1(VALU_DEP_2)
	v_add_co_u32 v5, vcc_lo, v3, v9
	v_add_co_ci_u32_e32 v4, vcc_lo, 0, v4, vcc_lo
	v_add_co_u32 v3, vcc_lo, 0, v5
	s_delay_alu instid0(VALU_DEP_2)
	v_add_co_ci_u32_e32 v4, vcc_lo, v8, v4, vcc_lo
; %bb.8:
	s_or_b32 exec_lo, exec_lo, s3
	ds_swizzle_b32 v6, v5 offset:swizzle(BROADCAST,32,15)
	ds_swizzle_b32 v5, v4 offset:swizzle(BROADCAST,32,15)
	v_and_b32_e32 v8, 16, v7
	s_mov_b32 s3, exec_lo
	s_delay_alu instid0(VALU_DEP_1)
	v_cmpx_ne_u32_e32 0, v8
	s_cbranch_execz .LBB107_10
; %bb.9:
	s_waitcnt lgkmcnt(1)
	v_add_co_u32 v3, vcc_lo, v3, v6
	v_add_co_ci_u32_e32 v4, vcc_lo, 0, v4, vcc_lo
	s_delay_alu instid0(VALU_DEP_2) | instskip(SKIP_1) | instid1(VALU_DEP_2)
	v_add_co_u32 v3, vcc_lo, v3, 0
	s_waitcnt lgkmcnt(0)
	v_add_co_ci_u32_e32 v4, vcc_lo, v4, v5, vcc_lo
.LBB107_10:
	s_or_b32 exec_lo, exec_lo, s3
	s_load_b64 s[0:1], s[0:1], 0x10
	s_waitcnt lgkmcnt(0)
	v_or_b32_e32 v5, 31, v0
	v_lshrrev_b32_e32 v8, 5, v0
	s_mov_b32 s3, exec_lo
	s_delay_alu instid0(VALU_DEP_2)
	v_cmpx_eq_u32_e64 v5, v0
	s_cbranch_execz .LBB107_12
; %bb.11:
	s_delay_alu instid0(VALU_DEP_2)
	v_lshlrev_b32_e32 v5, 3, v8
	ds_store_b64 v5, v[3:4]
.LBB107_12:
	s_or_b32 exec_lo, exec_lo, s3
	s_delay_alu instid0(SALU_CYCLE_1)
	s_mov_b32 s3, exec_lo
	s_waitcnt lgkmcnt(0)
	s_barrier
	buffer_gl0_inv
	v_cmpx_gt_u32_e32 8, v0
	s_cbranch_execz .LBB107_20
; %bb.13:
	v_lshlrev_b32_e32 v9, 3, v0
	s_mov_b32 s4, exec_lo
	ds_load_b64 v[5:6], v9
	s_waitcnt lgkmcnt(0)
	v_dual_mov_b32 v11, v5 :: v_dual_and_b32 v10, 7, v7
	v_mov_b32_dpp v13, v5 row_shr:1 row_mask:0xf bank_mask:0xf
	v_mov_b32_dpp v12, v6 row_shr:1 row_mask:0xf bank_mask:0xf
	s_delay_alu instid0(VALU_DEP_3)
	v_cmpx_ne_u32_e32 0, v10
; %bb.14:
	s_delay_alu instid0(VALU_DEP_3) | instskip(SKIP_1) | instid1(VALU_DEP_2)
	v_add_co_u32 v11, vcc_lo, v5, v13
	v_add_co_ci_u32_e32 v6, vcc_lo, 0, v6, vcc_lo
	v_add_co_u32 v5, vcc_lo, 0, v11
	s_delay_alu instid0(VALU_DEP_2)
	v_add_co_ci_u32_e32 v6, vcc_lo, v12, v6, vcc_lo
; %bb.15:
	s_or_b32 exec_lo, exec_lo, s4
	v_mov_b32_dpp v13, v11 row_shr:2 row_mask:0xf bank_mask:0xf
	s_delay_alu instid0(VALU_DEP_2)
	v_mov_b32_dpp v12, v6 row_shr:2 row_mask:0xf bank_mask:0xf
	s_mov_b32 s4, exec_lo
	v_cmpx_lt_u32_e32 1, v10
; %bb.16:
	s_delay_alu instid0(VALU_DEP_3) | instskip(SKIP_1) | instid1(VALU_DEP_2)
	v_add_co_u32 v11, vcc_lo, v5, v13
	v_add_co_ci_u32_e32 v6, vcc_lo, 0, v6, vcc_lo
	v_add_co_u32 v5, vcc_lo, 0, v11
	s_delay_alu instid0(VALU_DEP_2)
	v_add_co_ci_u32_e32 v6, vcc_lo, v12, v6, vcc_lo
; %bb.17:
	s_or_b32 exec_lo, exec_lo, s4
	v_mov_b32_dpp v12, v11 row_shr:4 row_mask:0xf bank_mask:0xf
	s_delay_alu instid0(VALU_DEP_2)
	v_mov_b32_dpp v11, v6 row_shr:4 row_mask:0xf bank_mask:0xf
	s_mov_b32 s4, exec_lo
	v_cmpx_lt_u32_e32 3, v10
; %bb.18:
	s_delay_alu instid0(VALU_DEP_3) | instskip(SKIP_1) | instid1(VALU_DEP_2)
	v_add_co_u32 v5, vcc_lo, v5, v12
	v_add_co_ci_u32_e32 v6, vcc_lo, 0, v6, vcc_lo
	v_add_co_u32 v5, vcc_lo, v5, 0
	s_delay_alu instid0(VALU_DEP_2)
	v_add_co_ci_u32_e32 v6, vcc_lo, v6, v11, vcc_lo
; %bb.19:
	s_or_b32 exec_lo, exec_lo, s4
	ds_store_b64 v9, v[5:6]
.LBB107_20:
	s_or_b32 exec_lo, exec_lo, s3
	v_dual_mov_b32 v6, s1 :: v_dual_mov_b32 v5, s0
	s_mov_b32 s3, exec_lo
	s_waitcnt lgkmcnt(0)
	s_barrier
	buffer_gl0_inv
	v_cmpx_lt_u32_e32 31, v0
	s_cbranch_execz .LBB107_22
; %bb.21:
	v_lshl_add_u32 v5, v8, 3, -8
	ds_load_b64 v[5:6], v5
	s_waitcnt lgkmcnt(0)
	v_add_co_u32 v5, vcc_lo, v5, s0
	v_add_co_ci_u32_e32 v6, vcc_lo, s1, v6, vcc_lo
.LBB107_22:
	s_or_b32 exec_lo, exec_lo, s3
	v_add_nc_u32_e32 v8, -1, v7
	s_mov_b32 s3, 0
	s_mov_b32 s0, exec_lo
	s_delay_alu instid0(VALU_DEP_1) | instskip(SKIP_3) | instid1(VALU_DEP_3)
	v_cmp_gt_i32_e32 vcc_lo, 0, v8
	v_cndmask_b32_e32 v8, v8, v7, vcc_lo
	v_add_co_u32 v3, vcc_lo, v5, v3
	v_add_co_ci_u32_e32 v4, vcc_lo, v6, v4, vcc_lo
	v_lshlrev_b32_e32 v8, 2, v8
	v_cmp_eq_u32_e32 vcc_lo, 0, v7
	ds_bpermute_b32 v4, v8, v4
	ds_bpermute_b32 v3, v8, v3
	s_waitcnt lgkmcnt(0)
	v_dual_cndmask_b32 v4, v4, v6 :: v_dual_cndmask_b32 v3, v3, v5
	global_store_b64 v[1:2], v[3:4], off
	v_cmpx_eq_u32_e32 0, v0
	s_cbranch_execz .LBB107_24
; %bb.23:
	v_mov_b32_e32 v2, 0
	s_lshl_b64 s[0:1], s[2:3], 3
	s_delay_alu instid0(SALU_CYCLE_1)
	s_add_u32 s0, s6, s0
	s_addc_u32 s1, s7, s1
	ds_load_b64 v[0:1], v2 offset:56
	s_waitcnt lgkmcnt(0)
	global_store_b64 v2, v[0:1], s[0:1]
.LBB107_24:
	s_nop 0
	s_sendmsg sendmsg(MSG_DEALLOC_VGPRS)
	s_endpgm
	.section	.rodata,"a",@progbits
	.p2align	6, 0x0
	.amdhsa_kernel _Z28exclusive_scan_reduce_kernelILj256ELN6hipcub18BlockScanAlgorithmE0ElEvPT1_S3_S2_
		.amdhsa_group_segment_fixed_size 64
		.amdhsa_private_segment_fixed_size 0
		.amdhsa_kernarg_size 24
		.amdhsa_user_sgpr_count 15
		.amdhsa_user_sgpr_dispatch_ptr 0
		.amdhsa_user_sgpr_queue_ptr 0
		.amdhsa_user_sgpr_kernarg_segment_ptr 1
		.amdhsa_user_sgpr_dispatch_id 0
		.amdhsa_user_sgpr_private_segment_size 0
		.amdhsa_wavefront_size32 1
		.amdhsa_uses_dynamic_stack 0
		.amdhsa_enable_private_segment 0
		.amdhsa_system_sgpr_workgroup_id_x 1
		.amdhsa_system_sgpr_workgroup_id_y 0
		.amdhsa_system_sgpr_workgroup_id_z 0
		.amdhsa_system_sgpr_workgroup_info 0
		.amdhsa_system_vgpr_workitem_id 0
		.amdhsa_next_free_vgpr 14
		.amdhsa_next_free_sgpr 16
		.amdhsa_reserve_vcc 1
		.amdhsa_float_round_mode_32 0
		.amdhsa_float_round_mode_16_64 0
		.amdhsa_float_denorm_mode_32 3
		.amdhsa_float_denorm_mode_16_64 3
		.amdhsa_dx10_clamp 1
		.amdhsa_ieee_mode 1
		.amdhsa_fp16_overflow 0
		.amdhsa_workgroup_processor_mode 1
		.amdhsa_memory_ordered 1
		.amdhsa_forward_progress 0
		.amdhsa_shared_vgpr_count 0
		.amdhsa_exception_fp_ieee_invalid_op 0
		.amdhsa_exception_fp_denorm_src 0
		.amdhsa_exception_fp_ieee_div_zero 0
		.amdhsa_exception_fp_ieee_overflow 0
		.amdhsa_exception_fp_ieee_underflow 0
		.amdhsa_exception_fp_ieee_inexact 0
		.amdhsa_exception_int_div_zero 0
	.end_amdhsa_kernel
	.section	.text._Z28exclusive_scan_reduce_kernelILj256ELN6hipcub18BlockScanAlgorithmE0ElEvPT1_S3_S2_,"axG",@progbits,_Z28exclusive_scan_reduce_kernelILj256ELN6hipcub18BlockScanAlgorithmE0ElEvPT1_S3_S2_,comdat
.Lfunc_end107:
	.size	_Z28exclusive_scan_reduce_kernelILj256ELN6hipcub18BlockScanAlgorithmE0ElEvPT1_S3_S2_, .Lfunc_end107-_Z28exclusive_scan_reduce_kernelILj256ELN6hipcub18BlockScanAlgorithmE0ElEvPT1_S3_S2_
                                        ; -- End function
	.section	.AMDGPU.csdata,"",@progbits
; Kernel info:
; codeLenInByte = 944
; NumSgprs: 18
; NumVgprs: 14
; ScratchSize: 0
; MemoryBound: 0
; FloatMode: 240
; IeeeMode: 1
; LDSByteSize: 64 bytes/workgroup (compile time only)
; SGPRBlocks: 2
; VGPRBlocks: 1
; NumSGPRsForWavesPerEU: 18
; NumVGPRsForWavesPerEU: 14
; Occupancy: 16
; WaveLimiterHint : 0
; COMPUTE_PGM_RSRC2:SCRATCH_EN: 0
; COMPUTE_PGM_RSRC2:USER_SGPR: 15
; COMPUTE_PGM_RSRC2:TRAP_HANDLER: 0
; COMPUTE_PGM_RSRC2:TGID_X_EN: 1
; COMPUTE_PGM_RSRC2:TGID_Y_EN: 0
; COMPUTE_PGM_RSRC2:TGID_Z_EN: 0
; COMPUTE_PGM_RSRC2:TIDIG_COMP_CNT: 0
	.section	.text._Z28exclusive_scan_reduce_kernelILj64ELN6hipcub18BlockScanAlgorithmE0ElEvPT1_S3_S2_,"axG",@progbits,_Z28exclusive_scan_reduce_kernelILj64ELN6hipcub18BlockScanAlgorithmE0ElEvPT1_S3_S2_,comdat
	.protected	_Z28exclusive_scan_reduce_kernelILj64ELN6hipcub18BlockScanAlgorithmE0ElEvPT1_S3_S2_ ; -- Begin function _Z28exclusive_scan_reduce_kernelILj64ELN6hipcub18BlockScanAlgorithmE0ElEvPT1_S3_S2_
	.globl	_Z28exclusive_scan_reduce_kernelILj64ELN6hipcub18BlockScanAlgorithmE0ElEvPT1_S3_S2_
	.p2align	8
	.type	_Z28exclusive_scan_reduce_kernelILj64ELN6hipcub18BlockScanAlgorithmE0ElEvPT1_S3_S2_,@function
_Z28exclusive_scan_reduce_kernelILj64ELN6hipcub18BlockScanAlgorithmE0ElEvPT1_S3_S2_: ; @_Z28exclusive_scan_reduce_kernelILj64ELN6hipcub18BlockScanAlgorithmE0ElEvPT1_S3_S2_
; %bb.0:
	s_load_b128 s[4:7], s[0:1], 0x0
	s_mov_b32 s2, s15
	v_mov_b32_e32 v2, 0
	v_lshl_or_b32 v1, s2, 6, v0
	v_mbcnt_lo_u32_b32 v7, -1, 0
	s_mov_b32 s3, exec_lo
	s_delay_alu instid0(VALU_DEP_2) | instskip(NEXT) | instid1(VALU_DEP_2)
	v_lshlrev_b64 v[1:2], 3, v[1:2]
	v_and_b32_e32 v6, 15, v7
	s_waitcnt lgkmcnt(0)
	s_delay_alu instid0(VALU_DEP_2) | instskip(NEXT) | instid1(VALU_DEP_3)
	v_add_co_u32 v1, vcc_lo, s4, v1
	v_add_co_ci_u32_e32 v2, vcc_lo, s5, v2, vcc_lo
	global_load_b64 v[3:4], v[1:2], off
	s_waitcnt vmcnt(0)
	v_mov_b32_e32 v5, v3
	v_mov_b32_dpp v9, v3 row_shr:1 row_mask:0xf bank_mask:0xf
	v_mov_b32_dpp v8, v4 row_shr:1 row_mask:0xf bank_mask:0xf
	v_cmpx_ne_u32_e32 0, v6
; %bb.1:
	s_delay_alu instid0(VALU_DEP_3) | instskip(SKIP_1) | instid1(VALU_DEP_2)
	v_add_co_u32 v5, vcc_lo, v3, v9
	v_add_co_ci_u32_e32 v4, vcc_lo, 0, v4, vcc_lo
	v_add_co_u32 v3, vcc_lo, 0, v5
	s_delay_alu instid0(VALU_DEP_2)
	v_add_co_ci_u32_e32 v4, vcc_lo, v8, v4, vcc_lo
; %bb.2:
	s_or_b32 exec_lo, exec_lo, s3
	v_mov_b32_dpp v9, v5 row_shr:2 row_mask:0xf bank_mask:0xf
	s_delay_alu instid0(VALU_DEP_2)
	v_mov_b32_dpp v8, v4 row_shr:2 row_mask:0xf bank_mask:0xf
	s_mov_b32 s3, exec_lo
	v_cmpx_lt_u32_e32 1, v6
; %bb.3:
	s_delay_alu instid0(VALU_DEP_3) | instskip(SKIP_1) | instid1(VALU_DEP_2)
	v_add_co_u32 v5, vcc_lo, v3, v9
	v_add_co_ci_u32_e32 v4, vcc_lo, 0, v4, vcc_lo
	v_add_co_u32 v3, vcc_lo, 0, v5
	s_delay_alu instid0(VALU_DEP_2)
	v_add_co_ci_u32_e32 v4, vcc_lo, v8, v4, vcc_lo
; %bb.4:
	s_or_b32 exec_lo, exec_lo, s3
	v_mov_b32_dpp v9, v5 row_shr:4 row_mask:0xf bank_mask:0xf
	s_delay_alu instid0(VALU_DEP_2)
	v_mov_b32_dpp v8, v4 row_shr:4 row_mask:0xf bank_mask:0xf
	s_mov_b32 s3, exec_lo
	v_cmpx_lt_u32_e32 3, v6
; %bb.5:
	s_delay_alu instid0(VALU_DEP_3) | instskip(SKIP_1) | instid1(VALU_DEP_2)
	v_add_co_u32 v5, vcc_lo, v3, v9
	v_add_co_ci_u32_e32 v4, vcc_lo, 0, v4, vcc_lo
	v_add_co_u32 v3, vcc_lo, 0, v5
	s_delay_alu instid0(VALU_DEP_2)
	v_add_co_ci_u32_e32 v4, vcc_lo, v8, v4, vcc_lo
; %bb.6:
	s_or_b32 exec_lo, exec_lo, s3
	v_mov_b32_dpp v9, v5 row_shr:8 row_mask:0xf bank_mask:0xf
	s_delay_alu instid0(VALU_DEP_2)
	v_mov_b32_dpp v8, v4 row_shr:8 row_mask:0xf bank_mask:0xf
	s_mov_b32 s3, exec_lo
	v_cmpx_lt_u32_e32 7, v6
; %bb.7:
	s_delay_alu instid0(VALU_DEP_3) | instskip(SKIP_1) | instid1(VALU_DEP_2)
	v_add_co_u32 v5, vcc_lo, v3, v9
	v_add_co_ci_u32_e32 v4, vcc_lo, 0, v4, vcc_lo
	v_add_co_u32 v3, vcc_lo, 0, v5
	s_delay_alu instid0(VALU_DEP_2)
	v_add_co_ci_u32_e32 v4, vcc_lo, v8, v4, vcc_lo
; %bb.8:
	s_or_b32 exec_lo, exec_lo, s3
	ds_swizzle_b32 v6, v5 offset:swizzle(BROADCAST,32,15)
	ds_swizzle_b32 v5, v4 offset:swizzle(BROADCAST,32,15)
	v_and_b32_e32 v8, 16, v7
	s_mov_b32 s3, exec_lo
	s_delay_alu instid0(VALU_DEP_1)
	v_cmpx_ne_u32_e32 0, v8
	s_cbranch_execz .LBB108_10
; %bb.9:
	s_waitcnt lgkmcnt(1)
	v_add_co_u32 v3, vcc_lo, v3, v6
	v_add_co_ci_u32_e32 v4, vcc_lo, 0, v4, vcc_lo
	s_delay_alu instid0(VALU_DEP_2) | instskip(SKIP_1) | instid1(VALU_DEP_2)
	v_add_co_u32 v3, vcc_lo, v3, 0
	s_waitcnt lgkmcnt(0)
	v_add_co_ci_u32_e32 v4, vcc_lo, v4, v5, vcc_lo
.LBB108_10:
	s_or_b32 exec_lo, exec_lo, s3
	s_load_b64 s[0:1], s[0:1], 0x10
	s_waitcnt lgkmcnt(0)
	v_or_b32_e32 v5, 31, v0
	v_lshrrev_b32_e32 v8, 5, v0
	s_mov_b32 s3, exec_lo
	s_delay_alu instid0(VALU_DEP_2)
	v_cmpx_eq_u32_e64 v5, v0
	s_cbranch_execz .LBB108_12
; %bb.11:
	s_delay_alu instid0(VALU_DEP_2)
	v_lshlrev_b32_e32 v5, 3, v8
	ds_store_b64 v5, v[3:4]
.LBB108_12:
	s_or_b32 exec_lo, exec_lo, s3
	s_delay_alu instid0(SALU_CYCLE_1)
	s_mov_b32 s3, exec_lo
	s_waitcnt lgkmcnt(0)
	s_barrier
	buffer_gl0_inv
	v_cmpx_gt_u32_e32 2, v0
	s_cbranch_execz .LBB108_16
; %bb.13:
	v_lshlrev_b32_e32 v9, 3, v0
	v_and_b32_e32 v12, 1, v7
	s_mov_b32 s4, exec_lo
	ds_load_b64 v[5:6], v9
	s_waitcnt lgkmcnt(0)
	v_mov_b32_dpp v11, v5 row_shr:1 row_mask:0xf bank_mask:0xf
	v_mov_b32_dpp v10, v6 row_shr:1 row_mask:0xf bank_mask:0xf
	v_cmpx_eq_u32_e32 1, v12
; %bb.14:
	s_delay_alu instid0(VALU_DEP_3) | instskip(SKIP_1) | instid1(VALU_DEP_2)
	v_add_co_u32 v5, vcc_lo, v5, v11
	v_add_co_ci_u32_e32 v6, vcc_lo, 0, v6, vcc_lo
	v_add_co_u32 v5, vcc_lo, v5, 0
	s_delay_alu instid0(VALU_DEP_2)
	v_add_co_ci_u32_e32 v6, vcc_lo, v6, v10, vcc_lo
; %bb.15:
	s_or_b32 exec_lo, exec_lo, s4
	ds_store_b64 v9, v[5:6]
.LBB108_16:
	s_or_b32 exec_lo, exec_lo, s3
	v_dual_mov_b32 v6, s1 :: v_dual_mov_b32 v5, s0
	s_mov_b32 s3, exec_lo
	s_waitcnt lgkmcnt(0)
	s_barrier
	buffer_gl0_inv
	v_cmpx_lt_u32_e32 31, v0
	s_cbranch_execz .LBB108_18
; %bb.17:
	v_lshl_add_u32 v5, v8, 3, -8
	ds_load_b64 v[5:6], v5
	s_waitcnt lgkmcnt(0)
	v_add_co_u32 v5, vcc_lo, v5, s0
	v_add_co_ci_u32_e32 v6, vcc_lo, s1, v6, vcc_lo
.LBB108_18:
	s_or_b32 exec_lo, exec_lo, s3
	v_add_nc_u32_e32 v8, -1, v7
	s_mov_b32 s3, 0
	s_mov_b32 s0, exec_lo
	s_delay_alu instid0(VALU_DEP_1) | instskip(SKIP_3) | instid1(VALU_DEP_3)
	v_cmp_gt_i32_e32 vcc_lo, 0, v8
	v_cndmask_b32_e32 v8, v8, v7, vcc_lo
	v_add_co_u32 v3, vcc_lo, v5, v3
	v_add_co_ci_u32_e32 v4, vcc_lo, v6, v4, vcc_lo
	v_lshlrev_b32_e32 v8, 2, v8
	v_cmp_eq_u32_e32 vcc_lo, 0, v7
	ds_bpermute_b32 v4, v8, v4
	ds_bpermute_b32 v3, v8, v3
	s_waitcnt lgkmcnt(0)
	v_dual_cndmask_b32 v4, v4, v6 :: v_dual_cndmask_b32 v3, v3, v5
	global_store_b64 v[1:2], v[3:4], off
	v_cmpx_eq_u32_e32 0, v0
	s_cbranch_execz .LBB108_20
; %bb.19:
	v_mov_b32_e32 v2, 0
	s_lshl_b64 s[0:1], s[2:3], 3
	s_delay_alu instid0(SALU_CYCLE_1)
	s_add_u32 s0, s6, s0
	s_addc_u32 s1, s7, s1
	ds_load_b64 v[0:1], v2 offset:8
	s_waitcnt lgkmcnt(0)
	global_store_b64 v2, v[0:1], s[0:1]
.LBB108_20:
	s_nop 0
	s_sendmsg sendmsg(MSG_DEALLOC_VGPRS)
	s_endpgm
	.section	.rodata,"a",@progbits
	.p2align	6, 0x0
	.amdhsa_kernel _Z28exclusive_scan_reduce_kernelILj64ELN6hipcub18BlockScanAlgorithmE0ElEvPT1_S3_S2_
		.amdhsa_group_segment_fixed_size 16
		.amdhsa_private_segment_fixed_size 0
		.amdhsa_kernarg_size 24
		.amdhsa_user_sgpr_count 15
		.amdhsa_user_sgpr_dispatch_ptr 0
		.amdhsa_user_sgpr_queue_ptr 0
		.amdhsa_user_sgpr_kernarg_segment_ptr 1
		.amdhsa_user_sgpr_dispatch_id 0
		.amdhsa_user_sgpr_private_segment_size 0
		.amdhsa_wavefront_size32 1
		.amdhsa_uses_dynamic_stack 0
		.amdhsa_enable_private_segment 0
		.amdhsa_system_sgpr_workgroup_id_x 1
		.amdhsa_system_sgpr_workgroup_id_y 0
		.amdhsa_system_sgpr_workgroup_id_z 0
		.amdhsa_system_sgpr_workgroup_info 0
		.amdhsa_system_vgpr_workitem_id 0
		.amdhsa_next_free_vgpr 13
		.amdhsa_next_free_sgpr 16
		.amdhsa_reserve_vcc 1
		.amdhsa_float_round_mode_32 0
		.amdhsa_float_round_mode_16_64 0
		.amdhsa_float_denorm_mode_32 3
		.amdhsa_float_denorm_mode_16_64 3
		.amdhsa_dx10_clamp 1
		.amdhsa_ieee_mode 1
		.amdhsa_fp16_overflow 0
		.amdhsa_workgroup_processor_mode 1
		.amdhsa_memory_ordered 1
		.amdhsa_forward_progress 0
		.amdhsa_shared_vgpr_count 0
		.amdhsa_exception_fp_ieee_invalid_op 0
		.amdhsa_exception_fp_denorm_src 0
		.amdhsa_exception_fp_ieee_div_zero 0
		.amdhsa_exception_fp_ieee_overflow 0
		.amdhsa_exception_fp_ieee_underflow 0
		.amdhsa_exception_fp_ieee_inexact 0
		.amdhsa_exception_int_div_zero 0
	.end_amdhsa_kernel
	.section	.text._Z28exclusive_scan_reduce_kernelILj64ELN6hipcub18BlockScanAlgorithmE0ElEvPT1_S3_S2_,"axG",@progbits,_Z28exclusive_scan_reduce_kernelILj64ELN6hipcub18BlockScanAlgorithmE0ElEvPT1_S3_S2_,comdat
.Lfunc_end108:
	.size	_Z28exclusive_scan_reduce_kernelILj64ELN6hipcub18BlockScanAlgorithmE0ElEvPT1_S3_S2_, .Lfunc_end108-_Z28exclusive_scan_reduce_kernelILj64ELN6hipcub18BlockScanAlgorithmE0ElEvPT1_S3_S2_
                                        ; -- End function
	.section	.AMDGPU.csdata,"",@progbits
; Kernel info:
; codeLenInByte = 808
; NumSgprs: 18
; NumVgprs: 13
; ScratchSize: 0
; MemoryBound: 0
; FloatMode: 240
; IeeeMode: 1
; LDSByteSize: 16 bytes/workgroup (compile time only)
; SGPRBlocks: 2
; VGPRBlocks: 1
; NumSGPRsForWavesPerEU: 18
; NumVGPRsForWavesPerEU: 13
; Occupancy: 16
; WaveLimiterHint : 0
; COMPUTE_PGM_RSRC2:SCRATCH_EN: 0
; COMPUTE_PGM_RSRC2:USER_SGPR: 15
; COMPUTE_PGM_RSRC2:TRAP_HANDLER: 0
; COMPUTE_PGM_RSRC2:TGID_X_EN: 1
; COMPUTE_PGM_RSRC2:TGID_Y_EN: 0
; COMPUTE_PGM_RSRC2:TGID_Z_EN: 0
; COMPUTE_PGM_RSRC2:TIDIG_COMP_CNT: 0
	.section	.text._Z28exclusive_scan_reduce_kernelILj377ELN6hipcub18BlockScanAlgorithmE0EjEvPT1_S3_S2_,"axG",@progbits,_Z28exclusive_scan_reduce_kernelILj377ELN6hipcub18BlockScanAlgorithmE0EjEvPT1_S3_S2_,comdat
	.protected	_Z28exclusive_scan_reduce_kernelILj377ELN6hipcub18BlockScanAlgorithmE0EjEvPT1_S3_S2_ ; -- Begin function _Z28exclusive_scan_reduce_kernelILj377ELN6hipcub18BlockScanAlgorithmE0EjEvPT1_S3_S2_
	.globl	_Z28exclusive_scan_reduce_kernelILj377ELN6hipcub18BlockScanAlgorithmE0EjEvPT1_S3_S2_
	.p2align	8
	.type	_Z28exclusive_scan_reduce_kernelILj377ELN6hipcub18BlockScanAlgorithmE0EjEvPT1_S3_S2_,@function
_Z28exclusive_scan_reduce_kernelILj377ELN6hipcub18BlockScanAlgorithmE0EjEvPT1_S3_S2_: ; @_Z28exclusive_scan_reduce_kernelILj377ELN6hipcub18BlockScanAlgorithmE0EjEvPT1_S3_S2_
; %bb.0:
	s_load_b128 s[4:7], s[0:1], 0x0
	s_mov_b32 s8, s15
	v_mbcnt_lo_u32_b32 v3, -1, 0
	v_mad_u64_u32 v[1:2], null, 0x179, s8, v[0:1]
	v_mov_b32_e32 v2, 0
	s_mov_b32 s9, exec_lo
	s_delay_alu instid0(VALU_DEP_3) | instskip(SKIP_1) | instid1(VALU_DEP_3)
	v_and_b32_e32 v5, 15, v3
	v_bfe_i32 v7, v3, 4, 1
	v_lshlrev_b64 v[1:2], 2, v[1:2]
	s_delay_alu instid0(VALU_DEP_3) | instskip(SKIP_2) | instid1(VALU_DEP_3)
	v_cmp_lt_u32_e64 s2, 1, v5
	v_cmp_lt_u32_e64 s3, 3, v5
	s_waitcnt lgkmcnt(0)
	v_add_co_u32 v1, vcc_lo, s4, v1
	s_delay_alu instid0(VALU_DEP_4)
	v_add_co_ci_u32_e32 v2, vcc_lo, s5, v2, vcc_lo
	v_cmp_eq_u32_e32 vcc_lo, 0, v5
	v_cmp_lt_u32_e64 s4, 7, v5
	global_load_b32 v4, v[1:2], off
	s_waitcnt vmcnt(0)
	v_mov_b32_dpp v6, v4 row_shr:1 row_mask:0xf bank_mask:0xf
	s_delay_alu instid0(VALU_DEP_1) | instskip(NEXT) | instid1(VALU_DEP_1)
	v_cndmask_b32_e64 v6, v6, 0, vcc_lo
	v_add_nc_u32_e32 v4, v6, v4
	s_delay_alu instid0(VALU_DEP_1) | instskip(NEXT) | instid1(VALU_DEP_1)
	v_mov_b32_dpp v6, v4 row_shr:2 row_mask:0xf bank_mask:0xf
	v_cndmask_b32_e64 v6, 0, v6, s2
	s_delay_alu instid0(VALU_DEP_1) | instskip(NEXT) | instid1(VALU_DEP_1)
	v_add_nc_u32_e32 v4, v4, v6
	v_mov_b32_dpp v6, v4 row_shr:4 row_mask:0xf bank_mask:0xf
	s_delay_alu instid0(VALU_DEP_1) | instskip(NEXT) | instid1(VALU_DEP_1)
	v_cndmask_b32_e64 v6, 0, v6, s3
	v_add_nc_u32_e32 v4, v4, v6
	s_delay_alu instid0(VALU_DEP_1) | instskip(NEXT) | instid1(VALU_DEP_1)
	v_mov_b32_dpp v6, v4 row_shr:8 row_mask:0xf bank_mask:0xf
	v_cndmask_b32_e64 v5, 0, v6, s4
	v_and_b32_e32 v6, 0x1e0, v0
	s_delay_alu instid0(VALU_DEP_2) | instskip(NEXT) | instid1(VALU_DEP_2)
	v_add_nc_u32_e32 v4, v4, v5
	v_min_u32_e32 v6, 0x159, v6
	ds_swizzle_b32 v5, v4 offset:swizzle(BROADCAST,32,15)
	v_add_nc_u32_e32 v6, 31, v6
	s_waitcnt lgkmcnt(0)
	v_and_b32_e32 v7, v7, v5
	v_lshrrev_b32_e32 v5, 5, v0
	s_delay_alu instid0(VALU_DEP_2)
	v_add_nc_u32_e32 v4, v4, v7
	v_cmpx_eq_u32_e64 v6, v0
	s_cbranch_execz .LBB109_2
; %bb.1:
	s_delay_alu instid0(VALU_DEP_3)
	v_lshlrev_b32_e32 v6, 2, v5
	ds_store_b32 v6, v4
.LBB109_2:
	s_or_b32 exec_lo, exec_lo, s9
	s_delay_alu instid0(SALU_CYCLE_1)
	s_mov_b32 s9, exec_lo
	s_waitcnt lgkmcnt(0)
	s_barrier
	buffer_gl0_inv
	v_cmpx_gt_u32_e32 12, v0
	s_cbranch_execz .LBB109_4
; %bb.3:
	v_lshlrev_b32_e32 v6, 2, v0
	ds_load_b32 v7, v6
	s_waitcnt lgkmcnt(0)
	v_mov_b32_dpp v8, v7 row_shr:1 row_mask:0xf bank_mask:0xf
	s_delay_alu instid0(VALU_DEP_1) | instskip(NEXT) | instid1(VALU_DEP_1)
	v_cndmask_b32_e64 v8, v8, 0, vcc_lo
	v_add_nc_u32_e32 v7, v8, v7
	s_delay_alu instid0(VALU_DEP_1) | instskip(NEXT) | instid1(VALU_DEP_1)
	v_mov_b32_dpp v8, v7 row_shr:2 row_mask:0xf bank_mask:0xf
	v_cndmask_b32_e64 v8, 0, v8, s2
	s_delay_alu instid0(VALU_DEP_1) | instskip(NEXT) | instid1(VALU_DEP_1)
	v_add_nc_u32_e32 v7, v7, v8
	v_mov_b32_dpp v8, v7 row_shr:4 row_mask:0xf bank_mask:0xf
	s_delay_alu instid0(VALU_DEP_1) | instskip(NEXT) | instid1(VALU_DEP_1)
	v_cndmask_b32_e64 v8, 0, v8, s3
	v_add_nc_u32_e32 v7, v7, v8
	s_delay_alu instid0(VALU_DEP_1) | instskip(NEXT) | instid1(VALU_DEP_1)
	v_mov_b32_dpp v8, v7 row_shr:8 row_mask:0xf bank_mask:0xf
	v_cndmask_b32_e64 v8, 0, v8, s4
	s_delay_alu instid0(VALU_DEP_1)
	v_add_nc_u32_e32 v7, v7, v8
	ds_store_b32 v6, v7
.LBB109_4:
	s_or_b32 exec_lo, exec_lo, s9
	s_load_b32 s0, s[0:1], 0x10
	s_mov_b32 s1, exec_lo
	s_waitcnt lgkmcnt(0)
	s_barrier
	buffer_gl0_inv
	v_mov_b32_e32 v6, s0
	v_cmpx_lt_u32_e32 31, v0
	s_cbranch_execz .LBB109_6
; %bb.5:
	v_lshl_add_u32 v5, v5, 2, -4
	ds_load_b32 v5, v5
	s_waitcnt lgkmcnt(0)
	v_add_nc_u32_e32 v6, s0, v5
.LBB109_6:
	s_or_b32 exec_lo, exec_lo, s1
	v_add_nc_u32_e32 v5, -1, v3
	s_mov_b32 s9, 0
	s_mov_b32 s0, exec_lo
	v_add_nc_u32_e32 v4, v6, v4
	s_delay_alu instid0(VALU_DEP_2) | instskip(SKIP_2) | instid1(VALU_DEP_2)
	v_cmp_gt_i32_e32 vcc_lo, 0, v5
	v_cndmask_b32_e32 v5, v5, v3, vcc_lo
	v_cmp_eq_u32_e32 vcc_lo, 0, v3
	v_lshlrev_b32_e32 v5, 2, v5
	ds_bpermute_b32 v4, v5, v4
	s_waitcnt lgkmcnt(0)
	v_cndmask_b32_e32 v3, v4, v6, vcc_lo
	global_store_b32 v[1:2], v3, off
	v_cmpx_eq_u32_e32 0, v0
	s_cbranch_execz .LBB109_8
; %bb.7:
	v_mov_b32_e32 v0, 0
	s_lshl_b64 s[0:1], s[8:9], 2
	s_delay_alu instid0(SALU_CYCLE_1)
	s_add_u32 s0, s6, s0
	s_addc_u32 s1, s7, s1
	ds_load_b32 v1, v0 offset:44
	s_waitcnt lgkmcnt(0)
	global_store_b32 v0, v1, s[0:1]
.LBB109_8:
	s_nop 0
	s_sendmsg sendmsg(MSG_DEALLOC_VGPRS)
	s_endpgm
	.section	.rodata,"a",@progbits
	.p2align	6, 0x0
	.amdhsa_kernel _Z28exclusive_scan_reduce_kernelILj377ELN6hipcub18BlockScanAlgorithmE0EjEvPT1_S3_S2_
		.amdhsa_group_segment_fixed_size 48
		.amdhsa_private_segment_fixed_size 0
		.amdhsa_kernarg_size 20
		.amdhsa_user_sgpr_count 15
		.amdhsa_user_sgpr_dispatch_ptr 0
		.amdhsa_user_sgpr_queue_ptr 0
		.amdhsa_user_sgpr_kernarg_segment_ptr 1
		.amdhsa_user_sgpr_dispatch_id 0
		.amdhsa_user_sgpr_private_segment_size 0
		.amdhsa_wavefront_size32 1
		.amdhsa_uses_dynamic_stack 0
		.amdhsa_enable_private_segment 0
		.amdhsa_system_sgpr_workgroup_id_x 1
		.amdhsa_system_sgpr_workgroup_id_y 0
		.amdhsa_system_sgpr_workgroup_id_z 0
		.amdhsa_system_sgpr_workgroup_info 0
		.amdhsa_system_vgpr_workitem_id 0
		.amdhsa_next_free_vgpr 9
		.amdhsa_next_free_sgpr 16
		.amdhsa_reserve_vcc 1
		.amdhsa_float_round_mode_32 0
		.amdhsa_float_round_mode_16_64 0
		.amdhsa_float_denorm_mode_32 3
		.amdhsa_float_denorm_mode_16_64 3
		.amdhsa_dx10_clamp 1
		.amdhsa_ieee_mode 1
		.amdhsa_fp16_overflow 0
		.amdhsa_workgroup_processor_mode 1
		.amdhsa_memory_ordered 1
		.amdhsa_forward_progress 0
		.amdhsa_shared_vgpr_count 0
		.amdhsa_exception_fp_ieee_invalid_op 0
		.amdhsa_exception_fp_denorm_src 0
		.amdhsa_exception_fp_ieee_div_zero 0
		.amdhsa_exception_fp_ieee_overflow 0
		.amdhsa_exception_fp_ieee_underflow 0
		.amdhsa_exception_fp_ieee_inexact 0
		.amdhsa_exception_int_div_zero 0
	.end_amdhsa_kernel
	.section	.text._Z28exclusive_scan_reduce_kernelILj377ELN6hipcub18BlockScanAlgorithmE0EjEvPT1_S3_S2_,"axG",@progbits,_Z28exclusive_scan_reduce_kernelILj377ELN6hipcub18BlockScanAlgorithmE0EjEvPT1_S3_S2_,comdat
.Lfunc_end109:
	.size	_Z28exclusive_scan_reduce_kernelILj377ELN6hipcub18BlockScanAlgorithmE0EjEvPT1_S3_S2_, .Lfunc_end109-_Z28exclusive_scan_reduce_kernelILj377ELN6hipcub18BlockScanAlgorithmE0EjEvPT1_S3_S2_
                                        ; -- End function
	.section	.AMDGPU.csdata,"",@progbits
; Kernel info:
; codeLenInByte = 664
; NumSgprs: 18
; NumVgprs: 9
; ScratchSize: 0
; MemoryBound: 0
; FloatMode: 240
; IeeeMode: 1
; LDSByteSize: 48 bytes/workgroup (compile time only)
; SGPRBlocks: 2
; VGPRBlocks: 1
; NumSGPRsForWavesPerEU: 18
; NumVGPRsForWavesPerEU: 9
; Occupancy: 15
; WaveLimiterHint : 0
; COMPUTE_PGM_RSRC2:SCRATCH_EN: 0
; COMPUTE_PGM_RSRC2:USER_SGPR: 15
; COMPUTE_PGM_RSRC2:TRAP_HANDLER: 0
; COMPUTE_PGM_RSRC2:TGID_X_EN: 1
; COMPUTE_PGM_RSRC2:TGID_Y_EN: 0
; COMPUTE_PGM_RSRC2:TGID_Z_EN: 0
; COMPUTE_PGM_RSRC2:TIDIG_COMP_CNT: 0
	.section	.text._Z28exclusive_scan_reduce_kernelILj256ELN6hipcub18BlockScanAlgorithmE0EjEvPT1_S3_S2_,"axG",@progbits,_Z28exclusive_scan_reduce_kernelILj256ELN6hipcub18BlockScanAlgorithmE0EjEvPT1_S3_S2_,comdat
	.protected	_Z28exclusive_scan_reduce_kernelILj256ELN6hipcub18BlockScanAlgorithmE0EjEvPT1_S3_S2_ ; -- Begin function _Z28exclusive_scan_reduce_kernelILj256ELN6hipcub18BlockScanAlgorithmE0EjEvPT1_S3_S2_
	.globl	_Z28exclusive_scan_reduce_kernelILj256ELN6hipcub18BlockScanAlgorithmE0EjEvPT1_S3_S2_
	.p2align	8
	.type	_Z28exclusive_scan_reduce_kernelILj256ELN6hipcub18BlockScanAlgorithmE0EjEvPT1_S3_S2_,@function
_Z28exclusive_scan_reduce_kernelILj256ELN6hipcub18BlockScanAlgorithmE0EjEvPT1_S3_S2_: ; @_Z28exclusive_scan_reduce_kernelILj256ELN6hipcub18BlockScanAlgorithmE0EjEvPT1_S3_S2_
; %bb.0:
	s_load_b128 s[4:7], s[0:1], 0x0
	s_mov_b32 s2, s15
	v_mbcnt_lo_u32_b32 v3, -1, 0
	v_mov_b32_e32 v2, 0
	v_lshl_or_b32 v1, s2, 8, v0
	v_or_b32_e32 v7, 31, v0
	s_mov_b32 s3, exec_lo
	v_and_b32_e32 v5, 15, v3
	s_delay_alu instid0(VALU_DEP_3) | instskip(SKIP_1) | instid1(VALU_DEP_1)
	v_lshlrev_b64 v[1:2], 2, v[1:2]
	s_waitcnt lgkmcnt(0)
	v_add_co_u32 v1, vcc_lo, s4, v1
	s_delay_alu instid0(VALU_DEP_2) | instskip(SKIP_4) | instid1(VALU_DEP_1)
	v_add_co_ci_u32_e32 v2, vcc_lo, s5, v2, vcc_lo
	v_cmp_ne_u32_e32 vcc_lo, 0, v5
	global_load_b32 v4, v[1:2], off
	s_waitcnt vmcnt(0)
	v_mov_b32_dpp v6, v4 row_shr:1 row_mask:0xf bank_mask:0xf
	v_cndmask_b32_e32 v6, 0, v6, vcc_lo
	v_cmp_lt_u32_e32 vcc_lo, 1, v5
	s_delay_alu instid0(VALU_DEP_2) | instskip(NEXT) | instid1(VALU_DEP_1)
	v_add_nc_u32_e32 v4, v6, v4
	v_mov_b32_dpp v6, v4 row_shr:2 row_mask:0xf bank_mask:0xf
	s_delay_alu instid0(VALU_DEP_1) | instskip(SKIP_1) | instid1(VALU_DEP_2)
	v_cndmask_b32_e32 v6, 0, v6, vcc_lo
	v_cmp_lt_u32_e32 vcc_lo, 3, v5
	v_add_nc_u32_e32 v4, v4, v6
	s_delay_alu instid0(VALU_DEP_1) | instskip(NEXT) | instid1(VALU_DEP_1)
	v_mov_b32_dpp v6, v4 row_shr:4 row_mask:0xf bank_mask:0xf
	v_cndmask_b32_e32 v6, 0, v6, vcc_lo
	v_cmp_lt_u32_e32 vcc_lo, 7, v5
	s_delay_alu instid0(VALU_DEP_2) | instskip(NEXT) | instid1(VALU_DEP_1)
	v_add_nc_u32_e32 v4, v4, v6
	v_mov_b32_dpp v6, v4 row_shr:8 row_mask:0xf bank_mask:0xf
	s_delay_alu instid0(VALU_DEP_1) | instskip(SKIP_1) | instid1(VALU_DEP_2)
	v_cndmask_b32_e32 v5, 0, v6, vcc_lo
	v_bfe_i32 v6, v3, 4, 1
	v_add_nc_u32_e32 v4, v4, v5
	ds_swizzle_b32 v5, v4 offset:swizzle(BROADCAST,32,15)
	s_waitcnt lgkmcnt(0)
	v_and_b32_e32 v6, v6, v5
	v_lshrrev_b32_e32 v5, 5, v0
	s_delay_alu instid0(VALU_DEP_2)
	v_add_nc_u32_e32 v4, v4, v6
	v_cmpx_eq_u32_e64 v7, v0
	s_cbranch_execz .LBB110_2
; %bb.1:
	s_delay_alu instid0(VALU_DEP_3)
	v_lshlrev_b32_e32 v6, 2, v5
	ds_store_b32 v6, v4
.LBB110_2:
	s_or_b32 exec_lo, exec_lo, s3
	s_delay_alu instid0(SALU_CYCLE_1)
	s_mov_b32 s3, exec_lo
	s_waitcnt lgkmcnt(0)
	s_barrier
	buffer_gl0_inv
	v_cmpx_gt_u32_e32 8, v0
	s_cbranch_execz .LBB110_4
; %bb.3:
	v_and_b32_e32 v8, 7, v3
	s_delay_alu instid0(VALU_DEP_1) | instskip(SKIP_4) | instid1(VALU_DEP_1)
	v_cmp_ne_u32_e32 vcc_lo, 0, v8
	v_lshlrev_b32_e32 v6, 2, v0
	ds_load_b32 v7, v6
	s_waitcnt lgkmcnt(0)
	v_mov_b32_dpp v9, v7 row_shr:1 row_mask:0xf bank_mask:0xf
	v_cndmask_b32_e32 v9, 0, v9, vcc_lo
	v_cmp_lt_u32_e32 vcc_lo, 1, v8
	s_delay_alu instid0(VALU_DEP_2) | instskip(NEXT) | instid1(VALU_DEP_1)
	v_add_nc_u32_e32 v7, v9, v7
	v_mov_b32_dpp v9, v7 row_shr:2 row_mask:0xf bank_mask:0xf
	s_delay_alu instid0(VALU_DEP_1) | instskip(SKIP_1) | instid1(VALU_DEP_2)
	v_cndmask_b32_e32 v9, 0, v9, vcc_lo
	v_cmp_lt_u32_e32 vcc_lo, 3, v8
	v_add_nc_u32_e32 v7, v7, v9
	s_delay_alu instid0(VALU_DEP_1) | instskip(NEXT) | instid1(VALU_DEP_1)
	v_mov_b32_dpp v9, v7 row_shr:4 row_mask:0xf bank_mask:0xf
	v_cndmask_b32_e32 v8, 0, v9, vcc_lo
	s_delay_alu instid0(VALU_DEP_1)
	v_add_nc_u32_e32 v7, v7, v8
	ds_store_b32 v6, v7
.LBB110_4:
	s_or_b32 exec_lo, exec_lo, s3
	s_load_b32 s0, s[0:1], 0x10
	s_mov_b32 s1, exec_lo
	s_waitcnt lgkmcnt(0)
	s_barrier
	buffer_gl0_inv
	v_mov_b32_e32 v6, s0
	v_cmpx_lt_u32_e32 31, v0
	s_cbranch_execz .LBB110_6
; %bb.5:
	v_lshl_add_u32 v5, v5, 2, -4
	ds_load_b32 v5, v5
	s_waitcnt lgkmcnt(0)
	v_add_nc_u32_e32 v6, s0, v5
.LBB110_6:
	s_or_b32 exec_lo, exec_lo, s1
	v_add_nc_u32_e32 v5, -1, v3
	s_mov_b32 s3, 0
	s_mov_b32 s0, exec_lo
	v_add_nc_u32_e32 v4, v6, v4
	s_delay_alu instid0(VALU_DEP_2) | instskip(SKIP_2) | instid1(VALU_DEP_2)
	v_cmp_gt_i32_e32 vcc_lo, 0, v5
	v_cndmask_b32_e32 v5, v5, v3, vcc_lo
	v_cmp_eq_u32_e32 vcc_lo, 0, v3
	v_lshlrev_b32_e32 v5, 2, v5
	ds_bpermute_b32 v4, v5, v4
	s_waitcnt lgkmcnt(0)
	v_cndmask_b32_e32 v3, v4, v6, vcc_lo
	global_store_b32 v[1:2], v3, off
	v_cmpx_eq_u32_e32 0, v0
	s_cbranch_execz .LBB110_8
; %bb.7:
	v_mov_b32_e32 v0, 0
	s_lshl_b64 s[0:1], s[2:3], 2
	s_delay_alu instid0(SALU_CYCLE_1)
	s_add_u32 s0, s6, s0
	s_addc_u32 s1, s7, s1
	ds_load_b32 v1, v0 offset:28
	s_waitcnt lgkmcnt(0)
	global_store_b32 v0, v1, s[0:1]
.LBB110_8:
	s_nop 0
	s_sendmsg sendmsg(MSG_DEALLOC_VGPRS)
	s_endpgm
	.section	.rodata,"a",@progbits
	.p2align	6, 0x0
	.amdhsa_kernel _Z28exclusive_scan_reduce_kernelILj256ELN6hipcub18BlockScanAlgorithmE0EjEvPT1_S3_S2_
		.amdhsa_group_segment_fixed_size 32
		.amdhsa_private_segment_fixed_size 0
		.amdhsa_kernarg_size 20
		.amdhsa_user_sgpr_count 15
		.amdhsa_user_sgpr_dispatch_ptr 0
		.amdhsa_user_sgpr_queue_ptr 0
		.amdhsa_user_sgpr_kernarg_segment_ptr 1
		.amdhsa_user_sgpr_dispatch_id 0
		.amdhsa_user_sgpr_private_segment_size 0
		.amdhsa_wavefront_size32 1
		.amdhsa_uses_dynamic_stack 0
		.amdhsa_enable_private_segment 0
		.amdhsa_system_sgpr_workgroup_id_x 1
		.amdhsa_system_sgpr_workgroup_id_y 0
		.amdhsa_system_sgpr_workgroup_id_z 0
		.amdhsa_system_sgpr_workgroup_info 0
		.amdhsa_system_vgpr_workitem_id 0
		.amdhsa_next_free_vgpr 10
		.amdhsa_next_free_sgpr 16
		.amdhsa_reserve_vcc 1
		.amdhsa_float_round_mode_32 0
		.amdhsa_float_round_mode_16_64 0
		.amdhsa_float_denorm_mode_32 3
		.amdhsa_float_denorm_mode_16_64 3
		.amdhsa_dx10_clamp 1
		.amdhsa_ieee_mode 1
		.amdhsa_fp16_overflow 0
		.amdhsa_workgroup_processor_mode 1
		.amdhsa_memory_ordered 1
		.amdhsa_forward_progress 0
		.amdhsa_shared_vgpr_count 0
		.amdhsa_exception_fp_ieee_invalid_op 0
		.amdhsa_exception_fp_denorm_src 0
		.amdhsa_exception_fp_ieee_div_zero 0
		.amdhsa_exception_fp_ieee_overflow 0
		.amdhsa_exception_fp_ieee_underflow 0
		.amdhsa_exception_fp_ieee_inexact 0
		.amdhsa_exception_int_div_zero 0
	.end_amdhsa_kernel
	.section	.text._Z28exclusive_scan_reduce_kernelILj256ELN6hipcub18BlockScanAlgorithmE0EjEvPT1_S3_S2_,"axG",@progbits,_Z28exclusive_scan_reduce_kernelILj256ELN6hipcub18BlockScanAlgorithmE0EjEvPT1_S3_S2_,comdat
.Lfunc_end110:
	.size	_Z28exclusive_scan_reduce_kernelILj256ELN6hipcub18BlockScanAlgorithmE0EjEvPT1_S3_S2_, .Lfunc_end110-_Z28exclusive_scan_reduce_kernelILj256ELN6hipcub18BlockScanAlgorithmE0EjEvPT1_S3_S2_
                                        ; -- End function
	.section	.AMDGPU.csdata,"",@progbits
; Kernel info:
; codeLenInByte = 588
; NumSgprs: 18
; NumVgprs: 10
; ScratchSize: 0
; MemoryBound: 0
; FloatMode: 240
; IeeeMode: 1
; LDSByteSize: 32 bytes/workgroup (compile time only)
; SGPRBlocks: 2
; VGPRBlocks: 1
; NumSGPRsForWavesPerEU: 18
; NumVGPRsForWavesPerEU: 10
; Occupancy: 16
; WaveLimiterHint : 0
; COMPUTE_PGM_RSRC2:SCRATCH_EN: 0
; COMPUTE_PGM_RSRC2:USER_SGPR: 15
; COMPUTE_PGM_RSRC2:TRAP_HANDLER: 0
; COMPUTE_PGM_RSRC2:TGID_X_EN: 1
; COMPUTE_PGM_RSRC2:TGID_Y_EN: 0
; COMPUTE_PGM_RSRC2:TGID_Z_EN: 0
; COMPUTE_PGM_RSRC2:TIDIG_COMP_CNT: 0
	.section	.text._Z28exclusive_scan_reduce_kernelILj64ELN6hipcub18BlockScanAlgorithmE0EjEvPT1_S3_S2_,"axG",@progbits,_Z28exclusive_scan_reduce_kernelILj64ELN6hipcub18BlockScanAlgorithmE0EjEvPT1_S3_S2_,comdat
	.protected	_Z28exclusive_scan_reduce_kernelILj64ELN6hipcub18BlockScanAlgorithmE0EjEvPT1_S3_S2_ ; -- Begin function _Z28exclusive_scan_reduce_kernelILj64ELN6hipcub18BlockScanAlgorithmE0EjEvPT1_S3_S2_
	.globl	_Z28exclusive_scan_reduce_kernelILj64ELN6hipcub18BlockScanAlgorithmE0EjEvPT1_S3_S2_
	.p2align	8
	.type	_Z28exclusive_scan_reduce_kernelILj64ELN6hipcub18BlockScanAlgorithmE0EjEvPT1_S3_S2_,@function
_Z28exclusive_scan_reduce_kernelILj64ELN6hipcub18BlockScanAlgorithmE0EjEvPT1_S3_S2_: ; @_Z28exclusive_scan_reduce_kernelILj64ELN6hipcub18BlockScanAlgorithmE0EjEvPT1_S3_S2_
; %bb.0:
	s_load_b128 s[4:7], s[0:1], 0x0
	s_mov_b32 s2, s15
	v_mbcnt_lo_u32_b32 v3, -1, 0
	v_mov_b32_e32 v2, 0
	v_lshl_or_b32 v1, s2, 6, v0
	v_or_b32_e32 v7, 31, v0
	s_mov_b32 s3, exec_lo
	v_and_b32_e32 v5, 15, v3
	s_delay_alu instid0(VALU_DEP_3) | instskip(SKIP_1) | instid1(VALU_DEP_1)
	v_lshlrev_b64 v[1:2], 2, v[1:2]
	s_waitcnt lgkmcnt(0)
	v_add_co_u32 v1, vcc_lo, s4, v1
	s_delay_alu instid0(VALU_DEP_2) | instskip(SKIP_4) | instid1(VALU_DEP_1)
	v_add_co_ci_u32_e32 v2, vcc_lo, s5, v2, vcc_lo
	v_cmp_ne_u32_e32 vcc_lo, 0, v5
	global_load_b32 v4, v[1:2], off
	s_waitcnt vmcnt(0)
	v_mov_b32_dpp v6, v4 row_shr:1 row_mask:0xf bank_mask:0xf
	v_cndmask_b32_e32 v6, 0, v6, vcc_lo
	v_cmp_lt_u32_e32 vcc_lo, 1, v5
	s_delay_alu instid0(VALU_DEP_2) | instskip(NEXT) | instid1(VALU_DEP_1)
	v_add_nc_u32_e32 v4, v6, v4
	v_mov_b32_dpp v6, v4 row_shr:2 row_mask:0xf bank_mask:0xf
	s_delay_alu instid0(VALU_DEP_1) | instskip(SKIP_1) | instid1(VALU_DEP_2)
	v_cndmask_b32_e32 v6, 0, v6, vcc_lo
	v_cmp_lt_u32_e32 vcc_lo, 3, v5
	v_add_nc_u32_e32 v4, v4, v6
	s_delay_alu instid0(VALU_DEP_1) | instskip(NEXT) | instid1(VALU_DEP_1)
	v_mov_b32_dpp v6, v4 row_shr:4 row_mask:0xf bank_mask:0xf
	v_cndmask_b32_e32 v6, 0, v6, vcc_lo
	v_cmp_lt_u32_e32 vcc_lo, 7, v5
	s_delay_alu instid0(VALU_DEP_2) | instskip(NEXT) | instid1(VALU_DEP_1)
	v_add_nc_u32_e32 v4, v4, v6
	v_mov_b32_dpp v6, v4 row_shr:8 row_mask:0xf bank_mask:0xf
	s_delay_alu instid0(VALU_DEP_1) | instskip(SKIP_1) | instid1(VALU_DEP_2)
	v_cndmask_b32_e32 v5, 0, v6, vcc_lo
	v_bfe_i32 v6, v3, 4, 1
	v_add_nc_u32_e32 v4, v4, v5
	ds_swizzle_b32 v5, v4 offset:swizzle(BROADCAST,32,15)
	s_waitcnt lgkmcnt(0)
	v_and_b32_e32 v6, v6, v5
	v_lshrrev_b32_e32 v5, 5, v0
	s_delay_alu instid0(VALU_DEP_2)
	v_add_nc_u32_e32 v4, v4, v6
	v_cmpx_eq_u32_e64 v7, v0
	s_cbranch_execz .LBB111_2
; %bb.1:
	s_delay_alu instid0(VALU_DEP_3)
	v_lshlrev_b32_e32 v6, 2, v5
	ds_store_b32 v6, v4
.LBB111_2:
	s_or_b32 exec_lo, exec_lo, s3
	s_delay_alu instid0(SALU_CYCLE_1)
	s_mov_b32 s3, exec_lo
	s_waitcnt lgkmcnt(0)
	s_barrier
	buffer_gl0_inv
	v_cmpx_gt_u32_e32 2, v0
	s_cbranch_execz .LBB111_4
; %bb.3:
	v_lshlrev_b32_e32 v6, 2, v0
	v_bfe_i32 v8, v3, 0, 1
	ds_load_b32 v7, v6
	s_waitcnt lgkmcnt(0)
	v_mov_b32_dpp v9, v7 row_shr:1 row_mask:0xf bank_mask:0xf
	s_delay_alu instid0(VALU_DEP_1) | instskip(NEXT) | instid1(VALU_DEP_1)
	v_and_b32_e32 v8, v8, v9
	v_add_nc_u32_e32 v7, v8, v7
	ds_store_b32 v6, v7
.LBB111_4:
	s_or_b32 exec_lo, exec_lo, s3
	s_load_b32 s0, s[0:1], 0x10
	s_mov_b32 s1, exec_lo
	s_waitcnt lgkmcnt(0)
	s_barrier
	buffer_gl0_inv
	v_mov_b32_e32 v6, s0
	v_cmpx_lt_u32_e32 31, v0
	s_cbranch_execz .LBB111_6
; %bb.5:
	v_lshl_add_u32 v5, v5, 2, -4
	ds_load_b32 v5, v5
	s_waitcnt lgkmcnt(0)
	v_add_nc_u32_e32 v6, s0, v5
.LBB111_6:
	s_or_b32 exec_lo, exec_lo, s1
	v_add_nc_u32_e32 v5, -1, v3
	s_mov_b32 s3, 0
	s_mov_b32 s0, exec_lo
	v_add_nc_u32_e32 v4, v6, v4
	s_delay_alu instid0(VALU_DEP_2) | instskip(SKIP_2) | instid1(VALU_DEP_2)
	v_cmp_gt_i32_e32 vcc_lo, 0, v5
	v_cndmask_b32_e32 v5, v5, v3, vcc_lo
	v_cmp_eq_u32_e32 vcc_lo, 0, v3
	v_lshlrev_b32_e32 v5, 2, v5
	ds_bpermute_b32 v4, v5, v4
	s_waitcnt lgkmcnt(0)
	v_cndmask_b32_e32 v3, v4, v6, vcc_lo
	global_store_b32 v[1:2], v3, off
	v_cmpx_eq_u32_e32 0, v0
	s_cbranch_execz .LBB111_8
; %bb.7:
	v_mov_b32_e32 v0, 0
	s_lshl_b64 s[0:1], s[2:3], 2
	s_delay_alu instid0(SALU_CYCLE_1)
	s_add_u32 s0, s6, s0
	s_addc_u32 s1, s7, s1
	ds_load_b32 v1, v0 offset:4
	s_waitcnt lgkmcnt(0)
	global_store_b32 v0, v1, s[0:1]
.LBB111_8:
	s_nop 0
	s_sendmsg sendmsg(MSG_DEALLOC_VGPRS)
	s_endpgm
	.section	.rodata,"a",@progbits
	.p2align	6, 0x0
	.amdhsa_kernel _Z28exclusive_scan_reduce_kernelILj64ELN6hipcub18BlockScanAlgorithmE0EjEvPT1_S3_S2_
		.amdhsa_group_segment_fixed_size 8
		.amdhsa_private_segment_fixed_size 0
		.amdhsa_kernarg_size 20
		.amdhsa_user_sgpr_count 15
		.amdhsa_user_sgpr_dispatch_ptr 0
		.amdhsa_user_sgpr_queue_ptr 0
		.amdhsa_user_sgpr_kernarg_segment_ptr 1
		.amdhsa_user_sgpr_dispatch_id 0
		.amdhsa_user_sgpr_private_segment_size 0
		.amdhsa_wavefront_size32 1
		.amdhsa_uses_dynamic_stack 0
		.amdhsa_enable_private_segment 0
		.amdhsa_system_sgpr_workgroup_id_x 1
		.amdhsa_system_sgpr_workgroup_id_y 0
		.amdhsa_system_sgpr_workgroup_id_z 0
		.amdhsa_system_sgpr_workgroup_info 0
		.amdhsa_system_vgpr_workitem_id 0
		.amdhsa_next_free_vgpr 10
		.amdhsa_next_free_sgpr 16
		.amdhsa_reserve_vcc 1
		.amdhsa_float_round_mode_32 0
		.amdhsa_float_round_mode_16_64 0
		.amdhsa_float_denorm_mode_32 3
		.amdhsa_float_denorm_mode_16_64 3
		.amdhsa_dx10_clamp 1
		.amdhsa_ieee_mode 1
		.amdhsa_fp16_overflow 0
		.amdhsa_workgroup_processor_mode 1
		.amdhsa_memory_ordered 1
		.amdhsa_forward_progress 0
		.amdhsa_shared_vgpr_count 0
		.amdhsa_exception_fp_ieee_invalid_op 0
		.amdhsa_exception_fp_denorm_src 0
		.amdhsa_exception_fp_ieee_div_zero 0
		.amdhsa_exception_fp_ieee_overflow 0
		.amdhsa_exception_fp_ieee_underflow 0
		.amdhsa_exception_fp_ieee_inexact 0
		.amdhsa_exception_int_div_zero 0
	.end_amdhsa_kernel
	.section	.text._Z28exclusive_scan_reduce_kernelILj64ELN6hipcub18BlockScanAlgorithmE0EjEvPT1_S3_S2_,"axG",@progbits,_Z28exclusive_scan_reduce_kernelILj64ELN6hipcub18BlockScanAlgorithmE0EjEvPT1_S3_S2_,comdat
.Lfunc_end111:
	.size	_Z28exclusive_scan_reduce_kernelILj64ELN6hipcub18BlockScanAlgorithmE0EjEvPT1_S3_S2_, .Lfunc_end111-_Z28exclusive_scan_reduce_kernelILj64ELN6hipcub18BlockScanAlgorithmE0EjEvPT1_S3_S2_
                                        ; -- End function
	.section	.AMDGPU.csdata,"",@progbits
; Kernel info:
; codeLenInByte = 532
; NumSgprs: 18
; NumVgprs: 10
; ScratchSize: 0
; MemoryBound: 0
; FloatMode: 240
; IeeeMode: 1
; LDSByteSize: 8 bytes/workgroup (compile time only)
; SGPRBlocks: 2
; VGPRBlocks: 1
; NumSGPRsForWavesPerEU: 18
; NumVGPRsForWavesPerEU: 10
; Occupancy: 16
; WaveLimiterHint : 0
; COMPUTE_PGM_RSRC2:SCRATCH_EN: 0
; COMPUTE_PGM_RSRC2:USER_SGPR: 15
; COMPUTE_PGM_RSRC2:TRAP_HANDLER: 0
; COMPUTE_PGM_RSRC2:TGID_X_EN: 1
; COMPUTE_PGM_RSRC2:TGID_Y_EN: 0
; COMPUTE_PGM_RSRC2:TGID_Z_EN: 0
; COMPUTE_PGM_RSRC2:TIDIG_COMP_CNT: 0
	.section	.text._Z28exclusive_scan_reduce_kernelILj255ELN6hipcub18BlockScanAlgorithmE0EiEvPT1_S3_S2_,"axG",@progbits,_Z28exclusive_scan_reduce_kernelILj255ELN6hipcub18BlockScanAlgorithmE0EiEvPT1_S3_S2_,comdat
	.protected	_Z28exclusive_scan_reduce_kernelILj255ELN6hipcub18BlockScanAlgorithmE0EiEvPT1_S3_S2_ ; -- Begin function _Z28exclusive_scan_reduce_kernelILj255ELN6hipcub18BlockScanAlgorithmE0EiEvPT1_S3_S2_
	.globl	_Z28exclusive_scan_reduce_kernelILj255ELN6hipcub18BlockScanAlgorithmE0EiEvPT1_S3_S2_
	.p2align	8
	.type	_Z28exclusive_scan_reduce_kernelILj255ELN6hipcub18BlockScanAlgorithmE0EiEvPT1_S3_S2_,@function
_Z28exclusive_scan_reduce_kernelILj255ELN6hipcub18BlockScanAlgorithmE0EiEvPT1_S3_S2_: ; @_Z28exclusive_scan_reduce_kernelILj255ELN6hipcub18BlockScanAlgorithmE0EiEvPT1_S3_S2_
; %bb.0:
	s_load_b128 s[4:7], s[0:1], 0x0
	s_mov_b32 s2, s15
	v_mbcnt_lo_u32_b32 v3, -1, 0
	v_mad_u64_u32 v[1:2], null, 0xff, s2, v[0:1]
	v_mov_b32_e32 v2, 0
	s_mov_b32 s3, exec_lo
	s_delay_alu instid0(VALU_DEP_3) | instskip(SKIP_1) | instid1(VALU_DEP_3)
	v_and_b32_e32 v5, 15, v3
	v_bfe_i32 v7, v3, 4, 1
	v_lshlrev_b64 v[1:2], 2, v[1:2]
	s_waitcnt lgkmcnt(0)
	s_delay_alu instid0(VALU_DEP_1) | instskip(NEXT) | instid1(VALU_DEP_2)
	v_add_co_u32 v1, vcc_lo, s4, v1
	v_add_co_ci_u32_e32 v2, vcc_lo, s5, v2, vcc_lo
	v_cmp_ne_u32_e32 vcc_lo, 0, v5
	global_load_b32 v4, v[1:2], off
	s_waitcnt vmcnt(0)
	v_mov_b32_dpp v6, v4 row_shr:1 row_mask:0xf bank_mask:0xf
	s_delay_alu instid0(VALU_DEP_1) | instskip(SKIP_1) | instid1(VALU_DEP_2)
	v_cndmask_b32_e32 v6, 0, v6, vcc_lo
	v_cmp_lt_u32_e32 vcc_lo, 1, v5
	v_add_nc_u32_e32 v4, v6, v4
	s_delay_alu instid0(VALU_DEP_1) | instskip(NEXT) | instid1(VALU_DEP_1)
	v_mov_b32_dpp v6, v4 row_shr:2 row_mask:0xf bank_mask:0xf
	v_cndmask_b32_e32 v6, 0, v6, vcc_lo
	v_cmp_lt_u32_e32 vcc_lo, 3, v5
	s_delay_alu instid0(VALU_DEP_2) | instskip(NEXT) | instid1(VALU_DEP_1)
	v_add_nc_u32_e32 v4, v4, v6
	v_mov_b32_dpp v6, v4 row_shr:4 row_mask:0xf bank_mask:0xf
	s_delay_alu instid0(VALU_DEP_1) | instskip(SKIP_1) | instid1(VALU_DEP_2)
	v_cndmask_b32_e32 v6, 0, v6, vcc_lo
	v_cmp_lt_u32_e32 vcc_lo, 7, v5
	v_add_nc_u32_e32 v4, v4, v6
	s_delay_alu instid0(VALU_DEP_1) | instskip(NEXT) | instid1(VALU_DEP_1)
	v_mov_b32_dpp v6, v4 row_shr:8 row_mask:0xf bank_mask:0xf
	v_dual_cndmask_b32 v5, 0, v6 :: v_dual_and_b32 v6, 0xe0, v0
	s_delay_alu instid0(VALU_DEP_1) | instskip(NEXT) | instid1(VALU_DEP_2)
	v_add_nc_u32_e32 v4, v4, v5
	v_min_u32_e32 v6, 0xdf, v6
	ds_swizzle_b32 v5, v4 offset:swizzle(BROADCAST,32,15)
	v_add_nc_u32_e32 v6, 31, v6
	s_waitcnt lgkmcnt(0)
	v_and_b32_e32 v7, v7, v5
	v_lshrrev_b32_e32 v5, 5, v0
	s_delay_alu instid0(VALU_DEP_2)
	v_add_nc_u32_e32 v4, v4, v7
	v_cmpx_eq_u32_e64 v6, v0
	s_cbranch_execz .LBB112_2
; %bb.1:
	s_delay_alu instid0(VALU_DEP_3)
	v_lshlrev_b32_e32 v6, 2, v5
	ds_store_b32 v6, v4
.LBB112_2:
	s_or_b32 exec_lo, exec_lo, s3
	s_delay_alu instid0(SALU_CYCLE_1)
	s_mov_b32 s3, exec_lo
	s_waitcnt lgkmcnt(0)
	s_barrier
	buffer_gl0_inv
	v_cmpx_gt_u32_e32 8, v0
	s_cbranch_execz .LBB112_4
; %bb.3:
	v_and_b32_e32 v8, 7, v3
	s_delay_alu instid0(VALU_DEP_1) | instskip(SKIP_4) | instid1(VALU_DEP_1)
	v_cmp_ne_u32_e32 vcc_lo, 0, v8
	v_lshlrev_b32_e32 v6, 2, v0
	ds_load_b32 v7, v6
	s_waitcnt lgkmcnt(0)
	v_mov_b32_dpp v9, v7 row_shr:1 row_mask:0xf bank_mask:0xf
	v_cndmask_b32_e32 v9, 0, v9, vcc_lo
	v_cmp_lt_u32_e32 vcc_lo, 1, v8
	s_delay_alu instid0(VALU_DEP_2) | instskip(NEXT) | instid1(VALU_DEP_1)
	v_add_nc_u32_e32 v7, v9, v7
	v_mov_b32_dpp v9, v7 row_shr:2 row_mask:0xf bank_mask:0xf
	s_delay_alu instid0(VALU_DEP_1) | instskip(SKIP_1) | instid1(VALU_DEP_2)
	v_cndmask_b32_e32 v9, 0, v9, vcc_lo
	v_cmp_lt_u32_e32 vcc_lo, 3, v8
	v_add_nc_u32_e32 v7, v7, v9
	s_delay_alu instid0(VALU_DEP_1) | instskip(NEXT) | instid1(VALU_DEP_1)
	v_mov_b32_dpp v9, v7 row_shr:4 row_mask:0xf bank_mask:0xf
	v_cndmask_b32_e32 v8, 0, v9, vcc_lo
	s_delay_alu instid0(VALU_DEP_1)
	v_add_nc_u32_e32 v7, v7, v8
	ds_store_b32 v6, v7
.LBB112_4:
	s_or_b32 exec_lo, exec_lo, s3
	s_load_b32 s0, s[0:1], 0x10
	s_mov_b32 s1, exec_lo
	s_waitcnt lgkmcnt(0)
	s_barrier
	buffer_gl0_inv
	v_mov_b32_e32 v6, s0
	v_cmpx_lt_u32_e32 31, v0
	s_cbranch_execz .LBB112_6
; %bb.5:
	v_lshl_add_u32 v5, v5, 2, -4
	ds_load_b32 v5, v5
	s_waitcnt lgkmcnt(0)
	v_add_nc_u32_e32 v6, s0, v5
.LBB112_6:
	s_or_b32 exec_lo, exec_lo, s1
	v_add_nc_u32_e32 v5, -1, v3
	s_mov_b32 s3, 0
	s_mov_b32 s0, exec_lo
	v_add_nc_u32_e32 v4, v6, v4
	s_delay_alu instid0(VALU_DEP_2) | instskip(SKIP_2) | instid1(VALU_DEP_2)
	v_cmp_gt_i32_e32 vcc_lo, 0, v5
	v_cndmask_b32_e32 v5, v5, v3, vcc_lo
	v_cmp_eq_u32_e32 vcc_lo, 0, v3
	v_lshlrev_b32_e32 v5, 2, v5
	ds_bpermute_b32 v4, v5, v4
	s_waitcnt lgkmcnt(0)
	v_cndmask_b32_e32 v3, v4, v6, vcc_lo
	global_store_b32 v[1:2], v3, off
	v_cmpx_eq_u32_e32 0, v0
	s_cbranch_execz .LBB112_8
; %bb.7:
	v_mov_b32_e32 v0, 0
	s_lshl_b64 s[0:1], s[2:3], 2
	s_delay_alu instid0(SALU_CYCLE_1)
	s_add_u32 s0, s6, s0
	s_addc_u32 s1, s7, s1
	ds_load_b32 v1, v0 offset:28
	s_waitcnt lgkmcnt(0)
	global_store_b32 v0, v1, s[0:1]
.LBB112_8:
	s_nop 0
	s_sendmsg sendmsg(MSG_DEALLOC_VGPRS)
	s_endpgm
	.section	.rodata,"a",@progbits
	.p2align	6, 0x0
	.amdhsa_kernel _Z28exclusive_scan_reduce_kernelILj255ELN6hipcub18BlockScanAlgorithmE0EiEvPT1_S3_S2_
		.amdhsa_group_segment_fixed_size 32
		.amdhsa_private_segment_fixed_size 0
		.amdhsa_kernarg_size 20
		.amdhsa_user_sgpr_count 15
		.amdhsa_user_sgpr_dispatch_ptr 0
		.amdhsa_user_sgpr_queue_ptr 0
		.amdhsa_user_sgpr_kernarg_segment_ptr 1
		.amdhsa_user_sgpr_dispatch_id 0
		.amdhsa_user_sgpr_private_segment_size 0
		.amdhsa_wavefront_size32 1
		.amdhsa_uses_dynamic_stack 0
		.amdhsa_enable_private_segment 0
		.amdhsa_system_sgpr_workgroup_id_x 1
		.amdhsa_system_sgpr_workgroup_id_y 0
		.amdhsa_system_sgpr_workgroup_id_z 0
		.amdhsa_system_sgpr_workgroup_info 0
		.amdhsa_system_vgpr_workitem_id 0
		.amdhsa_next_free_vgpr 10
		.amdhsa_next_free_sgpr 16
		.amdhsa_reserve_vcc 1
		.amdhsa_float_round_mode_32 0
		.amdhsa_float_round_mode_16_64 0
		.amdhsa_float_denorm_mode_32 3
		.amdhsa_float_denorm_mode_16_64 3
		.amdhsa_dx10_clamp 1
		.amdhsa_ieee_mode 1
		.amdhsa_fp16_overflow 0
		.amdhsa_workgroup_processor_mode 1
		.amdhsa_memory_ordered 1
		.amdhsa_forward_progress 0
		.amdhsa_shared_vgpr_count 0
		.amdhsa_exception_fp_ieee_invalid_op 0
		.amdhsa_exception_fp_denorm_src 0
		.amdhsa_exception_fp_ieee_div_zero 0
		.amdhsa_exception_fp_ieee_overflow 0
		.amdhsa_exception_fp_ieee_underflow 0
		.amdhsa_exception_fp_ieee_inexact 0
		.amdhsa_exception_int_div_zero 0
	.end_amdhsa_kernel
	.section	.text._Z28exclusive_scan_reduce_kernelILj255ELN6hipcub18BlockScanAlgorithmE0EiEvPT1_S3_S2_,"axG",@progbits,_Z28exclusive_scan_reduce_kernelILj255ELN6hipcub18BlockScanAlgorithmE0EiEvPT1_S3_S2_,comdat
.Lfunc_end112:
	.size	_Z28exclusive_scan_reduce_kernelILj255ELN6hipcub18BlockScanAlgorithmE0EiEvPT1_S3_S2_, .Lfunc_end112-_Z28exclusive_scan_reduce_kernelILj255ELN6hipcub18BlockScanAlgorithmE0EiEvPT1_S3_S2_
                                        ; -- End function
	.section	.AMDGPU.csdata,"",@progbits
; Kernel info:
; codeLenInByte = 612
; NumSgprs: 18
; NumVgprs: 10
; ScratchSize: 0
; MemoryBound: 0
; FloatMode: 240
; IeeeMode: 1
; LDSByteSize: 32 bytes/workgroup (compile time only)
; SGPRBlocks: 2
; VGPRBlocks: 1
; NumSGPRsForWavesPerEU: 18
; NumVGPRsForWavesPerEU: 10
; Occupancy: 16
; WaveLimiterHint : 0
; COMPUTE_PGM_RSRC2:SCRATCH_EN: 0
; COMPUTE_PGM_RSRC2:USER_SGPR: 15
; COMPUTE_PGM_RSRC2:TRAP_HANDLER: 0
; COMPUTE_PGM_RSRC2:TGID_X_EN: 1
; COMPUTE_PGM_RSRC2:TGID_Y_EN: 0
; COMPUTE_PGM_RSRC2:TGID_Z_EN: 0
; COMPUTE_PGM_RSRC2:TIDIG_COMP_CNT: 0
	.section	.text._Z28exclusive_scan_reduce_kernelILj162ELN6hipcub18BlockScanAlgorithmE0EiEvPT1_S3_S2_,"axG",@progbits,_Z28exclusive_scan_reduce_kernelILj162ELN6hipcub18BlockScanAlgorithmE0EiEvPT1_S3_S2_,comdat
	.protected	_Z28exclusive_scan_reduce_kernelILj162ELN6hipcub18BlockScanAlgorithmE0EiEvPT1_S3_S2_ ; -- Begin function _Z28exclusive_scan_reduce_kernelILj162ELN6hipcub18BlockScanAlgorithmE0EiEvPT1_S3_S2_
	.globl	_Z28exclusive_scan_reduce_kernelILj162ELN6hipcub18BlockScanAlgorithmE0EiEvPT1_S3_S2_
	.p2align	8
	.type	_Z28exclusive_scan_reduce_kernelILj162ELN6hipcub18BlockScanAlgorithmE0EiEvPT1_S3_S2_,@function
_Z28exclusive_scan_reduce_kernelILj162ELN6hipcub18BlockScanAlgorithmE0EiEvPT1_S3_S2_: ; @_Z28exclusive_scan_reduce_kernelILj162ELN6hipcub18BlockScanAlgorithmE0EiEvPT1_S3_S2_
; %bb.0:
	s_load_b128 s[4:7], s[0:1], 0x0
	s_mov_b32 s2, s15
	v_mbcnt_lo_u32_b32 v3, -1, 0
	v_mad_u64_u32 v[1:2], null, 0xa2, s2, v[0:1]
	v_mov_b32_e32 v2, 0
	s_mov_b32 s3, exec_lo
	s_delay_alu instid0(VALU_DEP_3) | instskip(SKIP_1) | instid1(VALU_DEP_3)
	v_and_b32_e32 v5, 15, v3
	v_bfe_i32 v7, v3, 4, 1
	v_lshlrev_b64 v[1:2], 2, v[1:2]
	s_waitcnt lgkmcnt(0)
	s_delay_alu instid0(VALU_DEP_1) | instskip(NEXT) | instid1(VALU_DEP_2)
	v_add_co_u32 v1, vcc_lo, s4, v1
	v_add_co_ci_u32_e32 v2, vcc_lo, s5, v2, vcc_lo
	v_cmp_ne_u32_e32 vcc_lo, 0, v5
	global_load_b32 v4, v[1:2], off
	s_waitcnt vmcnt(0)
	v_mov_b32_dpp v6, v4 row_shr:1 row_mask:0xf bank_mask:0xf
	s_delay_alu instid0(VALU_DEP_1) | instskip(SKIP_1) | instid1(VALU_DEP_2)
	v_cndmask_b32_e32 v6, 0, v6, vcc_lo
	v_cmp_lt_u32_e32 vcc_lo, 1, v5
	v_add_nc_u32_e32 v4, v6, v4
	s_delay_alu instid0(VALU_DEP_1) | instskip(NEXT) | instid1(VALU_DEP_1)
	v_mov_b32_dpp v6, v4 row_shr:2 row_mask:0xf bank_mask:0xf
	v_cndmask_b32_e32 v6, 0, v6, vcc_lo
	v_cmp_lt_u32_e32 vcc_lo, 3, v5
	s_delay_alu instid0(VALU_DEP_2) | instskip(NEXT) | instid1(VALU_DEP_1)
	v_add_nc_u32_e32 v4, v4, v6
	v_mov_b32_dpp v6, v4 row_shr:4 row_mask:0xf bank_mask:0xf
	s_delay_alu instid0(VALU_DEP_1) | instskip(SKIP_1) | instid1(VALU_DEP_2)
	v_cndmask_b32_e32 v6, 0, v6, vcc_lo
	v_cmp_lt_u32_e32 vcc_lo, 7, v5
	v_add_nc_u32_e32 v4, v4, v6
	s_delay_alu instid0(VALU_DEP_1) | instskip(NEXT) | instid1(VALU_DEP_1)
	v_mov_b32_dpp v6, v4 row_shr:8 row_mask:0xf bank_mask:0xf
	v_dual_cndmask_b32 v5, 0, v6 :: v_dual_and_b32 v6, 0xe0, v0
	s_delay_alu instid0(VALU_DEP_1) | instskip(NEXT) | instid1(VALU_DEP_2)
	v_add_nc_u32_e32 v4, v4, v5
	v_min_u32_e32 v6, 0x82, v6
	ds_swizzle_b32 v5, v4 offset:swizzle(BROADCAST,32,15)
	v_add_nc_u32_e32 v6, 31, v6
	s_waitcnt lgkmcnt(0)
	v_and_b32_e32 v7, v7, v5
	v_lshrrev_b32_e32 v5, 5, v0
	s_delay_alu instid0(VALU_DEP_2)
	v_add_nc_u32_e32 v4, v4, v7
	v_cmpx_eq_u32_e64 v6, v0
	s_cbranch_execz .LBB113_2
; %bb.1:
	s_delay_alu instid0(VALU_DEP_3)
	v_lshlrev_b32_e32 v6, 2, v5
	ds_store_b32 v6, v4
.LBB113_2:
	s_or_b32 exec_lo, exec_lo, s3
	s_delay_alu instid0(SALU_CYCLE_1)
	s_mov_b32 s3, exec_lo
	s_waitcnt lgkmcnt(0)
	s_barrier
	buffer_gl0_inv
	v_cmpx_gt_u32_e32 6, v0
	s_cbranch_execz .LBB113_4
; %bb.3:
	v_and_b32_e32 v8, 7, v3
	s_delay_alu instid0(VALU_DEP_1) | instskip(SKIP_4) | instid1(VALU_DEP_1)
	v_cmp_ne_u32_e32 vcc_lo, 0, v8
	v_lshlrev_b32_e32 v6, 2, v0
	ds_load_b32 v7, v6
	s_waitcnt lgkmcnt(0)
	v_mov_b32_dpp v9, v7 row_shr:1 row_mask:0xf bank_mask:0xf
	v_cndmask_b32_e32 v9, 0, v9, vcc_lo
	v_cmp_lt_u32_e32 vcc_lo, 1, v8
	s_delay_alu instid0(VALU_DEP_2) | instskip(NEXT) | instid1(VALU_DEP_1)
	v_add_nc_u32_e32 v7, v9, v7
	v_mov_b32_dpp v9, v7 row_shr:2 row_mask:0xf bank_mask:0xf
	s_delay_alu instid0(VALU_DEP_1) | instskip(SKIP_1) | instid1(VALU_DEP_2)
	v_cndmask_b32_e32 v9, 0, v9, vcc_lo
	v_cmp_lt_u32_e32 vcc_lo, 3, v8
	v_add_nc_u32_e32 v7, v7, v9
	s_delay_alu instid0(VALU_DEP_1) | instskip(NEXT) | instid1(VALU_DEP_1)
	v_mov_b32_dpp v9, v7 row_shr:4 row_mask:0xf bank_mask:0xf
	v_cndmask_b32_e32 v8, 0, v9, vcc_lo
	s_delay_alu instid0(VALU_DEP_1)
	v_add_nc_u32_e32 v7, v7, v8
	ds_store_b32 v6, v7
.LBB113_4:
	s_or_b32 exec_lo, exec_lo, s3
	s_load_b32 s0, s[0:1], 0x10
	s_mov_b32 s1, exec_lo
	s_waitcnt lgkmcnt(0)
	s_barrier
	buffer_gl0_inv
	v_mov_b32_e32 v6, s0
	v_cmpx_lt_u32_e32 31, v0
	s_cbranch_execz .LBB113_6
; %bb.5:
	v_lshl_add_u32 v5, v5, 2, -4
	ds_load_b32 v5, v5
	s_waitcnt lgkmcnt(0)
	v_add_nc_u32_e32 v6, s0, v5
.LBB113_6:
	s_or_b32 exec_lo, exec_lo, s1
	v_add_nc_u32_e32 v5, -1, v3
	s_mov_b32 s3, 0
	s_mov_b32 s0, exec_lo
	v_add_nc_u32_e32 v4, v6, v4
	s_delay_alu instid0(VALU_DEP_2) | instskip(SKIP_2) | instid1(VALU_DEP_2)
	v_cmp_gt_i32_e32 vcc_lo, 0, v5
	v_cndmask_b32_e32 v5, v5, v3, vcc_lo
	v_cmp_eq_u32_e32 vcc_lo, 0, v3
	v_lshlrev_b32_e32 v5, 2, v5
	ds_bpermute_b32 v4, v5, v4
	s_waitcnt lgkmcnt(0)
	v_cndmask_b32_e32 v3, v4, v6, vcc_lo
	global_store_b32 v[1:2], v3, off
	v_cmpx_eq_u32_e32 0, v0
	s_cbranch_execz .LBB113_8
; %bb.7:
	v_mov_b32_e32 v0, 0
	s_lshl_b64 s[0:1], s[2:3], 2
	s_delay_alu instid0(SALU_CYCLE_1)
	s_add_u32 s0, s6, s0
	s_addc_u32 s1, s7, s1
	ds_load_b32 v1, v0 offset:20
	s_waitcnt lgkmcnt(0)
	global_store_b32 v0, v1, s[0:1]
.LBB113_8:
	s_nop 0
	s_sendmsg sendmsg(MSG_DEALLOC_VGPRS)
	s_endpgm
	.section	.rodata,"a",@progbits
	.p2align	6, 0x0
	.amdhsa_kernel _Z28exclusive_scan_reduce_kernelILj162ELN6hipcub18BlockScanAlgorithmE0EiEvPT1_S3_S2_
		.amdhsa_group_segment_fixed_size 24
		.amdhsa_private_segment_fixed_size 0
		.amdhsa_kernarg_size 20
		.amdhsa_user_sgpr_count 15
		.amdhsa_user_sgpr_dispatch_ptr 0
		.amdhsa_user_sgpr_queue_ptr 0
		.amdhsa_user_sgpr_kernarg_segment_ptr 1
		.amdhsa_user_sgpr_dispatch_id 0
		.amdhsa_user_sgpr_private_segment_size 0
		.amdhsa_wavefront_size32 1
		.amdhsa_uses_dynamic_stack 0
		.amdhsa_enable_private_segment 0
		.amdhsa_system_sgpr_workgroup_id_x 1
		.amdhsa_system_sgpr_workgroup_id_y 0
		.amdhsa_system_sgpr_workgroup_id_z 0
		.amdhsa_system_sgpr_workgroup_info 0
		.amdhsa_system_vgpr_workitem_id 0
		.amdhsa_next_free_vgpr 10
		.amdhsa_next_free_sgpr 16
		.amdhsa_reserve_vcc 1
		.amdhsa_float_round_mode_32 0
		.amdhsa_float_round_mode_16_64 0
		.amdhsa_float_denorm_mode_32 3
		.amdhsa_float_denorm_mode_16_64 3
		.amdhsa_dx10_clamp 1
		.amdhsa_ieee_mode 1
		.amdhsa_fp16_overflow 0
		.amdhsa_workgroup_processor_mode 1
		.amdhsa_memory_ordered 1
		.amdhsa_forward_progress 0
		.amdhsa_shared_vgpr_count 0
		.amdhsa_exception_fp_ieee_invalid_op 0
		.amdhsa_exception_fp_denorm_src 0
		.amdhsa_exception_fp_ieee_div_zero 0
		.amdhsa_exception_fp_ieee_overflow 0
		.amdhsa_exception_fp_ieee_underflow 0
		.amdhsa_exception_fp_ieee_inexact 0
		.amdhsa_exception_int_div_zero 0
	.end_amdhsa_kernel
	.section	.text._Z28exclusive_scan_reduce_kernelILj162ELN6hipcub18BlockScanAlgorithmE0EiEvPT1_S3_S2_,"axG",@progbits,_Z28exclusive_scan_reduce_kernelILj162ELN6hipcub18BlockScanAlgorithmE0EiEvPT1_S3_S2_,comdat
.Lfunc_end113:
	.size	_Z28exclusive_scan_reduce_kernelILj162ELN6hipcub18BlockScanAlgorithmE0EiEvPT1_S3_S2_, .Lfunc_end113-_Z28exclusive_scan_reduce_kernelILj162ELN6hipcub18BlockScanAlgorithmE0EiEvPT1_S3_S2_
                                        ; -- End function
	.section	.AMDGPU.csdata,"",@progbits
; Kernel info:
; codeLenInByte = 612
; NumSgprs: 18
; NumVgprs: 10
; ScratchSize: 0
; MemoryBound: 0
; FloatMode: 240
; IeeeMode: 1
; LDSByteSize: 24 bytes/workgroup (compile time only)
; SGPRBlocks: 2
; VGPRBlocks: 1
; NumSGPRsForWavesPerEU: 18
; NumVGPRsForWavesPerEU: 10
; Occupancy: 15
; WaveLimiterHint : 0
; COMPUTE_PGM_RSRC2:SCRATCH_EN: 0
; COMPUTE_PGM_RSRC2:USER_SGPR: 15
; COMPUTE_PGM_RSRC2:TRAP_HANDLER: 0
; COMPUTE_PGM_RSRC2:TGID_X_EN: 1
; COMPUTE_PGM_RSRC2:TGID_Y_EN: 0
; COMPUTE_PGM_RSRC2:TGID_Z_EN: 0
; COMPUTE_PGM_RSRC2:TIDIG_COMP_CNT: 0
	.section	.text._Z28exclusive_scan_reduce_kernelILj37ELN6hipcub18BlockScanAlgorithmE0EiEvPT1_S3_S2_,"axG",@progbits,_Z28exclusive_scan_reduce_kernelILj37ELN6hipcub18BlockScanAlgorithmE0EiEvPT1_S3_S2_,comdat
	.protected	_Z28exclusive_scan_reduce_kernelILj37ELN6hipcub18BlockScanAlgorithmE0EiEvPT1_S3_S2_ ; -- Begin function _Z28exclusive_scan_reduce_kernelILj37ELN6hipcub18BlockScanAlgorithmE0EiEvPT1_S3_S2_
	.globl	_Z28exclusive_scan_reduce_kernelILj37ELN6hipcub18BlockScanAlgorithmE0EiEvPT1_S3_S2_
	.p2align	8
	.type	_Z28exclusive_scan_reduce_kernelILj37ELN6hipcub18BlockScanAlgorithmE0EiEvPT1_S3_S2_,@function
_Z28exclusive_scan_reduce_kernelILj37ELN6hipcub18BlockScanAlgorithmE0EiEvPT1_S3_S2_: ; @_Z28exclusive_scan_reduce_kernelILj37ELN6hipcub18BlockScanAlgorithmE0EiEvPT1_S3_S2_
; %bb.0:
	s_load_b128 s[4:7], s[0:1], 0x0
	s_mov_b32 s2, s15
	v_mbcnt_lo_u32_b32 v3, -1, 0
	v_mad_u64_u32 v[1:2], null, s2, 37, v[0:1]
	v_mov_b32_e32 v2, 0
	s_mov_b32 s3, exec_lo
	s_delay_alu instid0(VALU_DEP_3) | instskip(SKIP_1) | instid1(VALU_DEP_3)
	v_and_b32_e32 v5, 15, v3
	v_bfe_i32 v7, v3, 4, 1
	v_lshlrev_b64 v[1:2], 2, v[1:2]
	s_waitcnt lgkmcnt(0)
	s_delay_alu instid0(VALU_DEP_1) | instskip(NEXT) | instid1(VALU_DEP_2)
	v_add_co_u32 v1, vcc_lo, s4, v1
	v_add_co_ci_u32_e32 v2, vcc_lo, s5, v2, vcc_lo
	v_cmp_ne_u32_e32 vcc_lo, 0, v5
	global_load_b32 v4, v[1:2], off
	s_waitcnt vmcnt(0)
	v_mov_b32_dpp v6, v4 row_shr:1 row_mask:0xf bank_mask:0xf
	s_delay_alu instid0(VALU_DEP_1) | instskip(SKIP_1) | instid1(VALU_DEP_2)
	v_cndmask_b32_e32 v6, 0, v6, vcc_lo
	v_cmp_lt_u32_e32 vcc_lo, 1, v5
	v_add_nc_u32_e32 v4, v6, v4
	s_delay_alu instid0(VALU_DEP_1) | instskip(NEXT) | instid1(VALU_DEP_1)
	v_mov_b32_dpp v6, v4 row_shr:2 row_mask:0xf bank_mask:0xf
	v_cndmask_b32_e32 v6, 0, v6, vcc_lo
	v_cmp_lt_u32_e32 vcc_lo, 3, v5
	s_delay_alu instid0(VALU_DEP_2) | instskip(NEXT) | instid1(VALU_DEP_1)
	v_add_nc_u32_e32 v4, v4, v6
	v_mov_b32_dpp v6, v4 row_shr:4 row_mask:0xf bank_mask:0xf
	s_delay_alu instid0(VALU_DEP_1) | instskip(SKIP_1) | instid1(VALU_DEP_2)
	v_cndmask_b32_e32 v6, 0, v6, vcc_lo
	v_cmp_lt_u32_e32 vcc_lo, 7, v5
	v_add_nc_u32_e32 v4, v4, v6
	s_delay_alu instid0(VALU_DEP_1) | instskip(NEXT) | instid1(VALU_DEP_1)
	v_mov_b32_dpp v6, v4 row_shr:8 row_mask:0xf bank_mask:0xf
	v_dual_cndmask_b32 v5, 0, v6 :: v_dual_and_b32 v6, 32, v0
	s_delay_alu instid0(VALU_DEP_1) | instskip(NEXT) | instid1(VALU_DEP_2)
	v_add_nc_u32_e32 v4, v4, v5
	v_min_u32_e32 v6, 5, v6
	ds_swizzle_b32 v5, v4 offset:swizzle(BROADCAST,32,15)
	v_add_nc_u32_e32 v6, 31, v6
	s_waitcnt lgkmcnt(0)
	v_and_b32_e32 v7, v7, v5
	v_lshrrev_b32_e32 v5, 5, v0
	s_delay_alu instid0(VALU_DEP_2)
	v_add_nc_u32_e32 v4, v4, v7
	v_cmpx_eq_u32_e64 v6, v0
	s_cbranch_execz .LBB114_2
; %bb.1:
	s_delay_alu instid0(VALU_DEP_3)
	v_lshlrev_b32_e32 v6, 2, v5
	ds_store_b32 v6, v4
.LBB114_2:
	s_or_b32 exec_lo, exec_lo, s3
	s_delay_alu instid0(SALU_CYCLE_1)
	s_mov_b32 s3, exec_lo
	s_waitcnt lgkmcnt(0)
	s_barrier
	buffer_gl0_inv
	v_cmpx_gt_u32_e32 2, v0
	s_cbranch_execz .LBB114_4
; %bb.3:
	v_lshlrev_b32_e32 v6, 2, v0
	v_bfe_i32 v8, v3, 0, 1
	ds_load_b32 v7, v6
	s_waitcnt lgkmcnt(0)
	v_mov_b32_dpp v9, v7 row_shr:1 row_mask:0xf bank_mask:0xf
	s_delay_alu instid0(VALU_DEP_1) | instskip(NEXT) | instid1(VALU_DEP_1)
	v_and_b32_e32 v8, v8, v9
	v_add_nc_u32_e32 v7, v8, v7
	ds_store_b32 v6, v7
.LBB114_4:
	s_or_b32 exec_lo, exec_lo, s3
	s_load_b32 s0, s[0:1], 0x10
	s_mov_b32 s1, exec_lo
	s_waitcnt lgkmcnt(0)
	s_barrier
	buffer_gl0_inv
	v_mov_b32_e32 v6, s0
	v_cmpx_lt_u32_e32 31, v0
	s_cbranch_execz .LBB114_6
; %bb.5:
	v_lshl_add_u32 v5, v5, 2, -4
	ds_load_b32 v5, v5
	s_waitcnt lgkmcnt(0)
	v_add_nc_u32_e32 v6, s0, v5
.LBB114_6:
	s_or_b32 exec_lo, exec_lo, s1
	v_add_nc_u32_e32 v5, -1, v3
	s_mov_b32 s3, 0
	s_mov_b32 s0, exec_lo
	v_add_nc_u32_e32 v4, v6, v4
	s_delay_alu instid0(VALU_DEP_2) | instskip(SKIP_2) | instid1(VALU_DEP_2)
	v_cmp_gt_i32_e32 vcc_lo, 0, v5
	v_cndmask_b32_e32 v5, v5, v3, vcc_lo
	v_cmp_eq_u32_e32 vcc_lo, 0, v3
	v_lshlrev_b32_e32 v5, 2, v5
	ds_bpermute_b32 v4, v5, v4
	s_waitcnt lgkmcnt(0)
	v_cndmask_b32_e32 v3, v4, v6, vcc_lo
	global_store_b32 v[1:2], v3, off
	v_cmpx_eq_u32_e32 0, v0
	s_cbranch_execz .LBB114_8
; %bb.7:
	v_mov_b32_e32 v0, 0
	s_lshl_b64 s[0:1], s[2:3], 2
	s_delay_alu instid0(SALU_CYCLE_1)
	s_add_u32 s0, s6, s0
	s_addc_u32 s1, s7, s1
	ds_load_b32 v1, v0 offset:4
	s_waitcnt lgkmcnt(0)
	global_store_b32 v0, v1, s[0:1]
.LBB114_8:
	s_nop 0
	s_sendmsg sendmsg(MSG_DEALLOC_VGPRS)
	s_endpgm
	.section	.rodata,"a",@progbits
	.p2align	6, 0x0
	.amdhsa_kernel _Z28exclusive_scan_reduce_kernelILj37ELN6hipcub18BlockScanAlgorithmE0EiEvPT1_S3_S2_
		.amdhsa_group_segment_fixed_size 8
		.amdhsa_private_segment_fixed_size 0
		.amdhsa_kernarg_size 20
		.amdhsa_user_sgpr_count 15
		.amdhsa_user_sgpr_dispatch_ptr 0
		.amdhsa_user_sgpr_queue_ptr 0
		.amdhsa_user_sgpr_kernarg_segment_ptr 1
		.amdhsa_user_sgpr_dispatch_id 0
		.amdhsa_user_sgpr_private_segment_size 0
		.amdhsa_wavefront_size32 1
		.amdhsa_uses_dynamic_stack 0
		.amdhsa_enable_private_segment 0
		.amdhsa_system_sgpr_workgroup_id_x 1
		.amdhsa_system_sgpr_workgroup_id_y 0
		.amdhsa_system_sgpr_workgroup_id_z 0
		.amdhsa_system_sgpr_workgroup_info 0
		.amdhsa_system_vgpr_workitem_id 0
		.amdhsa_next_free_vgpr 10
		.amdhsa_next_free_sgpr 16
		.amdhsa_reserve_vcc 1
		.amdhsa_float_round_mode_32 0
		.amdhsa_float_round_mode_16_64 0
		.amdhsa_float_denorm_mode_32 3
		.amdhsa_float_denorm_mode_16_64 3
		.amdhsa_dx10_clamp 1
		.amdhsa_ieee_mode 1
		.amdhsa_fp16_overflow 0
		.amdhsa_workgroup_processor_mode 1
		.amdhsa_memory_ordered 1
		.amdhsa_forward_progress 0
		.amdhsa_shared_vgpr_count 0
		.amdhsa_exception_fp_ieee_invalid_op 0
		.amdhsa_exception_fp_denorm_src 0
		.amdhsa_exception_fp_ieee_div_zero 0
		.amdhsa_exception_fp_ieee_overflow 0
		.amdhsa_exception_fp_ieee_underflow 0
		.amdhsa_exception_fp_ieee_inexact 0
		.amdhsa_exception_int_div_zero 0
	.end_amdhsa_kernel
	.section	.text._Z28exclusive_scan_reduce_kernelILj37ELN6hipcub18BlockScanAlgorithmE0EiEvPT1_S3_S2_,"axG",@progbits,_Z28exclusive_scan_reduce_kernelILj37ELN6hipcub18BlockScanAlgorithmE0EiEvPT1_S3_S2_,comdat
.Lfunc_end114:
	.size	_Z28exclusive_scan_reduce_kernelILj37ELN6hipcub18BlockScanAlgorithmE0EiEvPT1_S3_S2_, .Lfunc_end114-_Z28exclusive_scan_reduce_kernelILj37ELN6hipcub18BlockScanAlgorithmE0EiEvPT1_S3_S2_
                                        ; -- End function
	.section	.AMDGPU.csdata,"",@progbits
; Kernel info:
; codeLenInByte = 544
; NumSgprs: 18
; NumVgprs: 10
; ScratchSize: 0
; MemoryBound: 0
; FloatMode: 240
; IeeeMode: 1
; LDSByteSize: 8 bytes/workgroup (compile time only)
; SGPRBlocks: 2
; VGPRBlocks: 1
; NumSGPRsForWavesPerEU: 18
; NumVGPRsForWavesPerEU: 10
; Occupancy: 16
; WaveLimiterHint : 0
; COMPUTE_PGM_RSRC2:SCRATCH_EN: 0
; COMPUTE_PGM_RSRC2:USER_SGPR: 15
; COMPUTE_PGM_RSRC2:TRAP_HANDLER: 0
; COMPUTE_PGM_RSRC2:TGID_X_EN: 1
; COMPUTE_PGM_RSRC2:TGID_Y_EN: 0
; COMPUTE_PGM_RSRC2:TGID_Z_EN: 0
; COMPUTE_PGM_RSRC2:TIDIG_COMP_CNT: 0
	.section	.text._Z28exclusive_scan_reduce_kernelILj65ELN6hipcub18BlockScanAlgorithmE0EiEvPT1_S3_S2_,"axG",@progbits,_Z28exclusive_scan_reduce_kernelILj65ELN6hipcub18BlockScanAlgorithmE0EiEvPT1_S3_S2_,comdat
	.protected	_Z28exclusive_scan_reduce_kernelILj65ELN6hipcub18BlockScanAlgorithmE0EiEvPT1_S3_S2_ ; -- Begin function _Z28exclusive_scan_reduce_kernelILj65ELN6hipcub18BlockScanAlgorithmE0EiEvPT1_S3_S2_
	.globl	_Z28exclusive_scan_reduce_kernelILj65ELN6hipcub18BlockScanAlgorithmE0EiEvPT1_S3_S2_
	.p2align	8
	.type	_Z28exclusive_scan_reduce_kernelILj65ELN6hipcub18BlockScanAlgorithmE0EiEvPT1_S3_S2_,@function
_Z28exclusive_scan_reduce_kernelILj65ELN6hipcub18BlockScanAlgorithmE0EiEvPT1_S3_S2_: ; @_Z28exclusive_scan_reduce_kernelILj65ELN6hipcub18BlockScanAlgorithmE0EiEvPT1_S3_S2_
; %bb.0:
	s_load_b128 s[4:7], s[0:1], 0x0
	s_mov_b32 s2, s15
	v_mbcnt_lo_u32_b32 v3, -1, 0
	v_mad_u64_u32 v[1:2], null, 0x41, s2, v[0:1]
	v_mov_b32_e32 v2, 0
	s_mov_b32 s3, exec_lo
	s_delay_alu instid0(VALU_DEP_3) | instskip(SKIP_1) | instid1(VALU_DEP_3)
	v_and_b32_e32 v5, 15, v3
	v_bfe_i32 v7, v3, 4, 1
	v_lshlrev_b64 v[1:2], 2, v[1:2]
	s_waitcnt lgkmcnt(0)
	s_delay_alu instid0(VALU_DEP_1) | instskip(NEXT) | instid1(VALU_DEP_2)
	v_add_co_u32 v1, vcc_lo, s4, v1
	v_add_co_ci_u32_e32 v2, vcc_lo, s5, v2, vcc_lo
	v_cmp_ne_u32_e32 vcc_lo, 0, v5
	global_load_b32 v4, v[1:2], off
	s_waitcnt vmcnt(0)
	v_mov_b32_dpp v6, v4 row_shr:1 row_mask:0xf bank_mask:0xf
	s_delay_alu instid0(VALU_DEP_1) | instskip(SKIP_1) | instid1(VALU_DEP_2)
	v_cndmask_b32_e32 v6, 0, v6, vcc_lo
	v_cmp_lt_u32_e32 vcc_lo, 1, v5
	v_add_nc_u32_e32 v4, v6, v4
	s_delay_alu instid0(VALU_DEP_1) | instskip(NEXT) | instid1(VALU_DEP_1)
	v_mov_b32_dpp v6, v4 row_shr:2 row_mask:0xf bank_mask:0xf
	v_cndmask_b32_e32 v6, 0, v6, vcc_lo
	v_cmp_lt_u32_e32 vcc_lo, 3, v5
	s_delay_alu instid0(VALU_DEP_2) | instskip(NEXT) | instid1(VALU_DEP_1)
	v_add_nc_u32_e32 v4, v4, v6
	v_mov_b32_dpp v6, v4 row_shr:4 row_mask:0xf bank_mask:0xf
	s_delay_alu instid0(VALU_DEP_1) | instskip(SKIP_1) | instid1(VALU_DEP_2)
	v_cndmask_b32_e32 v6, 0, v6, vcc_lo
	v_cmp_lt_u32_e32 vcc_lo, 7, v5
	v_add_nc_u32_e32 v4, v4, v6
	s_delay_alu instid0(VALU_DEP_1) | instskip(NEXT) | instid1(VALU_DEP_1)
	v_mov_b32_dpp v6, v4 row_shr:8 row_mask:0xf bank_mask:0xf
	v_dual_cndmask_b32 v5, 0, v6 :: v_dual_and_b32 v6, 0x60, v0
	s_delay_alu instid0(VALU_DEP_1) | instskip(NEXT) | instid1(VALU_DEP_2)
	v_add_nc_u32_e32 v4, v4, v5
	v_min_u32_e32 v6, 33, v6
	ds_swizzle_b32 v5, v4 offset:swizzle(BROADCAST,32,15)
	v_add_nc_u32_e32 v6, 31, v6
	s_waitcnt lgkmcnt(0)
	v_and_b32_e32 v7, v7, v5
	v_lshrrev_b32_e32 v5, 5, v0
	s_delay_alu instid0(VALU_DEP_2)
	v_add_nc_u32_e32 v4, v4, v7
	v_cmpx_eq_u32_e64 v6, v0
	s_cbranch_execz .LBB115_2
; %bb.1:
	s_delay_alu instid0(VALU_DEP_3)
	v_lshlrev_b32_e32 v6, 2, v5
	ds_store_b32 v6, v4
.LBB115_2:
	s_or_b32 exec_lo, exec_lo, s3
	s_delay_alu instid0(SALU_CYCLE_1)
	s_mov_b32 s3, exec_lo
	s_waitcnt lgkmcnt(0)
	s_barrier
	buffer_gl0_inv
	v_cmpx_gt_u32_e32 3, v0
	s_cbranch_execz .LBB115_4
; %bb.3:
	v_and_b32_e32 v8, 3, v3
	s_delay_alu instid0(VALU_DEP_1) | instskip(SKIP_4) | instid1(VALU_DEP_1)
	v_cmp_ne_u32_e32 vcc_lo, 0, v8
	v_lshlrev_b32_e32 v6, 2, v0
	ds_load_b32 v7, v6
	s_waitcnt lgkmcnt(0)
	v_mov_b32_dpp v9, v7 row_shr:1 row_mask:0xf bank_mask:0xf
	v_cndmask_b32_e32 v9, 0, v9, vcc_lo
	v_cmp_lt_u32_e32 vcc_lo, 1, v8
	s_delay_alu instid0(VALU_DEP_2) | instskip(NEXT) | instid1(VALU_DEP_1)
	v_add_nc_u32_e32 v7, v9, v7
	v_mov_b32_dpp v9, v7 row_shr:2 row_mask:0xf bank_mask:0xf
	s_delay_alu instid0(VALU_DEP_1) | instskip(NEXT) | instid1(VALU_DEP_1)
	v_cndmask_b32_e32 v8, 0, v9, vcc_lo
	v_add_nc_u32_e32 v7, v7, v8
	ds_store_b32 v6, v7
.LBB115_4:
	s_or_b32 exec_lo, exec_lo, s3
	s_load_b32 s0, s[0:1], 0x10
	s_mov_b32 s1, exec_lo
	s_waitcnt lgkmcnt(0)
	s_barrier
	buffer_gl0_inv
	v_mov_b32_e32 v6, s0
	v_cmpx_lt_u32_e32 31, v0
	s_cbranch_execz .LBB115_6
; %bb.5:
	v_lshl_add_u32 v5, v5, 2, -4
	ds_load_b32 v5, v5
	s_waitcnt lgkmcnt(0)
	v_add_nc_u32_e32 v6, s0, v5
.LBB115_6:
	s_or_b32 exec_lo, exec_lo, s1
	v_add_nc_u32_e32 v5, -1, v3
	s_mov_b32 s3, 0
	s_mov_b32 s0, exec_lo
	v_add_nc_u32_e32 v4, v6, v4
	s_delay_alu instid0(VALU_DEP_2) | instskip(SKIP_2) | instid1(VALU_DEP_2)
	v_cmp_gt_i32_e32 vcc_lo, 0, v5
	v_cndmask_b32_e32 v5, v5, v3, vcc_lo
	v_cmp_eq_u32_e32 vcc_lo, 0, v3
	v_lshlrev_b32_e32 v5, 2, v5
	ds_bpermute_b32 v4, v5, v4
	s_waitcnt lgkmcnt(0)
	v_cndmask_b32_e32 v3, v4, v6, vcc_lo
	global_store_b32 v[1:2], v3, off
	v_cmpx_eq_u32_e32 0, v0
	s_cbranch_execz .LBB115_8
; %bb.7:
	v_mov_b32_e32 v0, 0
	s_lshl_b64 s[0:1], s[2:3], 2
	s_delay_alu instid0(SALU_CYCLE_1)
	s_add_u32 s0, s6, s0
	s_addc_u32 s1, s7, s1
	ds_load_b32 v1, v0 offset:8
	s_waitcnt lgkmcnt(0)
	global_store_b32 v0, v1, s[0:1]
.LBB115_8:
	s_nop 0
	s_sendmsg sendmsg(MSG_DEALLOC_VGPRS)
	s_endpgm
	.section	.rodata,"a",@progbits
	.p2align	6, 0x0
	.amdhsa_kernel _Z28exclusive_scan_reduce_kernelILj65ELN6hipcub18BlockScanAlgorithmE0EiEvPT1_S3_S2_
		.amdhsa_group_segment_fixed_size 12
		.amdhsa_private_segment_fixed_size 0
		.amdhsa_kernarg_size 20
		.amdhsa_user_sgpr_count 15
		.amdhsa_user_sgpr_dispatch_ptr 0
		.amdhsa_user_sgpr_queue_ptr 0
		.amdhsa_user_sgpr_kernarg_segment_ptr 1
		.amdhsa_user_sgpr_dispatch_id 0
		.amdhsa_user_sgpr_private_segment_size 0
		.amdhsa_wavefront_size32 1
		.amdhsa_uses_dynamic_stack 0
		.amdhsa_enable_private_segment 0
		.amdhsa_system_sgpr_workgroup_id_x 1
		.amdhsa_system_sgpr_workgroup_id_y 0
		.amdhsa_system_sgpr_workgroup_id_z 0
		.amdhsa_system_sgpr_workgroup_info 0
		.amdhsa_system_vgpr_workitem_id 0
		.amdhsa_next_free_vgpr 10
		.amdhsa_next_free_sgpr 16
		.amdhsa_reserve_vcc 1
		.amdhsa_float_round_mode_32 0
		.amdhsa_float_round_mode_16_64 0
		.amdhsa_float_denorm_mode_32 3
		.amdhsa_float_denorm_mode_16_64 3
		.amdhsa_dx10_clamp 1
		.amdhsa_ieee_mode 1
		.amdhsa_fp16_overflow 0
		.amdhsa_workgroup_processor_mode 1
		.amdhsa_memory_ordered 1
		.amdhsa_forward_progress 0
		.amdhsa_shared_vgpr_count 0
		.amdhsa_exception_fp_ieee_invalid_op 0
		.amdhsa_exception_fp_denorm_src 0
		.amdhsa_exception_fp_ieee_div_zero 0
		.amdhsa_exception_fp_ieee_overflow 0
		.amdhsa_exception_fp_ieee_underflow 0
		.amdhsa_exception_fp_ieee_inexact 0
		.amdhsa_exception_int_div_zero 0
	.end_amdhsa_kernel
	.section	.text._Z28exclusive_scan_reduce_kernelILj65ELN6hipcub18BlockScanAlgorithmE0EiEvPT1_S3_S2_,"axG",@progbits,_Z28exclusive_scan_reduce_kernelILj65ELN6hipcub18BlockScanAlgorithmE0EiEvPT1_S3_S2_,comdat
.Lfunc_end115:
	.size	_Z28exclusive_scan_reduce_kernelILj65ELN6hipcub18BlockScanAlgorithmE0EiEvPT1_S3_S2_, .Lfunc_end115-_Z28exclusive_scan_reduce_kernelILj65ELN6hipcub18BlockScanAlgorithmE0EiEvPT1_S3_S2_
                                        ; -- End function
	.section	.AMDGPU.csdata,"",@progbits
; Kernel info:
; codeLenInByte = 580
; NumSgprs: 18
; NumVgprs: 10
; ScratchSize: 0
; MemoryBound: 0
; FloatMode: 240
; IeeeMode: 1
; LDSByteSize: 12 bytes/workgroup (compile time only)
; SGPRBlocks: 2
; VGPRBlocks: 1
; NumSGPRsForWavesPerEU: 18
; NumVGPRsForWavesPerEU: 10
; Occupancy: 16
; WaveLimiterHint : 0
; COMPUTE_PGM_RSRC2:SCRATCH_EN: 0
; COMPUTE_PGM_RSRC2:USER_SGPR: 15
; COMPUTE_PGM_RSRC2:TRAP_HANDLER: 0
; COMPUTE_PGM_RSRC2:TGID_X_EN: 1
; COMPUTE_PGM_RSRC2:TGID_Y_EN: 0
; COMPUTE_PGM_RSRC2:TGID_Z_EN: 0
; COMPUTE_PGM_RSRC2:TIDIG_COMP_CNT: 0
	.section	.text._Z28exclusive_scan_reduce_kernelILj512ELN6hipcub18BlockScanAlgorithmE0EiEvPT1_S3_S2_,"axG",@progbits,_Z28exclusive_scan_reduce_kernelILj512ELN6hipcub18BlockScanAlgorithmE0EiEvPT1_S3_S2_,comdat
	.protected	_Z28exclusive_scan_reduce_kernelILj512ELN6hipcub18BlockScanAlgorithmE0EiEvPT1_S3_S2_ ; -- Begin function _Z28exclusive_scan_reduce_kernelILj512ELN6hipcub18BlockScanAlgorithmE0EiEvPT1_S3_S2_
	.globl	_Z28exclusive_scan_reduce_kernelILj512ELN6hipcub18BlockScanAlgorithmE0EiEvPT1_S3_S2_
	.p2align	8
	.type	_Z28exclusive_scan_reduce_kernelILj512ELN6hipcub18BlockScanAlgorithmE0EiEvPT1_S3_S2_,@function
_Z28exclusive_scan_reduce_kernelILj512ELN6hipcub18BlockScanAlgorithmE0EiEvPT1_S3_S2_: ; @_Z28exclusive_scan_reduce_kernelILj512ELN6hipcub18BlockScanAlgorithmE0EiEvPT1_S3_S2_
; %bb.0:
	s_load_b128 s[4:7], s[0:1], 0x0
	s_mov_b32 s8, s15
	v_mbcnt_lo_u32_b32 v3, -1, 0
	v_mov_b32_e32 v2, 0
	v_lshl_or_b32 v1, s8, 9, v0
	v_or_b32_e32 v7, 31, v0
	s_mov_b32 s9, exec_lo
	v_and_b32_e32 v5, 15, v3
	s_delay_alu instid0(VALU_DEP_3) | instskip(NEXT) | instid1(VALU_DEP_2)
	v_lshlrev_b64 v[1:2], 2, v[1:2]
	v_cmp_lt_u32_e64 s2, 1, v5
	v_cmp_lt_u32_e64 s3, 3, v5
	s_waitcnt lgkmcnt(0)
	s_delay_alu instid0(VALU_DEP_3) | instskip(NEXT) | instid1(VALU_DEP_4)
	v_add_co_u32 v1, vcc_lo, s4, v1
	v_add_co_ci_u32_e32 v2, vcc_lo, s5, v2, vcc_lo
	v_cmp_eq_u32_e32 vcc_lo, 0, v5
	v_cmp_lt_u32_e64 s4, 7, v5
	global_load_b32 v4, v[1:2], off
	s_waitcnt vmcnt(0)
	v_mov_b32_dpp v6, v4 row_shr:1 row_mask:0xf bank_mask:0xf
	s_delay_alu instid0(VALU_DEP_1) | instskip(NEXT) | instid1(VALU_DEP_1)
	v_cndmask_b32_e64 v6, v6, 0, vcc_lo
	v_add_nc_u32_e32 v4, v6, v4
	s_delay_alu instid0(VALU_DEP_1) | instskip(NEXT) | instid1(VALU_DEP_1)
	v_mov_b32_dpp v6, v4 row_shr:2 row_mask:0xf bank_mask:0xf
	v_cndmask_b32_e64 v6, 0, v6, s2
	s_delay_alu instid0(VALU_DEP_1) | instskip(NEXT) | instid1(VALU_DEP_1)
	v_add_nc_u32_e32 v4, v4, v6
	v_mov_b32_dpp v6, v4 row_shr:4 row_mask:0xf bank_mask:0xf
	s_delay_alu instid0(VALU_DEP_1) | instskip(NEXT) | instid1(VALU_DEP_1)
	v_cndmask_b32_e64 v6, 0, v6, s3
	v_add_nc_u32_e32 v4, v4, v6
	s_delay_alu instid0(VALU_DEP_1) | instskip(NEXT) | instid1(VALU_DEP_1)
	v_mov_b32_dpp v6, v4 row_shr:8 row_mask:0xf bank_mask:0xf
	v_cndmask_b32_e64 v5, 0, v6, s4
	v_bfe_i32 v6, v3, 4, 1
	s_delay_alu instid0(VALU_DEP_2) | instskip(SKIP_4) | instid1(VALU_DEP_2)
	v_add_nc_u32_e32 v4, v4, v5
	ds_swizzle_b32 v5, v4 offset:swizzle(BROADCAST,32,15)
	s_waitcnt lgkmcnt(0)
	v_and_b32_e32 v6, v6, v5
	v_lshrrev_b32_e32 v5, 5, v0
	v_add_nc_u32_e32 v4, v4, v6
	v_cmpx_eq_u32_e64 v7, v0
	s_cbranch_execz .LBB116_2
; %bb.1:
	s_delay_alu instid0(VALU_DEP_3)
	v_lshlrev_b32_e32 v6, 2, v5
	ds_store_b32 v6, v4
.LBB116_2:
	s_or_b32 exec_lo, exec_lo, s9
	s_delay_alu instid0(SALU_CYCLE_1)
	s_mov_b32 s9, exec_lo
	s_waitcnt lgkmcnt(0)
	s_barrier
	buffer_gl0_inv
	v_cmpx_gt_u32_e32 16, v0
	s_cbranch_execz .LBB116_4
; %bb.3:
	v_lshlrev_b32_e32 v6, 2, v0
	ds_load_b32 v7, v6
	s_waitcnt lgkmcnt(0)
	v_mov_b32_dpp v8, v7 row_shr:1 row_mask:0xf bank_mask:0xf
	s_delay_alu instid0(VALU_DEP_1) | instskip(NEXT) | instid1(VALU_DEP_1)
	v_cndmask_b32_e64 v8, v8, 0, vcc_lo
	v_add_nc_u32_e32 v7, v8, v7
	s_delay_alu instid0(VALU_DEP_1) | instskip(NEXT) | instid1(VALU_DEP_1)
	v_mov_b32_dpp v8, v7 row_shr:2 row_mask:0xf bank_mask:0xf
	v_cndmask_b32_e64 v8, 0, v8, s2
	s_delay_alu instid0(VALU_DEP_1) | instskip(NEXT) | instid1(VALU_DEP_1)
	v_add_nc_u32_e32 v7, v7, v8
	v_mov_b32_dpp v8, v7 row_shr:4 row_mask:0xf bank_mask:0xf
	s_delay_alu instid0(VALU_DEP_1) | instskip(NEXT) | instid1(VALU_DEP_1)
	v_cndmask_b32_e64 v8, 0, v8, s3
	v_add_nc_u32_e32 v7, v7, v8
	s_delay_alu instid0(VALU_DEP_1) | instskip(NEXT) | instid1(VALU_DEP_1)
	v_mov_b32_dpp v8, v7 row_shr:8 row_mask:0xf bank_mask:0xf
	v_cndmask_b32_e64 v8, 0, v8, s4
	s_delay_alu instid0(VALU_DEP_1)
	v_add_nc_u32_e32 v7, v7, v8
	ds_store_b32 v6, v7
.LBB116_4:
	s_or_b32 exec_lo, exec_lo, s9
	s_load_b32 s0, s[0:1], 0x10
	s_mov_b32 s1, exec_lo
	s_waitcnt lgkmcnt(0)
	s_barrier
	buffer_gl0_inv
	v_mov_b32_e32 v6, s0
	v_cmpx_lt_u32_e32 31, v0
	s_cbranch_execz .LBB116_6
; %bb.5:
	v_lshl_add_u32 v5, v5, 2, -4
	ds_load_b32 v5, v5
	s_waitcnt lgkmcnt(0)
	v_add_nc_u32_e32 v6, s0, v5
.LBB116_6:
	s_or_b32 exec_lo, exec_lo, s1
	v_add_nc_u32_e32 v5, -1, v3
	s_mov_b32 s9, 0
	s_mov_b32 s0, exec_lo
	v_add_nc_u32_e32 v4, v6, v4
	s_delay_alu instid0(VALU_DEP_2) | instskip(SKIP_2) | instid1(VALU_DEP_2)
	v_cmp_gt_i32_e32 vcc_lo, 0, v5
	v_cndmask_b32_e32 v5, v5, v3, vcc_lo
	v_cmp_eq_u32_e32 vcc_lo, 0, v3
	v_lshlrev_b32_e32 v5, 2, v5
	ds_bpermute_b32 v4, v5, v4
	s_waitcnt lgkmcnt(0)
	v_cndmask_b32_e32 v3, v4, v6, vcc_lo
	global_store_b32 v[1:2], v3, off
	v_cmpx_eq_u32_e32 0, v0
	s_cbranch_execz .LBB116_8
; %bb.7:
	v_mov_b32_e32 v0, 0
	s_lshl_b64 s[0:1], s[8:9], 2
	s_delay_alu instid0(SALU_CYCLE_1)
	s_add_u32 s0, s6, s0
	s_addc_u32 s1, s7, s1
	ds_load_b32 v1, v0 offset:60
	s_waitcnt lgkmcnt(0)
	global_store_b32 v0, v1, s[0:1]
.LBB116_8:
	s_nop 0
	s_sendmsg sendmsg(MSG_DEALLOC_VGPRS)
	s_endpgm
	.section	.rodata,"a",@progbits
	.p2align	6, 0x0
	.amdhsa_kernel _Z28exclusive_scan_reduce_kernelILj512ELN6hipcub18BlockScanAlgorithmE0EiEvPT1_S3_S2_
		.amdhsa_group_segment_fixed_size 64
		.amdhsa_private_segment_fixed_size 0
		.amdhsa_kernarg_size 20
		.amdhsa_user_sgpr_count 15
		.amdhsa_user_sgpr_dispatch_ptr 0
		.amdhsa_user_sgpr_queue_ptr 0
		.amdhsa_user_sgpr_kernarg_segment_ptr 1
		.amdhsa_user_sgpr_dispatch_id 0
		.amdhsa_user_sgpr_private_segment_size 0
		.amdhsa_wavefront_size32 1
		.amdhsa_uses_dynamic_stack 0
		.amdhsa_enable_private_segment 0
		.amdhsa_system_sgpr_workgroup_id_x 1
		.amdhsa_system_sgpr_workgroup_id_y 0
		.amdhsa_system_sgpr_workgroup_id_z 0
		.amdhsa_system_sgpr_workgroup_info 0
		.amdhsa_system_vgpr_workitem_id 0
		.amdhsa_next_free_vgpr 9
		.amdhsa_next_free_sgpr 16
		.amdhsa_reserve_vcc 1
		.amdhsa_float_round_mode_32 0
		.amdhsa_float_round_mode_16_64 0
		.amdhsa_float_denorm_mode_32 3
		.amdhsa_float_denorm_mode_16_64 3
		.amdhsa_dx10_clamp 1
		.amdhsa_ieee_mode 1
		.amdhsa_fp16_overflow 0
		.amdhsa_workgroup_processor_mode 1
		.amdhsa_memory_ordered 1
		.amdhsa_forward_progress 0
		.amdhsa_shared_vgpr_count 0
		.amdhsa_exception_fp_ieee_invalid_op 0
		.amdhsa_exception_fp_denorm_src 0
		.amdhsa_exception_fp_ieee_div_zero 0
		.amdhsa_exception_fp_ieee_overflow 0
		.amdhsa_exception_fp_ieee_underflow 0
		.amdhsa_exception_fp_ieee_inexact 0
		.amdhsa_exception_int_div_zero 0
	.end_amdhsa_kernel
	.section	.text._Z28exclusive_scan_reduce_kernelILj512ELN6hipcub18BlockScanAlgorithmE0EiEvPT1_S3_S2_,"axG",@progbits,_Z28exclusive_scan_reduce_kernelILj512ELN6hipcub18BlockScanAlgorithmE0EiEvPT1_S3_S2_,comdat
.Lfunc_end116:
	.size	_Z28exclusive_scan_reduce_kernelILj512ELN6hipcub18BlockScanAlgorithmE0EiEvPT1_S3_S2_, .Lfunc_end116-_Z28exclusive_scan_reduce_kernelILj512ELN6hipcub18BlockScanAlgorithmE0EiEvPT1_S3_S2_
                                        ; -- End function
	.section	.AMDGPU.csdata,"",@progbits
; Kernel info:
; codeLenInByte = 636
; NumSgprs: 18
; NumVgprs: 9
; ScratchSize: 0
; MemoryBound: 0
; FloatMode: 240
; IeeeMode: 1
; LDSByteSize: 64 bytes/workgroup (compile time only)
; SGPRBlocks: 2
; VGPRBlocks: 1
; NumSGPRsForWavesPerEU: 18
; NumVGPRsForWavesPerEU: 9
; Occupancy: 16
; WaveLimiterHint : 0
; COMPUTE_PGM_RSRC2:SCRATCH_EN: 0
; COMPUTE_PGM_RSRC2:USER_SGPR: 15
; COMPUTE_PGM_RSRC2:TRAP_HANDLER: 0
; COMPUTE_PGM_RSRC2:TGID_X_EN: 1
; COMPUTE_PGM_RSRC2:TGID_Y_EN: 0
; COMPUTE_PGM_RSRC2:TGID_Z_EN: 0
; COMPUTE_PGM_RSRC2:TIDIG_COMP_CNT: 0
	.section	.text._Z28exclusive_scan_reduce_kernelILj256ELN6hipcub18BlockScanAlgorithmE0EiEvPT1_S3_S2_,"axG",@progbits,_Z28exclusive_scan_reduce_kernelILj256ELN6hipcub18BlockScanAlgorithmE0EiEvPT1_S3_S2_,comdat
	.protected	_Z28exclusive_scan_reduce_kernelILj256ELN6hipcub18BlockScanAlgorithmE0EiEvPT1_S3_S2_ ; -- Begin function _Z28exclusive_scan_reduce_kernelILj256ELN6hipcub18BlockScanAlgorithmE0EiEvPT1_S3_S2_
	.globl	_Z28exclusive_scan_reduce_kernelILj256ELN6hipcub18BlockScanAlgorithmE0EiEvPT1_S3_S2_
	.p2align	8
	.type	_Z28exclusive_scan_reduce_kernelILj256ELN6hipcub18BlockScanAlgorithmE0EiEvPT1_S3_S2_,@function
_Z28exclusive_scan_reduce_kernelILj256ELN6hipcub18BlockScanAlgorithmE0EiEvPT1_S3_S2_: ; @_Z28exclusive_scan_reduce_kernelILj256ELN6hipcub18BlockScanAlgorithmE0EiEvPT1_S3_S2_
; %bb.0:
	s_load_b128 s[4:7], s[0:1], 0x0
	s_mov_b32 s2, s15
	v_mbcnt_lo_u32_b32 v3, -1, 0
	v_mov_b32_e32 v2, 0
	v_lshl_or_b32 v1, s2, 8, v0
	v_or_b32_e32 v7, 31, v0
	s_mov_b32 s3, exec_lo
	v_and_b32_e32 v5, 15, v3
	s_delay_alu instid0(VALU_DEP_3) | instskip(SKIP_1) | instid1(VALU_DEP_1)
	v_lshlrev_b64 v[1:2], 2, v[1:2]
	s_waitcnt lgkmcnt(0)
	v_add_co_u32 v1, vcc_lo, s4, v1
	s_delay_alu instid0(VALU_DEP_2) | instskip(SKIP_4) | instid1(VALU_DEP_1)
	v_add_co_ci_u32_e32 v2, vcc_lo, s5, v2, vcc_lo
	v_cmp_ne_u32_e32 vcc_lo, 0, v5
	global_load_b32 v4, v[1:2], off
	s_waitcnt vmcnt(0)
	v_mov_b32_dpp v6, v4 row_shr:1 row_mask:0xf bank_mask:0xf
	v_cndmask_b32_e32 v6, 0, v6, vcc_lo
	v_cmp_lt_u32_e32 vcc_lo, 1, v5
	s_delay_alu instid0(VALU_DEP_2) | instskip(NEXT) | instid1(VALU_DEP_1)
	v_add_nc_u32_e32 v4, v6, v4
	v_mov_b32_dpp v6, v4 row_shr:2 row_mask:0xf bank_mask:0xf
	s_delay_alu instid0(VALU_DEP_1) | instskip(SKIP_1) | instid1(VALU_DEP_2)
	v_cndmask_b32_e32 v6, 0, v6, vcc_lo
	v_cmp_lt_u32_e32 vcc_lo, 3, v5
	v_add_nc_u32_e32 v4, v4, v6
	s_delay_alu instid0(VALU_DEP_1) | instskip(NEXT) | instid1(VALU_DEP_1)
	v_mov_b32_dpp v6, v4 row_shr:4 row_mask:0xf bank_mask:0xf
	v_cndmask_b32_e32 v6, 0, v6, vcc_lo
	v_cmp_lt_u32_e32 vcc_lo, 7, v5
	s_delay_alu instid0(VALU_DEP_2) | instskip(NEXT) | instid1(VALU_DEP_1)
	v_add_nc_u32_e32 v4, v4, v6
	v_mov_b32_dpp v6, v4 row_shr:8 row_mask:0xf bank_mask:0xf
	s_delay_alu instid0(VALU_DEP_1) | instskip(SKIP_1) | instid1(VALU_DEP_2)
	v_cndmask_b32_e32 v5, 0, v6, vcc_lo
	v_bfe_i32 v6, v3, 4, 1
	v_add_nc_u32_e32 v4, v4, v5
	ds_swizzle_b32 v5, v4 offset:swizzle(BROADCAST,32,15)
	s_waitcnt lgkmcnt(0)
	v_and_b32_e32 v6, v6, v5
	v_lshrrev_b32_e32 v5, 5, v0
	s_delay_alu instid0(VALU_DEP_2)
	v_add_nc_u32_e32 v4, v4, v6
	v_cmpx_eq_u32_e64 v7, v0
	s_cbranch_execz .LBB117_2
; %bb.1:
	s_delay_alu instid0(VALU_DEP_3)
	v_lshlrev_b32_e32 v6, 2, v5
	ds_store_b32 v6, v4
.LBB117_2:
	s_or_b32 exec_lo, exec_lo, s3
	s_delay_alu instid0(SALU_CYCLE_1)
	s_mov_b32 s3, exec_lo
	s_waitcnt lgkmcnt(0)
	s_barrier
	buffer_gl0_inv
	v_cmpx_gt_u32_e32 8, v0
	s_cbranch_execz .LBB117_4
; %bb.3:
	v_and_b32_e32 v8, 7, v3
	s_delay_alu instid0(VALU_DEP_1) | instskip(SKIP_4) | instid1(VALU_DEP_1)
	v_cmp_ne_u32_e32 vcc_lo, 0, v8
	v_lshlrev_b32_e32 v6, 2, v0
	ds_load_b32 v7, v6
	s_waitcnt lgkmcnt(0)
	v_mov_b32_dpp v9, v7 row_shr:1 row_mask:0xf bank_mask:0xf
	v_cndmask_b32_e32 v9, 0, v9, vcc_lo
	v_cmp_lt_u32_e32 vcc_lo, 1, v8
	s_delay_alu instid0(VALU_DEP_2) | instskip(NEXT) | instid1(VALU_DEP_1)
	v_add_nc_u32_e32 v7, v9, v7
	v_mov_b32_dpp v9, v7 row_shr:2 row_mask:0xf bank_mask:0xf
	s_delay_alu instid0(VALU_DEP_1) | instskip(SKIP_1) | instid1(VALU_DEP_2)
	v_cndmask_b32_e32 v9, 0, v9, vcc_lo
	v_cmp_lt_u32_e32 vcc_lo, 3, v8
	v_add_nc_u32_e32 v7, v7, v9
	s_delay_alu instid0(VALU_DEP_1) | instskip(NEXT) | instid1(VALU_DEP_1)
	v_mov_b32_dpp v9, v7 row_shr:4 row_mask:0xf bank_mask:0xf
	v_cndmask_b32_e32 v8, 0, v9, vcc_lo
	s_delay_alu instid0(VALU_DEP_1)
	v_add_nc_u32_e32 v7, v7, v8
	ds_store_b32 v6, v7
.LBB117_4:
	s_or_b32 exec_lo, exec_lo, s3
	s_load_b32 s0, s[0:1], 0x10
	s_mov_b32 s1, exec_lo
	s_waitcnt lgkmcnt(0)
	s_barrier
	buffer_gl0_inv
	v_mov_b32_e32 v6, s0
	v_cmpx_lt_u32_e32 31, v0
	s_cbranch_execz .LBB117_6
; %bb.5:
	v_lshl_add_u32 v5, v5, 2, -4
	ds_load_b32 v5, v5
	s_waitcnt lgkmcnt(0)
	v_add_nc_u32_e32 v6, s0, v5
.LBB117_6:
	s_or_b32 exec_lo, exec_lo, s1
	v_add_nc_u32_e32 v5, -1, v3
	s_mov_b32 s3, 0
	s_mov_b32 s0, exec_lo
	v_add_nc_u32_e32 v4, v6, v4
	s_delay_alu instid0(VALU_DEP_2) | instskip(SKIP_2) | instid1(VALU_DEP_2)
	v_cmp_gt_i32_e32 vcc_lo, 0, v5
	v_cndmask_b32_e32 v5, v5, v3, vcc_lo
	v_cmp_eq_u32_e32 vcc_lo, 0, v3
	v_lshlrev_b32_e32 v5, 2, v5
	ds_bpermute_b32 v4, v5, v4
	s_waitcnt lgkmcnt(0)
	v_cndmask_b32_e32 v3, v4, v6, vcc_lo
	global_store_b32 v[1:2], v3, off
	v_cmpx_eq_u32_e32 0, v0
	s_cbranch_execz .LBB117_8
; %bb.7:
	v_mov_b32_e32 v0, 0
	s_lshl_b64 s[0:1], s[2:3], 2
	s_delay_alu instid0(SALU_CYCLE_1)
	s_add_u32 s0, s6, s0
	s_addc_u32 s1, s7, s1
	ds_load_b32 v1, v0 offset:28
	s_waitcnt lgkmcnt(0)
	global_store_b32 v0, v1, s[0:1]
.LBB117_8:
	s_nop 0
	s_sendmsg sendmsg(MSG_DEALLOC_VGPRS)
	s_endpgm
	.section	.rodata,"a",@progbits
	.p2align	6, 0x0
	.amdhsa_kernel _Z28exclusive_scan_reduce_kernelILj256ELN6hipcub18BlockScanAlgorithmE0EiEvPT1_S3_S2_
		.amdhsa_group_segment_fixed_size 32
		.amdhsa_private_segment_fixed_size 0
		.amdhsa_kernarg_size 20
		.amdhsa_user_sgpr_count 15
		.amdhsa_user_sgpr_dispatch_ptr 0
		.amdhsa_user_sgpr_queue_ptr 0
		.amdhsa_user_sgpr_kernarg_segment_ptr 1
		.amdhsa_user_sgpr_dispatch_id 0
		.amdhsa_user_sgpr_private_segment_size 0
		.amdhsa_wavefront_size32 1
		.amdhsa_uses_dynamic_stack 0
		.amdhsa_enable_private_segment 0
		.amdhsa_system_sgpr_workgroup_id_x 1
		.amdhsa_system_sgpr_workgroup_id_y 0
		.amdhsa_system_sgpr_workgroup_id_z 0
		.amdhsa_system_sgpr_workgroup_info 0
		.amdhsa_system_vgpr_workitem_id 0
		.amdhsa_next_free_vgpr 10
		.amdhsa_next_free_sgpr 16
		.amdhsa_reserve_vcc 1
		.amdhsa_float_round_mode_32 0
		.amdhsa_float_round_mode_16_64 0
		.amdhsa_float_denorm_mode_32 3
		.amdhsa_float_denorm_mode_16_64 3
		.amdhsa_dx10_clamp 1
		.amdhsa_ieee_mode 1
		.amdhsa_fp16_overflow 0
		.amdhsa_workgroup_processor_mode 1
		.amdhsa_memory_ordered 1
		.amdhsa_forward_progress 0
		.amdhsa_shared_vgpr_count 0
		.amdhsa_exception_fp_ieee_invalid_op 0
		.amdhsa_exception_fp_denorm_src 0
		.amdhsa_exception_fp_ieee_div_zero 0
		.amdhsa_exception_fp_ieee_overflow 0
		.amdhsa_exception_fp_ieee_underflow 0
		.amdhsa_exception_fp_ieee_inexact 0
		.amdhsa_exception_int_div_zero 0
	.end_amdhsa_kernel
	.section	.text._Z28exclusive_scan_reduce_kernelILj256ELN6hipcub18BlockScanAlgorithmE0EiEvPT1_S3_S2_,"axG",@progbits,_Z28exclusive_scan_reduce_kernelILj256ELN6hipcub18BlockScanAlgorithmE0EiEvPT1_S3_S2_,comdat
.Lfunc_end117:
	.size	_Z28exclusive_scan_reduce_kernelILj256ELN6hipcub18BlockScanAlgorithmE0EiEvPT1_S3_S2_, .Lfunc_end117-_Z28exclusive_scan_reduce_kernelILj256ELN6hipcub18BlockScanAlgorithmE0EiEvPT1_S3_S2_
                                        ; -- End function
	.section	.AMDGPU.csdata,"",@progbits
; Kernel info:
; codeLenInByte = 588
; NumSgprs: 18
; NumVgprs: 10
; ScratchSize: 0
; MemoryBound: 0
; FloatMode: 240
; IeeeMode: 1
; LDSByteSize: 32 bytes/workgroup (compile time only)
; SGPRBlocks: 2
; VGPRBlocks: 1
; NumSGPRsForWavesPerEU: 18
; NumVGPRsForWavesPerEU: 10
; Occupancy: 16
; WaveLimiterHint : 0
; COMPUTE_PGM_RSRC2:SCRATCH_EN: 0
; COMPUTE_PGM_RSRC2:USER_SGPR: 15
; COMPUTE_PGM_RSRC2:TRAP_HANDLER: 0
; COMPUTE_PGM_RSRC2:TGID_X_EN: 1
; COMPUTE_PGM_RSRC2:TGID_Y_EN: 0
; COMPUTE_PGM_RSRC2:TGID_Z_EN: 0
; COMPUTE_PGM_RSRC2:TIDIG_COMP_CNT: 0
	.section	.text._Z28exclusive_scan_reduce_kernelILj128ELN6hipcub18BlockScanAlgorithmE0EiEvPT1_S3_S2_,"axG",@progbits,_Z28exclusive_scan_reduce_kernelILj128ELN6hipcub18BlockScanAlgorithmE0EiEvPT1_S3_S2_,comdat
	.protected	_Z28exclusive_scan_reduce_kernelILj128ELN6hipcub18BlockScanAlgorithmE0EiEvPT1_S3_S2_ ; -- Begin function _Z28exclusive_scan_reduce_kernelILj128ELN6hipcub18BlockScanAlgorithmE0EiEvPT1_S3_S2_
	.globl	_Z28exclusive_scan_reduce_kernelILj128ELN6hipcub18BlockScanAlgorithmE0EiEvPT1_S3_S2_
	.p2align	8
	.type	_Z28exclusive_scan_reduce_kernelILj128ELN6hipcub18BlockScanAlgorithmE0EiEvPT1_S3_S2_,@function
_Z28exclusive_scan_reduce_kernelILj128ELN6hipcub18BlockScanAlgorithmE0EiEvPT1_S3_S2_: ; @_Z28exclusive_scan_reduce_kernelILj128ELN6hipcub18BlockScanAlgorithmE0EiEvPT1_S3_S2_
; %bb.0:
	s_load_b128 s[4:7], s[0:1], 0x0
	s_mov_b32 s2, s15
	v_mbcnt_lo_u32_b32 v3, -1, 0
	v_mov_b32_e32 v2, 0
	v_lshl_or_b32 v1, s2, 7, v0
	v_or_b32_e32 v7, 31, v0
	s_mov_b32 s3, exec_lo
	v_and_b32_e32 v5, 15, v3
	s_delay_alu instid0(VALU_DEP_3) | instskip(SKIP_1) | instid1(VALU_DEP_1)
	v_lshlrev_b64 v[1:2], 2, v[1:2]
	s_waitcnt lgkmcnt(0)
	v_add_co_u32 v1, vcc_lo, s4, v1
	s_delay_alu instid0(VALU_DEP_2) | instskip(SKIP_4) | instid1(VALU_DEP_1)
	v_add_co_ci_u32_e32 v2, vcc_lo, s5, v2, vcc_lo
	v_cmp_ne_u32_e32 vcc_lo, 0, v5
	global_load_b32 v4, v[1:2], off
	s_waitcnt vmcnt(0)
	v_mov_b32_dpp v6, v4 row_shr:1 row_mask:0xf bank_mask:0xf
	v_cndmask_b32_e32 v6, 0, v6, vcc_lo
	v_cmp_lt_u32_e32 vcc_lo, 1, v5
	s_delay_alu instid0(VALU_DEP_2) | instskip(NEXT) | instid1(VALU_DEP_1)
	v_add_nc_u32_e32 v4, v6, v4
	v_mov_b32_dpp v6, v4 row_shr:2 row_mask:0xf bank_mask:0xf
	s_delay_alu instid0(VALU_DEP_1) | instskip(SKIP_1) | instid1(VALU_DEP_2)
	v_cndmask_b32_e32 v6, 0, v6, vcc_lo
	v_cmp_lt_u32_e32 vcc_lo, 3, v5
	v_add_nc_u32_e32 v4, v4, v6
	s_delay_alu instid0(VALU_DEP_1) | instskip(NEXT) | instid1(VALU_DEP_1)
	v_mov_b32_dpp v6, v4 row_shr:4 row_mask:0xf bank_mask:0xf
	v_cndmask_b32_e32 v6, 0, v6, vcc_lo
	v_cmp_lt_u32_e32 vcc_lo, 7, v5
	s_delay_alu instid0(VALU_DEP_2) | instskip(NEXT) | instid1(VALU_DEP_1)
	v_add_nc_u32_e32 v4, v4, v6
	v_mov_b32_dpp v6, v4 row_shr:8 row_mask:0xf bank_mask:0xf
	s_delay_alu instid0(VALU_DEP_1) | instskip(SKIP_1) | instid1(VALU_DEP_2)
	v_cndmask_b32_e32 v5, 0, v6, vcc_lo
	v_bfe_i32 v6, v3, 4, 1
	v_add_nc_u32_e32 v4, v4, v5
	ds_swizzle_b32 v5, v4 offset:swizzle(BROADCAST,32,15)
	s_waitcnt lgkmcnt(0)
	v_and_b32_e32 v6, v6, v5
	v_lshrrev_b32_e32 v5, 5, v0
	s_delay_alu instid0(VALU_DEP_2)
	v_add_nc_u32_e32 v4, v4, v6
	v_cmpx_eq_u32_e64 v7, v0
	s_cbranch_execz .LBB118_2
; %bb.1:
	s_delay_alu instid0(VALU_DEP_3)
	v_lshlrev_b32_e32 v6, 2, v5
	ds_store_b32 v6, v4
.LBB118_2:
	s_or_b32 exec_lo, exec_lo, s3
	s_delay_alu instid0(SALU_CYCLE_1)
	s_mov_b32 s3, exec_lo
	s_waitcnt lgkmcnt(0)
	s_barrier
	buffer_gl0_inv
	v_cmpx_gt_u32_e32 4, v0
	s_cbranch_execz .LBB118_4
; %bb.3:
	v_and_b32_e32 v8, 3, v3
	s_delay_alu instid0(VALU_DEP_1) | instskip(SKIP_4) | instid1(VALU_DEP_1)
	v_cmp_ne_u32_e32 vcc_lo, 0, v8
	v_lshlrev_b32_e32 v6, 2, v0
	ds_load_b32 v7, v6
	s_waitcnt lgkmcnt(0)
	v_mov_b32_dpp v9, v7 row_shr:1 row_mask:0xf bank_mask:0xf
	v_cndmask_b32_e32 v9, 0, v9, vcc_lo
	v_cmp_lt_u32_e32 vcc_lo, 1, v8
	s_delay_alu instid0(VALU_DEP_2) | instskip(NEXT) | instid1(VALU_DEP_1)
	v_add_nc_u32_e32 v7, v9, v7
	v_mov_b32_dpp v9, v7 row_shr:2 row_mask:0xf bank_mask:0xf
	s_delay_alu instid0(VALU_DEP_1) | instskip(NEXT) | instid1(VALU_DEP_1)
	v_cndmask_b32_e32 v8, 0, v9, vcc_lo
	v_add_nc_u32_e32 v7, v7, v8
	ds_store_b32 v6, v7
.LBB118_4:
	s_or_b32 exec_lo, exec_lo, s3
	s_load_b32 s0, s[0:1], 0x10
	s_mov_b32 s1, exec_lo
	s_waitcnt lgkmcnt(0)
	s_barrier
	buffer_gl0_inv
	v_mov_b32_e32 v6, s0
	v_cmpx_lt_u32_e32 31, v0
	s_cbranch_execz .LBB118_6
; %bb.5:
	v_lshl_add_u32 v5, v5, 2, -4
	ds_load_b32 v5, v5
	s_waitcnt lgkmcnt(0)
	v_add_nc_u32_e32 v6, s0, v5
.LBB118_6:
	s_or_b32 exec_lo, exec_lo, s1
	v_add_nc_u32_e32 v5, -1, v3
	s_mov_b32 s3, 0
	s_mov_b32 s0, exec_lo
	v_add_nc_u32_e32 v4, v6, v4
	s_delay_alu instid0(VALU_DEP_2) | instskip(SKIP_2) | instid1(VALU_DEP_2)
	v_cmp_gt_i32_e32 vcc_lo, 0, v5
	v_cndmask_b32_e32 v5, v5, v3, vcc_lo
	v_cmp_eq_u32_e32 vcc_lo, 0, v3
	v_lshlrev_b32_e32 v5, 2, v5
	ds_bpermute_b32 v4, v5, v4
	s_waitcnt lgkmcnt(0)
	v_cndmask_b32_e32 v3, v4, v6, vcc_lo
	global_store_b32 v[1:2], v3, off
	v_cmpx_eq_u32_e32 0, v0
	s_cbranch_execz .LBB118_8
; %bb.7:
	v_mov_b32_e32 v0, 0
	s_lshl_b64 s[0:1], s[2:3], 2
	s_delay_alu instid0(SALU_CYCLE_1)
	s_add_u32 s0, s6, s0
	s_addc_u32 s1, s7, s1
	ds_load_b32 v1, v0 offset:12
	s_waitcnt lgkmcnt(0)
	global_store_b32 v0, v1, s[0:1]
.LBB118_8:
	s_nop 0
	s_sendmsg sendmsg(MSG_DEALLOC_VGPRS)
	s_endpgm
	.section	.rodata,"a",@progbits
	.p2align	6, 0x0
	.amdhsa_kernel _Z28exclusive_scan_reduce_kernelILj128ELN6hipcub18BlockScanAlgorithmE0EiEvPT1_S3_S2_
		.amdhsa_group_segment_fixed_size 16
		.amdhsa_private_segment_fixed_size 0
		.amdhsa_kernarg_size 20
		.amdhsa_user_sgpr_count 15
		.amdhsa_user_sgpr_dispatch_ptr 0
		.amdhsa_user_sgpr_queue_ptr 0
		.amdhsa_user_sgpr_kernarg_segment_ptr 1
		.amdhsa_user_sgpr_dispatch_id 0
		.amdhsa_user_sgpr_private_segment_size 0
		.amdhsa_wavefront_size32 1
		.amdhsa_uses_dynamic_stack 0
		.amdhsa_enable_private_segment 0
		.amdhsa_system_sgpr_workgroup_id_x 1
		.amdhsa_system_sgpr_workgroup_id_y 0
		.amdhsa_system_sgpr_workgroup_id_z 0
		.amdhsa_system_sgpr_workgroup_info 0
		.amdhsa_system_vgpr_workitem_id 0
		.amdhsa_next_free_vgpr 10
		.amdhsa_next_free_sgpr 16
		.amdhsa_reserve_vcc 1
		.amdhsa_float_round_mode_32 0
		.amdhsa_float_round_mode_16_64 0
		.amdhsa_float_denorm_mode_32 3
		.amdhsa_float_denorm_mode_16_64 3
		.amdhsa_dx10_clamp 1
		.amdhsa_ieee_mode 1
		.amdhsa_fp16_overflow 0
		.amdhsa_workgroup_processor_mode 1
		.amdhsa_memory_ordered 1
		.amdhsa_forward_progress 0
		.amdhsa_shared_vgpr_count 0
		.amdhsa_exception_fp_ieee_invalid_op 0
		.amdhsa_exception_fp_denorm_src 0
		.amdhsa_exception_fp_ieee_div_zero 0
		.amdhsa_exception_fp_ieee_overflow 0
		.amdhsa_exception_fp_ieee_underflow 0
		.amdhsa_exception_fp_ieee_inexact 0
		.amdhsa_exception_int_div_zero 0
	.end_amdhsa_kernel
	.section	.text._Z28exclusive_scan_reduce_kernelILj128ELN6hipcub18BlockScanAlgorithmE0EiEvPT1_S3_S2_,"axG",@progbits,_Z28exclusive_scan_reduce_kernelILj128ELN6hipcub18BlockScanAlgorithmE0EiEvPT1_S3_S2_,comdat
.Lfunc_end118:
	.size	_Z28exclusive_scan_reduce_kernelILj128ELN6hipcub18BlockScanAlgorithmE0EiEvPT1_S3_S2_, .Lfunc_end118-_Z28exclusive_scan_reduce_kernelILj128ELN6hipcub18BlockScanAlgorithmE0EiEvPT1_S3_S2_
                                        ; -- End function
	.section	.AMDGPU.csdata,"",@progbits
; Kernel info:
; codeLenInByte = 560
; NumSgprs: 18
; NumVgprs: 10
; ScratchSize: 0
; MemoryBound: 0
; FloatMode: 240
; IeeeMode: 1
; LDSByteSize: 16 bytes/workgroup (compile time only)
; SGPRBlocks: 2
; VGPRBlocks: 1
; NumSGPRsForWavesPerEU: 18
; NumVGPRsForWavesPerEU: 10
; Occupancy: 16
; WaveLimiterHint : 0
; COMPUTE_PGM_RSRC2:SCRATCH_EN: 0
; COMPUTE_PGM_RSRC2:USER_SGPR: 15
; COMPUTE_PGM_RSRC2:TRAP_HANDLER: 0
; COMPUTE_PGM_RSRC2:TGID_X_EN: 1
; COMPUTE_PGM_RSRC2:TGID_Y_EN: 0
; COMPUTE_PGM_RSRC2:TGID_Z_EN: 0
; COMPUTE_PGM_RSRC2:TIDIG_COMP_CNT: 0
	.section	.text._Z28exclusive_scan_reduce_kernelILj64ELN6hipcub18BlockScanAlgorithmE0EiEvPT1_S3_S2_,"axG",@progbits,_Z28exclusive_scan_reduce_kernelILj64ELN6hipcub18BlockScanAlgorithmE0EiEvPT1_S3_S2_,comdat
	.protected	_Z28exclusive_scan_reduce_kernelILj64ELN6hipcub18BlockScanAlgorithmE0EiEvPT1_S3_S2_ ; -- Begin function _Z28exclusive_scan_reduce_kernelILj64ELN6hipcub18BlockScanAlgorithmE0EiEvPT1_S3_S2_
	.globl	_Z28exclusive_scan_reduce_kernelILj64ELN6hipcub18BlockScanAlgorithmE0EiEvPT1_S3_S2_
	.p2align	8
	.type	_Z28exclusive_scan_reduce_kernelILj64ELN6hipcub18BlockScanAlgorithmE0EiEvPT1_S3_S2_,@function
_Z28exclusive_scan_reduce_kernelILj64ELN6hipcub18BlockScanAlgorithmE0EiEvPT1_S3_S2_: ; @_Z28exclusive_scan_reduce_kernelILj64ELN6hipcub18BlockScanAlgorithmE0EiEvPT1_S3_S2_
; %bb.0:
	s_load_b128 s[4:7], s[0:1], 0x0
	s_mov_b32 s2, s15
	v_mbcnt_lo_u32_b32 v3, -1, 0
	v_mov_b32_e32 v2, 0
	v_lshl_or_b32 v1, s2, 6, v0
	v_or_b32_e32 v7, 31, v0
	s_mov_b32 s3, exec_lo
	v_and_b32_e32 v5, 15, v3
	s_delay_alu instid0(VALU_DEP_3) | instskip(SKIP_1) | instid1(VALU_DEP_1)
	v_lshlrev_b64 v[1:2], 2, v[1:2]
	s_waitcnt lgkmcnt(0)
	v_add_co_u32 v1, vcc_lo, s4, v1
	s_delay_alu instid0(VALU_DEP_2) | instskip(SKIP_4) | instid1(VALU_DEP_1)
	v_add_co_ci_u32_e32 v2, vcc_lo, s5, v2, vcc_lo
	v_cmp_ne_u32_e32 vcc_lo, 0, v5
	global_load_b32 v4, v[1:2], off
	s_waitcnt vmcnt(0)
	v_mov_b32_dpp v6, v4 row_shr:1 row_mask:0xf bank_mask:0xf
	v_cndmask_b32_e32 v6, 0, v6, vcc_lo
	v_cmp_lt_u32_e32 vcc_lo, 1, v5
	s_delay_alu instid0(VALU_DEP_2) | instskip(NEXT) | instid1(VALU_DEP_1)
	v_add_nc_u32_e32 v4, v6, v4
	v_mov_b32_dpp v6, v4 row_shr:2 row_mask:0xf bank_mask:0xf
	s_delay_alu instid0(VALU_DEP_1) | instskip(SKIP_1) | instid1(VALU_DEP_2)
	v_cndmask_b32_e32 v6, 0, v6, vcc_lo
	v_cmp_lt_u32_e32 vcc_lo, 3, v5
	v_add_nc_u32_e32 v4, v4, v6
	s_delay_alu instid0(VALU_DEP_1) | instskip(NEXT) | instid1(VALU_DEP_1)
	v_mov_b32_dpp v6, v4 row_shr:4 row_mask:0xf bank_mask:0xf
	v_cndmask_b32_e32 v6, 0, v6, vcc_lo
	v_cmp_lt_u32_e32 vcc_lo, 7, v5
	s_delay_alu instid0(VALU_DEP_2) | instskip(NEXT) | instid1(VALU_DEP_1)
	v_add_nc_u32_e32 v4, v4, v6
	v_mov_b32_dpp v6, v4 row_shr:8 row_mask:0xf bank_mask:0xf
	s_delay_alu instid0(VALU_DEP_1) | instskip(SKIP_1) | instid1(VALU_DEP_2)
	v_cndmask_b32_e32 v5, 0, v6, vcc_lo
	v_bfe_i32 v6, v3, 4, 1
	v_add_nc_u32_e32 v4, v4, v5
	ds_swizzle_b32 v5, v4 offset:swizzle(BROADCAST,32,15)
	s_waitcnt lgkmcnt(0)
	v_and_b32_e32 v6, v6, v5
	v_lshrrev_b32_e32 v5, 5, v0
	s_delay_alu instid0(VALU_DEP_2)
	v_add_nc_u32_e32 v4, v4, v6
	v_cmpx_eq_u32_e64 v7, v0
	s_cbranch_execz .LBB119_2
; %bb.1:
	s_delay_alu instid0(VALU_DEP_3)
	v_lshlrev_b32_e32 v6, 2, v5
	ds_store_b32 v6, v4
.LBB119_2:
	s_or_b32 exec_lo, exec_lo, s3
	s_delay_alu instid0(SALU_CYCLE_1)
	s_mov_b32 s3, exec_lo
	s_waitcnt lgkmcnt(0)
	s_barrier
	buffer_gl0_inv
	v_cmpx_gt_u32_e32 2, v0
	s_cbranch_execz .LBB119_4
; %bb.3:
	v_lshlrev_b32_e32 v6, 2, v0
	v_bfe_i32 v8, v3, 0, 1
	ds_load_b32 v7, v6
	s_waitcnt lgkmcnt(0)
	v_mov_b32_dpp v9, v7 row_shr:1 row_mask:0xf bank_mask:0xf
	s_delay_alu instid0(VALU_DEP_1) | instskip(NEXT) | instid1(VALU_DEP_1)
	v_and_b32_e32 v8, v8, v9
	v_add_nc_u32_e32 v7, v8, v7
	ds_store_b32 v6, v7
.LBB119_4:
	s_or_b32 exec_lo, exec_lo, s3
	s_load_b32 s0, s[0:1], 0x10
	s_mov_b32 s1, exec_lo
	s_waitcnt lgkmcnt(0)
	s_barrier
	buffer_gl0_inv
	v_mov_b32_e32 v6, s0
	v_cmpx_lt_u32_e32 31, v0
	s_cbranch_execz .LBB119_6
; %bb.5:
	v_lshl_add_u32 v5, v5, 2, -4
	ds_load_b32 v5, v5
	s_waitcnt lgkmcnt(0)
	v_add_nc_u32_e32 v6, s0, v5
.LBB119_6:
	s_or_b32 exec_lo, exec_lo, s1
	v_add_nc_u32_e32 v5, -1, v3
	s_mov_b32 s3, 0
	s_mov_b32 s0, exec_lo
	v_add_nc_u32_e32 v4, v6, v4
	s_delay_alu instid0(VALU_DEP_2) | instskip(SKIP_2) | instid1(VALU_DEP_2)
	v_cmp_gt_i32_e32 vcc_lo, 0, v5
	v_cndmask_b32_e32 v5, v5, v3, vcc_lo
	v_cmp_eq_u32_e32 vcc_lo, 0, v3
	v_lshlrev_b32_e32 v5, 2, v5
	ds_bpermute_b32 v4, v5, v4
	s_waitcnt lgkmcnt(0)
	v_cndmask_b32_e32 v3, v4, v6, vcc_lo
	global_store_b32 v[1:2], v3, off
	v_cmpx_eq_u32_e32 0, v0
	s_cbranch_execz .LBB119_8
; %bb.7:
	v_mov_b32_e32 v0, 0
	s_lshl_b64 s[0:1], s[2:3], 2
	s_delay_alu instid0(SALU_CYCLE_1)
	s_add_u32 s0, s6, s0
	s_addc_u32 s1, s7, s1
	ds_load_b32 v1, v0 offset:4
	s_waitcnt lgkmcnt(0)
	global_store_b32 v0, v1, s[0:1]
.LBB119_8:
	s_nop 0
	s_sendmsg sendmsg(MSG_DEALLOC_VGPRS)
	s_endpgm
	.section	.rodata,"a",@progbits
	.p2align	6, 0x0
	.amdhsa_kernel _Z28exclusive_scan_reduce_kernelILj64ELN6hipcub18BlockScanAlgorithmE0EiEvPT1_S3_S2_
		.amdhsa_group_segment_fixed_size 8
		.amdhsa_private_segment_fixed_size 0
		.amdhsa_kernarg_size 20
		.amdhsa_user_sgpr_count 15
		.amdhsa_user_sgpr_dispatch_ptr 0
		.amdhsa_user_sgpr_queue_ptr 0
		.amdhsa_user_sgpr_kernarg_segment_ptr 1
		.amdhsa_user_sgpr_dispatch_id 0
		.amdhsa_user_sgpr_private_segment_size 0
		.amdhsa_wavefront_size32 1
		.amdhsa_uses_dynamic_stack 0
		.amdhsa_enable_private_segment 0
		.amdhsa_system_sgpr_workgroup_id_x 1
		.amdhsa_system_sgpr_workgroup_id_y 0
		.amdhsa_system_sgpr_workgroup_id_z 0
		.amdhsa_system_sgpr_workgroup_info 0
		.amdhsa_system_vgpr_workitem_id 0
		.amdhsa_next_free_vgpr 10
		.amdhsa_next_free_sgpr 16
		.amdhsa_reserve_vcc 1
		.amdhsa_float_round_mode_32 0
		.amdhsa_float_round_mode_16_64 0
		.amdhsa_float_denorm_mode_32 3
		.amdhsa_float_denorm_mode_16_64 3
		.amdhsa_dx10_clamp 1
		.amdhsa_ieee_mode 1
		.amdhsa_fp16_overflow 0
		.amdhsa_workgroup_processor_mode 1
		.amdhsa_memory_ordered 1
		.amdhsa_forward_progress 0
		.amdhsa_shared_vgpr_count 0
		.amdhsa_exception_fp_ieee_invalid_op 0
		.amdhsa_exception_fp_denorm_src 0
		.amdhsa_exception_fp_ieee_div_zero 0
		.amdhsa_exception_fp_ieee_overflow 0
		.amdhsa_exception_fp_ieee_underflow 0
		.amdhsa_exception_fp_ieee_inexact 0
		.amdhsa_exception_int_div_zero 0
	.end_amdhsa_kernel
	.section	.text._Z28exclusive_scan_reduce_kernelILj64ELN6hipcub18BlockScanAlgorithmE0EiEvPT1_S3_S2_,"axG",@progbits,_Z28exclusive_scan_reduce_kernelILj64ELN6hipcub18BlockScanAlgorithmE0EiEvPT1_S3_S2_,comdat
.Lfunc_end119:
	.size	_Z28exclusive_scan_reduce_kernelILj64ELN6hipcub18BlockScanAlgorithmE0EiEvPT1_S3_S2_, .Lfunc_end119-_Z28exclusive_scan_reduce_kernelILj64ELN6hipcub18BlockScanAlgorithmE0EiEvPT1_S3_S2_
                                        ; -- End function
	.section	.AMDGPU.csdata,"",@progbits
; Kernel info:
; codeLenInByte = 532
; NumSgprs: 18
; NumVgprs: 10
; ScratchSize: 0
; MemoryBound: 0
; FloatMode: 240
; IeeeMode: 1
; LDSByteSize: 8 bytes/workgroup (compile time only)
; SGPRBlocks: 2
; VGPRBlocks: 1
; NumSGPRsForWavesPerEU: 18
; NumVGPRsForWavesPerEU: 10
; Occupancy: 16
; WaveLimiterHint : 0
; COMPUTE_PGM_RSRC2:SCRATCH_EN: 0
; COMPUTE_PGM_RSRC2:USER_SGPR: 15
; COMPUTE_PGM_RSRC2:TRAP_HANDLER: 0
; COMPUTE_PGM_RSRC2:TGID_X_EN: 1
; COMPUTE_PGM_RSRC2:TGID_Y_EN: 0
; COMPUTE_PGM_RSRC2:TGID_Z_EN: 0
; COMPUTE_PGM_RSRC2:TIDIG_COMP_CNT: 0
	.section	.text._Z37exclusive_scan_prefix_callback_kernelILj377ELN6hipcub18BlockScanAlgorithmE1EhEvPT1_S3_S2_,"axG",@progbits,_Z37exclusive_scan_prefix_callback_kernelILj377ELN6hipcub18BlockScanAlgorithmE1EhEvPT1_S3_S2_,comdat
	.protected	_Z37exclusive_scan_prefix_callback_kernelILj377ELN6hipcub18BlockScanAlgorithmE1EhEvPT1_S3_S2_ ; -- Begin function _Z37exclusive_scan_prefix_callback_kernelILj377ELN6hipcub18BlockScanAlgorithmE1EhEvPT1_S3_S2_
	.globl	_Z37exclusive_scan_prefix_callback_kernelILj377ELN6hipcub18BlockScanAlgorithmE1EhEvPT1_S3_S2_
	.p2align	8
	.type	_Z37exclusive_scan_prefix_callback_kernelILj377ELN6hipcub18BlockScanAlgorithmE1EhEvPT1_S3_S2_,@function
_Z37exclusive_scan_prefix_callback_kernelILj377ELN6hipcub18BlockScanAlgorithmE1EhEvPT1_S3_S2_: ; @_Z37exclusive_scan_prefix_callback_kernelILj377ELN6hipcub18BlockScanAlgorithmE1EhEvPT1_S3_S2_
; %bb.0:
	s_load_b128 s[4:7], s[0:1], 0x0
	v_mad_u64_u32 v[1:2], null, 0x179, s15, v[0:1]
	v_mov_b32_e32 v3, 0
	v_cmp_gt_u32_e32 vcc_lo, 32, v0
	s_waitcnt lgkmcnt(0)
	global_load_u8 v2, v1, s[4:5]
	s_waitcnt vmcnt(0)
	ds_store_b8 v0, v2
	s_waitcnt lgkmcnt(0)
	s_barrier
	buffer_gl0_inv
	s_and_saveexec_b32 s3, vcc_lo
	s_cbranch_execz .LBB120_2
; %bb.1:
	v_mul_u32_u24_e32 v7, 12, v0
	v_mbcnt_lo_u32_b32 v18, -1, 0
	ds_load_b96 v[4:6], v7
	v_and_b32_e32 v20, 15, v18
	v_add_nc_u32_e32 v21, -1, v18
	s_delay_alu instid0(VALU_DEP_2)
	v_cmp_ne_u32_e64 s2, 0, v20
	s_waitcnt lgkmcnt(0)
	v_lshrrev_b32_e32 v8, 8, v4
	v_lshrrev_b32_e32 v9, 16, v4
	;; [unrolled: 1-line block ×5, first 2 shown]
	v_add_nc_u16 v10, v8, v4
	v_lshrrev_b32_e32 v14, 24, v5
	v_lshrrev_b32_e32 v15, 8, v6
	;; [unrolled: 1-line block ×4, first 2 shown]
	v_add_nc_u16 v10, v10, v9
	s_delay_alu instid0(VALU_DEP_1) | instskip(NEXT) | instid1(VALU_DEP_1)
	v_add_nc_u16 v10, v10, v11
	v_add_nc_u16 v10, v10, v5
	s_delay_alu instid0(VALU_DEP_1) | instskip(NEXT) | instid1(VALU_DEP_1)
	v_add_nc_u16 v10, v10, v12
	;; [unrolled: 3-line block ×5, first 2 shown]
	v_and_b32_e32 v19, 0xff, v10
	s_delay_alu instid0(VALU_DEP_1) | instskip(NEXT) | instid1(VALU_DEP_1)
	v_mov_b32_dpp v19, v19 row_shr:1 row_mask:0xf bank_mask:0xf
	v_cndmask_b32_e64 v19, 0, v19, s2
	v_cmp_lt_u32_e64 s2, 1, v20
	s_delay_alu instid0(VALU_DEP_2) | instskip(NEXT) | instid1(VALU_DEP_1)
	v_add_nc_u16 v10, v19, v10
	v_and_b32_e32 v19, 0xff, v10
	s_delay_alu instid0(VALU_DEP_1) | instskip(NEXT) | instid1(VALU_DEP_1)
	v_mov_b32_dpp v19, v19 row_shr:2 row_mask:0xf bank_mask:0xf
	v_cndmask_b32_e64 v19, 0, v19, s2
	v_cmp_lt_u32_e64 s2, 3, v20
	s_delay_alu instid0(VALU_DEP_2) | instskip(NEXT) | instid1(VALU_DEP_1)
	v_add_nc_u16 v10, v10, v19
	v_and_b32_e32 v19, 0xff, v10
	s_delay_alu instid0(VALU_DEP_1) | instskip(NEXT) | instid1(VALU_DEP_1)
	v_mov_b32_dpp v19, v19 row_shr:4 row_mask:0xf bank_mask:0xf
	v_cndmask_b32_e64 v19, 0, v19, s2
	v_cmp_lt_u32_e64 s2, 7, v20
	v_and_b32_e32 v20, 16, v18
	s_delay_alu instid0(VALU_DEP_3) | instskip(NEXT) | instid1(VALU_DEP_1)
	v_add_nc_u16 v10, v10, v19
	v_and_b32_e32 v19, 0xff, v10
	s_delay_alu instid0(VALU_DEP_1) | instskip(NEXT) | instid1(VALU_DEP_1)
	v_mov_b32_dpp v19, v19 row_shr:8 row_mask:0xf bank_mask:0xf
	v_cndmask_b32_e64 v19, 0, v19, s2
	v_cmp_ne_u32_e64 s2, 0, v20
	s_delay_alu instid0(VALU_DEP_2) | instskip(NEXT) | instid1(VALU_DEP_1)
	v_add_nc_u16 v10, v10, v19
	v_and_b32_e32 v19, 0xff, v10
	ds_swizzle_b32 v19, v19 offset:swizzle(BROADCAST,32,15)
	s_waitcnt lgkmcnt(0)
	v_cndmask_b32_e64 v19, 0, v19, s2
	v_cmp_gt_i32_e64 s2, 0, v21
	s_delay_alu instid0(VALU_DEP_2) | instskip(NEXT) | instid1(VALU_DEP_2)
	v_add_nc_u16 v10, v10, v19
	v_cndmask_b32_e64 v18, v21, v18, s2
	v_cmp_eq_u32_e64 s2, 0, v0
	s_delay_alu instid0(VALU_DEP_3) | instskip(NEXT) | instid1(VALU_DEP_3)
	v_and_b32_e32 v10, 0xff, v10
	v_lshlrev_b32_e32 v18, 2, v18
	ds_bpermute_b32 v10, v18, v10
	s_waitcnt lgkmcnt(0)
	v_add_nc_u16 v4, v4, v10
	s_delay_alu instid0(VALU_DEP_1) | instskip(NEXT) | instid1(VALU_DEP_1)
	v_cndmask_b32_e64 v2, v4, v2, s2
	v_add_nc_u16 v4, v2, v8
	v_and_b32_e32 v2, 0xff, v2
	s_delay_alu instid0(VALU_DEP_2) | instskip(SKIP_1) | instid1(VALU_DEP_2)
	v_add_nc_u16 v8, v4, v9
	v_lshlrev_b16 v4, 8, v4
	v_add_nc_u16 v9, v8, v11
	s_delay_alu instid0(VALU_DEP_2) | instskip(SKIP_1) | instid1(VALU_DEP_3)
	v_or_b32_e32 v2, v2, v4
	v_and_b32_e32 v4, 0xff, v8
	v_add_nc_u16 v5, v9, v5
	v_lshlrev_b16 v9, 8, v9
	s_delay_alu instid0(VALU_DEP_4) | instskip(NEXT) | instid1(VALU_DEP_3)
	v_and_b32_e32 v2, 0xffff, v2
	v_add_nc_u16 v10, v5, v12
	v_and_b32_e32 v5, 0xff, v5
	s_delay_alu instid0(VALU_DEP_4) | instskip(NEXT) | instid1(VALU_DEP_3)
	v_or_b32_e32 v4, v4, v9
	v_add_nc_u16 v11, v10, v13
	v_lshlrev_b16 v10, 8, v10
	s_delay_alu instid0(VALU_DEP_3) | instskip(NEXT) | instid1(VALU_DEP_3)
	v_lshlrev_b32_e32 v4, 16, v4
	v_add_nc_u16 v12, v11, v14
	v_and_b32_e32 v11, 0xff, v11
	s_delay_alu instid0(VALU_DEP_4) | instskip(NEXT) | instid1(VALU_DEP_4)
	v_or_b32_e32 v5, v5, v10
	v_or_b32_e32 v4, v2, v4
	s_delay_alu instid0(VALU_DEP_4) | instskip(SKIP_1) | instid1(VALU_DEP_4)
	v_add_nc_u16 v6, v12, v6
	v_lshlrev_b16 v12, 8, v12
	v_and_b32_e32 v5, 0xffff, v5
	s_delay_alu instid0(VALU_DEP_3) | instskip(SKIP_1) | instid1(VALU_DEP_4)
	v_add_nc_u16 v13, v6, v15
	v_and_b32_e32 v6, 0xff, v6
	v_or_b32_e32 v9, v11, v12
	s_delay_alu instid0(VALU_DEP_3) | instskip(SKIP_1) | instid1(VALU_DEP_3)
	v_add_nc_u16 v8, v13, v16
	v_lshlrev_b16 v13, 8, v13
	v_lshlrev_b32_e32 v9, 16, v9
	s_delay_alu instid0(VALU_DEP_3) | instskip(SKIP_1) | instid1(VALU_DEP_4)
	v_add_nc_u16 v14, v8, v17
	v_and_b32_e32 v8, 0xff, v8
	v_or_b32_e32 v6, v6, v13
	s_delay_alu instid0(VALU_DEP_4) | instskip(NEXT) | instid1(VALU_DEP_4)
	v_or_b32_e32 v5, v5, v9
	v_lshlrev_b16 v14, 8, v14
	s_delay_alu instid0(VALU_DEP_3) | instskip(NEXT) | instid1(VALU_DEP_2)
	v_and_b32_e32 v6, 0xffff, v6
	v_or_b32_e32 v8, v8, v14
	s_delay_alu instid0(VALU_DEP_1) | instskip(NEXT) | instid1(VALU_DEP_1)
	v_lshlrev_b32_e32 v8, 16, v8
	v_or_b32_e32 v6, v6, v8
	ds_store_b96 v7, v[4:6]
.LBB120_2:
	s_or_b32 exec_lo, exec_lo, s3
	v_add_co_u32 v1, s2, s4, v1
	s_delay_alu instid0(VALU_DEP_1)
	v_add_co_ci_u32_e64 v2, null, s5, 0, s2
	v_cmp_eq_u32_e64 s2, 0, v0
	s_mov_b32 s4, exec_lo
	s_waitcnt lgkmcnt(0)
	s_barrier
	buffer_gl0_inv
	v_cmpx_ne_u32_e32 0, v0
	s_cbranch_execz .LBB120_4
; %bb.3:
	v_add_nc_u32_e32 v0, -1, v0
	ds_load_u8 v3, v0
.LBB120_4:
	s_or_b32 exec_lo, exec_lo, s4
	s_load_b32 s1, s[0:1], 0x10
	s_waitcnt lgkmcnt(0)
	v_mov_b32_e32 v0, s1
	s_and_saveexec_b32 s0, vcc_lo
	s_cbranch_execz .LBB120_8
; %bb.5:
	v_mov_b32_e32 v4, 0
	s_and_b32 s3, s1, 0xff
	ds_load_u8 v0, v4 offset:376
	s_and_saveexec_b32 s4, s2
	s_cbranch_execz .LBB120_7
; %bb.6:
	v_mov_b32_e32 v5, s1
	ds_store_b8 v4, v5
.LBB120_7:
	s_or_b32 exec_lo, exec_lo, s4
	s_waitcnt lgkmcnt(0)
	v_add_nc_u32_e32 v0, s3, v0
.LBB120_8:
	s_or_b32 exec_lo, exec_lo, s0
	v_mov_b32_e32 v4, 0
	s_barrier
	buffer_gl0_inv
	ds_load_u8 v4, v4
	s_waitcnt lgkmcnt(0)
	v_add_nc_u16 v3, v4, v3
	global_store_b8 v[1:2], v3, off
	s_and_saveexec_b32 s0, s2
	s_cbranch_execz .LBB120_10
; %bb.9:
	v_mov_b32_e32 v1, s15
	global_store_b8 v1, v0, s[6:7]
.LBB120_10:
	s_nop 0
	s_sendmsg sendmsg(MSG_DEALLOC_VGPRS)
	s_endpgm
	.section	.rodata,"a",@progbits
	.p2align	6, 0x0
	.amdhsa_kernel _Z37exclusive_scan_prefix_callback_kernelILj377ELN6hipcub18BlockScanAlgorithmE1EhEvPT1_S3_S2_
		.amdhsa_group_segment_fixed_size 384
		.amdhsa_private_segment_fixed_size 0
		.amdhsa_kernarg_size 20
		.amdhsa_user_sgpr_count 15
		.amdhsa_user_sgpr_dispatch_ptr 0
		.amdhsa_user_sgpr_queue_ptr 0
		.amdhsa_user_sgpr_kernarg_segment_ptr 1
		.amdhsa_user_sgpr_dispatch_id 0
		.amdhsa_user_sgpr_private_segment_size 0
		.amdhsa_wavefront_size32 1
		.amdhsa_uses_dynamic_stack 0
		.amdhsa_enable_private_segment 0
		.amdhsa_system_sgpr_workgroup_id_x 1
		.amdhsa_system_sgpr_workgroup_id_y 0
		.amdhsa_system_sgpr_workgroup_id_z 0
		.amdhsa_system_sgpr_workgroup_info 0
		.amdhsa_system_vgpr_workitem_id 0
		.amdhsa_next_free_vgpr 22
		.amdhsa_next_free_sgpr 16
		.amdhsa_reserve_vcc 1
		.amdhsa_float_round_mode_32 0
		.amdhsa_float_round_mode_16_64 0
		.amdhsa_float_denorm_mode_32 3
		.amdhsa_float_denorm_mode_16_64 3
		.amdhsa_dx10_clamp 1
		.amdhsa_ieee_mode 1
		.amdhsa_fp16_overflow 0
		.amdhsa_workgroup_processor_mode 1
		.amdhsa_memory_ordered 1
		.amdhsa_forward_progress 0
		.amdhsa_shared_vgpr_count 0
		.amdhsa_exception_fp_ieee_invalid_op 0
		.amdhsa_exception_fp_denorm_src 0
		.amdhsa_exception_fp_ieee_div_zero 0
		.amdhsa_exception_fp_ieee_overflow 0
		.amdhsa_exception_fp_ieee_underflow 0
		.amdhsa_exception_fp_ieee_inexact 0
		.amdhsa_exception_int_div_zero 0
	.end_amdhsa_kernel
	.section	.text._Z37exclusive_scan_prefix_callback_kernelILj377ELN6hipcub18BlockScanAlgorithmE1EhEvPT1_S3_S2_,"axG",@progbits,_Z37exclusive_scan_prefix_callback_kernelILj377ELN6hipcub18BlockScanAlgorithmE1EhEvPT1_S3_S2_,comdat
.Lfunc_end120:
	.size	_Z37exclusive_scan_prefix_callback_kernelILj377ELN6hipcub18BlockScanAlgorithmE1EhEvPT1_S3_S2_, .Lfunc_end120-_Z37exclusive_scan_prefix_callback_kernelILj377ELN6hipcub18BlockScanAlgorithmE1EhEvPT1_S3_S2_
                                        ; -- End function
	.section	.AMDGPU.csdata,"",@progbits
; Kernel info:
; codeLenInByte = 1120
; NumSgprs: 18
; NumVgprs: 22
; ScratchSize: 0
; MemoryBound: 0
; FloatMode: 240
; IeeeMode: 1
; LDSByteSize: 384 bytes/workgroup (compile time only)
; SGPRBlocks: 2
; VGPRBlocks: 2
; NumSGPRsForWavesPerEU: 18
; NumVGPRsForWavesPerEU: 22
; Occupancy: 15
; WaveLimiterHint : 0
; COMPUTE_PGM_RSRC2:SCRATCH_EN: 0
; COMPUTE_PGM_RSRC2:USER_SGPR: 15
; COMPUTE_PGM_RSRC2:TRAP_HANDLER: 0
; COMPUTE_PGM_RSRC2:TGID_X_EN: 1
; COMPUTE_PGM_RSRC2:TGID_Y_EN: 0
; COMPUTE_PGM_RSRC2:TGID_Z_EN: 0
; COMPUTE_PGM_RSRC2:TIDIG_COMP_CNT: 0
	.section	.text._Z37exclusive_scan_prefix_callback_kernelILj377ELN6hipcub18BlockScanAlgorithmE1EiEvPT1_S3_S2_,"axG",@progbits,_Z37exclusive_scan_prefix_callback_kernelILj377ELN6hipcub18BlockScanAlgorithmE1EiEvPT1_S3_S2_,comdat
	.protected	_Z37exclusive_scan_prefix_callback_kernelILj377ELN6hipcub18BlockScanAlgorithmE1EiEvPT1_S3_S2_ ; -- Begin function _Z37exclusive_scan_prefix_callback_kernelILj377ELN6hipcub18BlockScanAlgorithmE1EiEvPT1_S3_S2_
	.globl	_Z37exclusive_scan_prefix_callback_kernelILj377ELN6hipcub18BlockScanAlgorithmE1EiEvPT1_S3_S2_
	.p2align	8
	.type	_Z37exclusive_scan_prefix_callback_kernelILj377ELN6hipcub18BlockScanAlgorithmE1EiEvPT1_S3_S2_,@function
_Z37exclusive_scan_prefix_callback_kernelILj377ELN6hipcub18BlockScanAlgorithmE1EiEvPT1_S3_S2_: ; @_Z37exclusive_scan_prefix_callback_kernelILj377ELN6hipcub18BlockScanAlgorithmE1EiEvPT1_S3_S2_
; %bb.0:
	s_load_b128 s[4:7], s[0:1], 0x0
	s_mov_b32 s8, s15
	s_delay_alu instid0(SALU_CYCLE_1) | instskip(SKIP_1) | instid1(VALU_DEP_1)
	v_mad_u64_u32 v[1:2], null, 0x179, s8, v[0:1]
	v_mov_b32_e32 v2, 0
	v_lshlrev_b64 v[3:4], 2, v[1:2]
	v_lshlrev_b32_e32 v1, 2, v0
	s_waitcnt lgkmcnt(0)
	s_delay_alu instid0(VALU_DEP_2) | instskip(NEXT) | instid1(VALU_DEP_3)
	v_add_co_u32 v3, vcc_lo, s4, v3
	v_add_co_ci_u32_e32 v4, vcc_lo, s5, v4, vcc_lo
	v_cmp_gt_u32_e32 vcc_lo, 32, v0
	global_load_b32 v5, v[3:4], off
	s_waitcnt vmcnt(0)
	ds_store_b32 v1, v5
	s_waitcnt lgkmcnt(0)
	s_barrier
	buffer_gl0_inv
	s_and_saveexec_b32 s3, vcc_lo
	s_cbranch_execz .LBB121_2
; %bb.1:
	v_mul_u32_u24_e32 v6, 12, v0
	v_mbcnt_lo_u32_b32 v20, -1, 0
	s_delay_alu instid0(VALU_DEP_2) | instskip(NEXT) | instid1(VALU_DEP_2)
	v_lshlrev_b32_e32 v18, 2, v6
	v_and_b32_e32 v21, 15, v20
	v_bfe_i32 v23, v20, 4, 1
	ds_load_2addr_b32 v[6:7], v18 offset1:1
	ds_load_2addr_b32 v[8:9], v18 offset0:2 offset1:3
	ds_load_2addr_b32 v[10:11], v18 offset0:4 offset1:5
	;; [unrolled: 1-line block ×5, first 2 shown]
	v_cmp_ne_u32_e64 s2, 0, v21
	s_waitcnt lgkmcnt(5)
	v_add_nc_u32_e32 v19, v7, v6
	s_waitcnt lgkmcnt(4)
	s_delay_alu instid0(VALU_DEP_1) | instskip(SKIP_1) | instid1(VALU_DEP_1)
	v_add3_u32 v19, v19, v8, v9
	s_waitcnt lgkmcnt(3)
	v_add3_u32 v19, v19, v10, v11
	s_waitcnt lgkmcnt(2)
	s_delay_alu instid0(VALU_DEP_1) | instskip(SKIP_1) | instid1(VALU_DEP_1)
	v_add3_u32 v19, v19, v12, v13
	s_waitcnt lgkmcnt(1)
	v_add3_u32 v19, v19, v14, v15
	s_waitcnt lgkmcnt(0)
	s_delay_alu instid0(VALU_DEP_1) | instskip(NEXT) | instid1(VALU_DEP_1)
	v_add3_u32 v19, v19, v16, v17
	v_mov_b32_dpp v22, v19 row_shr:1 row_mask:0xf bank_mask:0xf
	s_delay_alu instid0(VALU_DEP_1) | instskip(SKIP_1) | instid1(VALU_DEP_2)
	v_cndmask_b32_e64 v22, 0, v22, s2
	v_cmp_lt_u32_e64 s2, 1, v21
	v_add_nc_u32_e32 v19, v22, v19
	s_delay_alu instid0(VALU_DEP_1) | instskip(NEXT) | instid1(VALU_DEP_1)
	v_mov_b32_dpp v22, v19 row_shr:2 row_mask:0xf bank_mask:0xf
	v_cndmask_b32_e64 v22, 0, v22, s2
	v_cmp_lt_u32_e64 s2, 3, v21
	s_delay_alu instid0(VALU_DEP_2) | instskip(NEXT) | instid1(VALU_DEP_1)
	v_add_nc_u32_e32 v19, v19, v22
	v_mov_b32_dpp v22, v19 row_shr:4 row_mask:0xf bank_mask:0xf
	s_delay_alu instid0(VALU_DEP_1) | instskip(SKIP_1) | instid1(VALU_DEP_2)
	v_cndmask_b32_e64 v22, 0, v22, s2
	v_cmp_lt_u32_e64 s2, 7, v21
	v_add_nc_u32_e32 v19, v19, v22
	s_delay_alu instid0(VALU_DEP_1) | instskip(NEXT) | instid1(VALU_DEP_1)
	v_mov_b32_dpp v22, v19 row_shr:8 row_mask:0xf bank_mask:0xf
	v_cndmask_b32_e64 v21, 0, v22, s2
	v_add_nc_u32_e32 v22, -1, v20
	s_delay_alu instid0(VALU_DEP_2) | instskip(NEXT) | instid1(VALU_DEP_2)
	v_add_nc_u32_e32 v19, v19, v21
	v_cmp_gt_i32_e64 s2, 0, v22
	ds_swizzle_b32 v21, v19 offset:swizzle(BROADCAST,32,15)
	v_cndmask_b32_e64 v20, v22, v20, s2
	v_cmp_eq_u32_e64 s2, 0, v0
	s_delay_alu instid0(VALU_DEP_2) | instskip(SKIP_2) | instid1(VALU_DEP_1)
	v_lshlrev_b32_e32 v20, 2, v20
	s_waitcnt lgkmcnt(0)
	v_and_b32_e32 v21, v23, v21
	v_add_nc_u32_e32 v19, v19, v21
	ds_bpermute_b32 v19, v20, v19
	s_waitcnt lgkmcnt(0)
	v_add_nc_u32_e32 v6, v19, v6
	s_delay_alu instid0(VALU_DEP_1) | instskip(NEXT) | instid1(VALU_DEP_1)
	v_cndmask_b32_e64 v5, v6, v5, s2
	v_add_nc_u32_e32 v6, v5, v7
	s_delay_alu instid0(VALU_DEP_1) | instskip(NEXT) | instid1(VALU_DEP_1)
	v_add_nc_u32_e32 v7, v6, v8
	v_add_nc_u32_e32 v8, v7, v9
	s_delay_alu instid0(VALU_DEP_1) | instskip(NEXT) | instid1(VALU_DEP_1)
	v_add_nc_u32_e32 v9, v8, v10
	;; [unrolled: 3-line block ×5, first 2 shown]
	v_add_nc_u32_e32 v16, v15, v17
	ds_store_2addr_b32 v18, v5, v6 offset1:1
	ds_store_2addr_b32 v18, v7, v8 offset0:2 offset1:3
	ds_store_2addr_b32 v18, v9, v10 offset0:4 offset1:5
	;; [unrolled: 1-line block ×5, first 2 shown]
.LBB121_2:
	s_or_b32 exec_lo, exec_lo, s3
	v_cmp_eq_u32_e64 s2, 0, v0
	s_mov_b32 s4, exec_lo
	s_waitcnt lgkmcnt(0)
	s_barrier
	buffer_gl0_inv
	v_cmpx_ne_u32_e32 0, v0
	s_cbranch_execz .LBB121_4
; %bb.3:
	v_add_nc_u32_e32 v0, -4, v1
	ds_load_b32 v2, v0
.LBB121_4:
	s_or_b32 exec_lo, exec_lo, s4
	s_load_b32 s1, s[0:1], 0x10
	s_waitcnt lgkmcnt(0)
	v_mov_b32_e32 v0, s1
	s_and_saveexec_b32 s0, vcc_lo
	s_cbranch_execz .LBB121_8
; %bb.5:
	v_mov_b32_e32 v1, 0
	ds_load_b32 v0, v1 offset:1504
	s_and_saveexec_b32 s3, s2
	s_cbranch_execz .LBB121_7
; %bb.6:
	v_mov_b32_e32 v5, s1
	ds_store_b32 v1, v5
.LBB121_7:
	s_or_b32 exec_lo, exec_lo, s3
	s_waitcnt lgkmcnt(0)
	v_add_nc_u32_e32 v0, s1, v0
.LBB121_8:
	s_or_b32 exec_lo, exec_lo, s0
	v_mov_b32_e32 v1, 0
	s_barrier
	buffer_gl0_inv
	ds_load_b32 v5, v1
	s_waitcnt lgkmcnt(0)
	v_add_nc_u32_e32 v2, v5, v2
	global_store_b32 v[3:4], v2, off
	s_and_saveexec_b32 s0, s2
	s_cbranch_execz .LBB121_10
; %bb.9:
	s_mov_b32 s9, 0
	s_delay_alu instid0(SALU_CYCLE_1) | instskip(NEXT) | instid1(SALU_CYCLE_1)
	s_lshl_b64 s[0:1], s[8:9], 2
	s_add_u32 s0, s6, s0
	s_addc_u32 s1, s7, s1
	global_store_b32 v1, v0, s[0:1]
.LBB121_10:
	s_nop 0
	s_sendmsg sendmsg(MSG_DEALLOC_VGPRS)
	s_endpgm
	.section	.rodata,"a",@progbits
	.p2align	6, 0x0
	.amdhsa_kernel _Z37exclusive_scan_prefix_callback_kernelILj377ELN6hipcub18BlockScanAlgorithmE1EiEvPT1_S3_S2_
		.amdhsa_group_segment_fixed_size 1536
		.amdhsa_private_segment_fixed_size 0
		.amdhsa_kernarg_size 20
		.amdhsa_user_sgpr_count 15
		.amdhsa_user_sgpr_dispatch_ptr 0
		.amdhsa_user_sgpr_queue_ptr 0
		.amdhsa_user_sgpr_kernarg_segment_ptr 1
		.amdhsa_user_sgpr_dispatch_id 0
		.amdhsa_user_sgpr_private_segment_size 0
		.amdhsa_wavefront_size32 1
		.amdhsa_uses_dynamic_stack 0
		.amdhsa_enable_private_segment 0
		.amdhsa_system_sgpr_workgroup_id_x 1
		.amdhsa_system_sgpr_workgroup_id_y 0
		.amdhsa_system_sgpr_workgroup_id_z 0
		.amdhsa_system_sgpr_workgroup_info 0
		.amdhsa_system_vgpr_workitem_id 0
		.amdhsa_next_free_vgpr 24
		.amdhsa_next_free_sgpr 16
		.amdhsa_reserve_vcc 1
		.amdhsa_float_round_mode_32 0
		.amdhsa_float_round_mode_16_64 0
		.amdhsa_float_denorm_mode_32 3
		.amdhsa_float_denorm_mode_16_64 3
		.amdhsa_dx10_clamp 1
		.amdhsa_ieee_mode 1
		.amdhsa_fp16_overflow 0
		.amdhsa_workgroup_processor_mode 1
		.amdhsa_memory_ordered 1
		.amdhsa_forward_progress 0
		.amdhsa_shared_vgpr_count 0
		.amdhsa_exception_fp_ieee_invalid_op 0
		.amdhsa_exception_fp_denorm_src 0
		.amdhsa_exception_fp_ieee_div_zero 0
		.amdhsa_exception_fp_ieee_overflow 0
		.amdhsa_exception_fp_ieee_underflow 0
		.amdhsa_exception_fp_ieee_inexact 0
		.amdhsa_exception_int_div_zero 0
	.end_amdhsa_kernel
	.section	.text._Z37exclusive_scan_prefix_callback_kernelILj377ELN6hipcub18BlockScanAlgorithmE1EiEvPT1_S3_S2_,"axG",@progbits,_Z37exclusive_scan_prefix_callback_kernelILj377ELN6hipcub18BlockScanAlgorithmE1EiEvPT1_S3_S2_,comdat
.Lfunc_end121:
	.size	_Z37exclusive_scan_prefix_callback_kernelILj377ELN6hipcub18BlockScanAlgorithmE1EiEvPT1_S3_S2_, .Lfunc_end121-_Z37exclusive_scan_prefix_callback_kernelILj377ELN6hipcub18BlockScanAlgorithmE1EiEvPT1_S3_S2_
                                        ; -- End function
	.section	.AMDGPU.csdata,"",@progbits
; Kernel info:
; codeLenInByte = 820
; NumSgprs: 18
; NumVgprs: 24
; ScratchSize: 0
; MemoryBound: 0
; FloatMode: 240
; IeeeMode: 1
; LDSByteSize: 1536 bytes/workgroup (compile time only)
; SGPRBlocks: 2
; VGPRBlocks: 2
; NumSGPRsForWavesPerEU: 18
; NumVGPRsForWavesPerEU: 24
; Occupancy: 15
; WaveLimiterHint : 0
; COMPUTE_PGM_RSRC2:SCRATCH_EN: 0
; COMPUTE_PGM_RSRC2:USER_SGPR: 15
; COMPUTE_PGM_RSRC2:TRAP_HANDLER: 0
; COMPUTE_PGM_RSRC2:TGID_X_EN: 1
; COMPUTE_PGM_RSRC2:TGID_Y_EN: 0
; COMPUTE_PGM_RSRC2:TGID_Z_EN: 0
; COMPUTE_PGM_RSRC2:TIDIG_COMP_CNT: 0
	.section	.text._Z37exclusive_scan_prefix_callback_kernelILj255ELN6hipcub18BlockScanAlgorithmE1EjEvPT1_S3_S2_,"axG",@progbits,_Z37exclusive_scan_prefix_callback_kernelILj255ELN6hipcub18BlockScanAlgorithmE1EjEvPT1_S3_S2_,comdat
	.protected	_Z37exclusive_scan_prefix_callback_kernelILj255ELN6hipcub18BlockScanAlgorithmE1EjEvPT1_S3_S2_ ; -- Begin function _Z37exclusive_scan_prefix_callback_kernelILj255ELN6hipcub18BlockScanAlgorithmE1EjEvPT1_S3_S2_
	.globl	_Z37exclusive_scan_prefix_callback_kernelILj255ELN6hipcub18BlockScanAlgorithmE1EjEvPT1_S3_S2_
	.p2align	8
	.type	_Z37exclusive_scan_prefix_callback_kernelILj255ELN6hipcub18BlockScanAlgorithmE1EjEvPT1_S3_S2_,@function
_Z37exclusive_scan_prefix_callback_kernelILj255ELN6hipcub18BlockScanAlgorithmE1EjEvPT1_S3_S2_: ; @_Z37exclusive_scan_prefix_callback_kernelILj255ELN6hipcub18BlockScanAlgorithmE1EjEvPT1_S3_S2_
; %bb.0:
	s_load_b128 s[4:7], s[0:1], 0x0
	s_mov_b32 s8, s15
	v_lshrrev_b32_e32 v5, 5, v0
	v_mad_u64_u32 v[2:3], null, 0xff, s8, v[0:1]
	v_mov_b32_e32 v3, 0
	s_delay_alu instid0(VALU_DEP_3) | instskip(NEXT) | instid1(VALU_DEP_2)
	v_add_lshl_u32 v5, v5, v0, 2
	v_lshlrev_b64 v[1:2], 2, v[2:3]
	s_waitcnt lgkmcnt(0)
	s_delay_alu instid0(VALU_DEP_1) | instskip(NEXT) | instid1(VALU_DEP_2)
	v_add_co_u32 v1, vcc_lo, s4, v1
	v_add_co_ci_u32_e32 v2, vcc_lo, s5, v2, vcc_lo
	v_cmp_gt_u32_e32 vcc_lo, 32, v0
	global_load_b32 v4, v[1:2], off
	s_waitcnt vmcnt(0)
	ds_store_b32 v5, v4
	s_waitcnt lgkmcnt(0)
	s_barrier
	buffer_gl0_inv
	s_and_saveexec_b32 s3, vcc_lo
	s_cbranch_execz .LBB122_2
; %bb.1:
	v_and_b32_e32 v5, 0xfc, v0
	v_mbcnt_lo_u32_b32 v15, -1, 0
	s_delay_alu instid0(VALU_DEP_2) | instskip(NEXT) | instid1(VALU_DEP_2)
	v_lshl_or_b32 v13, v0, 5, v5
	v_and_b32_e32 v16, 15, v15
	v_add_nc_u32_e32 v18, -1, v15
	ds_load_2addr_b32 v[5:6], v13 offset1:1
	ds_load_2addr_b32 v[7:8], v13 offset0:2 offset1:3
	ds_load_2addr_b32 v[9:10], v13 offset0:4 offset1:5
	;; [unrolled: 1-line block ×3, first 2 shown]
	v_cmp_ne_u32_e64 s2, 0, v16
	s_waitcnt lgkmcnt(3)
	v_add_nc_u32_e32 v14, v6, v5
	s_waitcnt lgkmcnt(2)
	s_delay_alu instid0(VALU_DEP_1) | instskip(SKIP_1) | instid1(VALU_DEP_1)
	v_add3_u32 v14, v14, v7, v8
	s_waitcnt lgkmcnt(1)
	v_add3_u32 v14, v14, v9, v10
	s_waitcnt lgkmcnt(0)
	s_delay_alu instid0(VALU_DEP_1) | instskip(NEXT) | instid1(VALU_DEP_1)
	v_add3_u32 v14, v14, v11, v12
	v_mov_b32_dpp v17, v14 row_shr:1 row_mask:0xf bank_mask:0xf
	s_delay_alu instid0(VALU_DEP_1) | instskip(SKIP_1) | instid1(VALU_DEP_2)
	v_cndmask_b32_e64 v17, 0, v17, s2
	v_cmp_lt_u32_e64 s2, 1, v16
	v_add_nc_u32_e32 v14, v17, v14
	s_delay_alu instid0(VALU_DEP_1) | instskip(NEXT) | instid1(VALU_DEP_1)
	v_mov_b32_dpp v17, v14 row_shr:2 row_mask:0xf bank_mask:0xf
	v_cndmask_b32_e64 v17, 0, v17, s2
	v_cmp_lt_u32_e64 s2, 3, v16
	s_delay_alu instid0(VALU_DEP_2) | instskip(NEXT) | instid1(VALU_DEP_1)
	v_add_nc_u32_e32 v14, v14, v17
	v_mov_b32_dpp v17, v14 row_shr:4 row_mask:0xf bank_mask:0xf
	s_delay_alu instid0(VALU_DEP_1) | instskip(SKIP_1) | instid1(VALU_DEP_2)
	v_cndmask_b32_e64 v17, 0, v17, s2
	v_cmp_lt_u32_e64 s2, 7, v16
	v_add_nc_u32_e32 v14, v14, v17
	s_delay_alu instid0(VALU_DEP_1) | instskip(NEXT) | instid1(VALU_DEP_1)
	v_mov_b32_dpp v17, v14 row_shr:8 row_mask:0xf bank_mask:0xf
	v_cndmask_b32_e64 v16, 0, v17, s2
	v_bfe_i32 v17, v15, 4, 1
	v_cmp_gt_i32_e64 s2, 0, v18
	s_delay_alu instid0(VALU_DEP_3) | instskip(NEXT) | instid1(VALU_DEP_2)
	v_add_nc_u32_e32 v14, v14, v16
	v_cndmask_b32_e64 v15, v18, v15, s2
	v_cmp_eq_u32_e64 s2, 0, v0
	ds_swizzle_b32 v16, v14 offset:swizzle(BROADCAST,32,15)
	v_lshlrev_b32_e32 v15, 2, v15
	s_waitcnt lgkmcnt(0)
	v_and_b32_e32 v16, v17, v16
	s_delay_alu instid0(VALU_DEP_1) | instskip(SKIP_3) | instid1(VALU_DEP_1)
	v_add_nc_u32_e32 v14, v14, v16
	ds_bpermute_b32 v14, v15, v14
	s_waitcnt lgkmcnt(0)
	v_add_nc_u32_e32 v5, v14, v5
	v_cndmask_b32_e64 v4, v5, v4, s2
	s_delay_alu instid0(VALU_DEP_1) | instskip(NEXT) | instid1(VALU_DEP_1)
	v_add_nc_u32_e32 v5, v4, v6
	v_add_nc_u32_e32 v6, v5, v7
	s_delay_alu instid0(VALU_DEP_1) | instskip(NEXT) | instid1(VALU_DEP_1)
	v_add_nc_u32_e32 v7, v6, v8
	v_add_nc_u32_e32 v8, v7, v9
	;; [unrolled: 3-line block ×3, first 2 shown]
	s_delay_alu instid0(VALU_DEP_1)
	v_add_nc_u32_e32 v11, v10, v12
	ds_store_2addr_b32 v13, v4, v5 offset1:1
	ds_store_2addr_b32 v13, v6, v7 offset0:2 offset1:3
	ds_store_2addr_b32 v13, v8, v9 offset0:4 offset1:5
	ds_store_2addr_b32 v13, v10, v11 offset0:6 offset1:7
.LBB122_2:
	s_or_b32 exec_lo, exec_lo, s3
	v_cmp_eq_u32_e64 s2, 0, v0
	s_mov_b32 s4, exec_lo
	s_waitcnt lgkmcnt(0)
	s_barrier
	buffer_gl0_inv
	v_cmpx_ne_u32_e32 0, v0
	s_cbranch_execz .LBB122_4
; %bb.3:
	v_add_nc_u32_e32 v0, -1, v0
	s_delay_alu instid0(VALU_DEP_1) | instskip(NEXT) | instid1(VALU_DEP_1)
	v_lshrrev_b32_e32 v3, 5, v0
	v_add_lshl_u32 v0, v3, v0, 2
	ds_load_b32 v3, v0
.LBB122_4:
	s_or_b32 exec_lo, exec_lo, s4
	s_load_b32 s1, s[0:1], 0x10
	s_waitcnt lgkmcnt(0)
	v_mov_b32_e32 v0, s1
	s_and_saveexec_b32 s0, vcc_lo
	s_cbranch_execz .LBB122_8
; %bb.5:
	v_mov_b32_e32 v4, 0
	ds_load_b32 v0, v4 offset:1044
	s_and_saveexec_b32 s3, s2
	s_cbranch_execz .LBB122_7
; %bb.6:
	v_mov_b32_e32 v5, s1
	ds_store_b32 v4, v5
.LBB122_7:
	s_or_b32 exec_lo, exec_lo, s3
	s_waitcnt lgkmcnt(0)
	v_add_nc_u32_e32 v0, s1, v0
.LBB122_8:
	s_or_b32 exec_lo, exec_lo, s0
	v_mov_b32_e32 v4, 0
	s_barrier
	buffer_gl0_inv
	ds_load_b32 v5, v4
	s_waitcnt lgkmcnt(0)
	v_add_nc_u32_e32 v3, v5, v3
	global_store_b32 v[1:2], v3, off
	s_and_saveexec_b32 s0, s2
	s_cbranch_execz .LBB122_10
; %bb.9:
	s_mov_b32 s9, 0
	s_delay_alu instid0(SALU_CYCLE_1) | instskip(NEXT) | instid1(SALU_CYCLE_1)
	s_lshl_b64 s[0:1], s[8:9], 2
	s_add_u32 s0, s6, s0
	s_addc_u32 s1, s7, s1
	global_store_b32 v4, v0, s[0:1]
.LBB122_10:
	s_nop 0
	s_sendmsg sendmsg(MSG_DEALLOC_VGPRS)
	s_endpgm
	.section	.rodata,"a",@progbits
	.p2align	6, 0x0
	.amdhsa_kernel _Z37exclusive_scan_prefix_callback_kernelILj255ELN6hipcub18BlockScanAlgorithmE1EjEvPT1_S3_S2_
		.amdhsa_group_segment_fixed_size 1056
		.amdhsa_private_segment_fixed_size 0
		.amdhsa_kernarg_size 20
		.amdhsa_user_sgpr_count 15
		.amdhsa_user_sgpr_dispatch_ptr 0
		.amdhsa_user_sgpr_queue_ptr 0
		.amdhsa_user_sgpr_kernarg_segment_ptr 1
		.amdhsa_user_sgpr_dispatch_id 0
		.amdhsa_user_sgpr_private_segment_size 0
		.amdhsa_wavefront_size32 1
		.amdhsa_uses_dynamic_stack 0
		.amdhsa_enable_private_segment 0
		.amdhsa_system_sgpr_workgroup_id_x 1
		.amdhsa_system_sgpr_workgroup_id_y 0
		.amdhsa_system_sgpr_workgroup_id_z 0
		.amdhsa_system_sgpr_workgroup_info 0
		.amdhsa_system_vgpr_workitem_id 0
		.amdhsa_next_free_vgpr 19
		.amdhsa_next_free_sgpr 16
		.amdhsa_reserve_vcc 1
		.amdhsa_float_round_mode_32 0
		.amdhsa_float_round_mode_16_64 0
		.amdhsa_float_denorm_mode_32 3
		.amdhsa_float_denorm_mode_16_64 3
		.amdhsa_dx10_clamp 1
		.amdhsa_ieee_mode 1
		.amdhsa_fp16_overflow 0
		.amdhsa_workgroup_processor_mode 1
		.amdhsa_memory_ordered 1
		.amdhsa_forward_progress 0
		.amdhsa_shared_vgpr_count 0
		.amdhsa_exception_fp_ieee_invalid_op 0
		.amdhsa_exception_fp_denorm_src 0
		.amdhsa_exception_fp_ieee_div_zero 0
		.amdhsa_exception_fp_ieee_overflow 0
		.amdhsa_exception_fp_ieee_underflow 0
		.amdhsa_exception_fp_ieee_inexact 0
		.amdhsa_exception_int_div_zero 0
	.end_amdhsa_kernel
	.section	.text._Z37exclusive_scan_prefix_callback_kernelILj255ELN6hipcub18BlockScanAlgorithmE1EjEvPT1_S3_S2_,"axG",@progbits,_Z37exclusive_scan_prefix_callback_kernelILj255ELN6hipcub18BlockScanAlgorithmE1EjEvPT1_S3_S2_,comdat
.Lfunc_end122:
	.size	_Z37exclusive_scan_prefix_callback_kernelILj255ELN6hipcub18BlockScanAlgorithmE1EjEvPT1_S3_S2_, .Lfunc_end122-_Z37exclusive_scan_prefix_callback_kernelILj255ELN6hipcub18BlockScanAlgorithmE1EjEvPT1_S3_S2_
                                        ; -- End function
	.section	.AMDGPU.csdata,"",@progbits
; Kernel info:
; codeLenInByte = 768
; NumSgprs: 18
; NumVgprs: 19
; ScratchSize: 0
; MemoryBound: 0
; FloatMode: 240
; IeeeMode: 1
; LDSByteSize: 1056 bytes/workgroup (compile time only)
; SGPRBlocks: 2
; VGPRBlocks: 2
; NumSGPRsForWavesPerEU: 18
; NumVGPRsForWavesPerEU: 19
; Occupancy: 16
; WaveLimiterHint : 0
; COMPUTE_PGM_RSRC2:SCRATCH_EN: 0
; COMPUTE_PGM_RSRC2:USER_SGPR: 15
; COMPUTE_PGM_RSRC2:TRAP_HANDLER: 0
; COMPUTE_PGM_RSRC2:TGID_X_EN: 1
; COMPUTE_PGM_RSRC2:TGID_Y_EN: 0
; COMPUTE_PGM_RSRC2:TGID_Z_EN: 0
; COMPUTE_PGM_RSRC2:TIDIG_COMP_CNT: 0
	.section	.text._Z37exclusive_scan_prefix_callback_kernelILj162ELN6hipcub18BlockScanAlgorithmE1EsEvPT1_S3_S2_,"axG",@progbits,_Z37exclusive_scan_prefix_callback_kernelILj162ELN6hipcub18BlockScanAlgorithmE1EsEvPT1_S3_S2_,comdat
	.protected	_Z37exclusive_scan_prefix_callback_kernelILj162ELN6hipcub18BlockScanAlgorithmE1EsEvPT1_S3_S2_ ; -- Begin function _Z37exclusive_scan_prefix_callback_kernelILj162ELN6hipcub18BlockScanAlgorithmE1EsEvPT1_S3_S2_
	.globl	_Z37exclusive_scan_prefix_callback_kernelILj162ELN6hipcub18BlockScanAlgorithmE1EsEvPT1_S3_S2_
	.p2align	8
	.type	_Z37exclusive_scan_prefix_callback_kernelILj162ELN6hipcub18BlockScanAlgorithmE1EsEvPT1_S3_S2_,@function
_Z37exclusive_scan_prefix_callback_kernelILj162ELN6hipcub18BlockScanAlgorithmE1EsEvPT1_S3_S2_: ; @_Z37exclusive_scan_prefix_callback_kernelILj162ELN6hipcub18BlockScanAlgorithmE1EsEvPT1_S3_S2_
; %bb.0:
	s_load_b128 s[4:7], s[0:1], 0x0
	s_mov_b32 s8, s15
	s_delay_alu instid0(SALU_CYCLE_1) | instskip(SKIP_1) | instid1(VALU_DEP_1)
	v_mad_u64_u32 v[1:2], null, 0xa2, s8, v[0:1]
	v_mov_b32_e32 v2, 0
	v_lshlrev_b64 v[3:4], 1, v[1:2]
	v_lshlrev_b32_e32 v1, 1, v0
	s_waitcnt lgkmcnt(0)
	s_delay_alu instid0(VALU_DEP_2) | instskip(NEXT) | instid1(VALU_DEP_3)
	v_add_co_u32 v3, vcc_lo, s4, v3
	v_add_co_ci_u32_e32 v4, vcc_lo, s5, v4, vcc_lo
	v_cmp_gt_u32_e32 vcc_lo, 32, v0
	global_load_u16 v5, v[3:4], off
	s_waitcnt vmcnt(0)
	ds_store_b16 v1, v5
	s_waitcnt lgkmcnt(0)
	s_barrier
	buffer_gl0_inv
	s_and_saveexec_b32 s3, vcc_lo
	s_cbranch_execz .LBB123_2
; %bb.1:
	v_mul_u32_u24_e32 v6, 6, v0
	v_mbcnt_lo_u32_b32 v14, -1, 0
	s_delay_alu instid0(VALU_DEP_2) | instskip(NEXT) | instid1(VALU_DEP_2)
	v_lshlrev_b32_e32 v9, 1, v6
	v_and_b32_e32 v16, 15, v14
	ds_load_b96 v[6:8], v9
	v_cmp_ne_u32_e64 s2, 0, v16
	s_waitcnt lgkmcnt(0)
	v_lshrrev_b32_e32 v10, 16, v6
	v_lshrrev_b32_e32 v12, 16, v7
	;; [unrolled: 1-line block ×3, first 2 shown]
	s_delay_alu instid0(VALU_DEP_3) | instskip(NEXT) | instid1(VALU_DEP_1)
	v_add_nc_u16 v11, v10, v6
	v_add_nc_u16 v11, v11, v7
	s_delay_alu instid0(VALU_DEP_1) | instskip(NEXT) | instid1(VALU_DEP_1)
	v_add_nc_u16 v11, v11, v12
	v_add_nc_u16 v11, v11, v8
	s_delay_alu instid0(VALU_DEP_1) | instskip(NEXT) | instid1(VALU_DEP_1)
	v_add_nc_u16 v11, v11, v13
	v_and_b32_e32 v15, 0xffff, v11
	s_delay_alu instid0(VALU_DEP_1) | instskip(NEXT) | instid1(VALU_DEP_1)
	v_mov_b32_dpp v15, v15 row_shr:1 row_mask:0xf bank_mask:0xf
	v_cndmask_b32_e64 v15, 0, v15, s2
	v_cmp_lt_u32_e64 s2, 1, v16
	s_delay_alu instid0(VALU_DEP_2) | instskip(NEXT) | instid1(VALU_DEP_1)
	v_add_nc_u16 v11, v15, v11
	v_and_b32_e32 v15, 0xffff, v11
	s_delay_alu instid0(VALU_DEP_1) | instskip(NEXT) | instid1(VALU_DEP_1)
	v_mov_b32_dpp v15, v15 row_shr:2 row_mask:0xf bank_mask:0xf
	v_cndmask_b32_e64 v15, 0, v15, s2
	v_cmp_lt_u32_e64 s2, 3, v16
	s_delay_alu instid0(VALU_DEP_2) | instskip(NEXT) | instid1(VALU_DEP_1)
	v_add_nc_u16 v11, v11, v15
	v_and_b32_e32 v15, 0xffff, v11
	s_delay_alu instid0(VALU_DEP_1) | instskip(NEXT) | instid1(VALU_DEP_1)
	v_mov_b32_dpp v15, v15 row_shr:4 row_mask:0xf bank_mask:0xf
	v_cndmask_b32_e64 v15, 0, v15, s2
	v_cmp_lt_u32_e64 s2, 7, v16
	v_and_b32_e32 v16, 16, v14
	s_delay_alu instid0(VALU_DEP_3) | instskip(NEXT) | instid1(VALU_DEP_1)
	v_add_nc_u16 v11, v11, v15
	v_and_b32_e32 v15, 0xffff, v11
	s_delay_alu instid0(VALU_DEP_1) | instskip(NEXT) | instid1(VALU_DEP_1)
	v_mov_b32_dpp v15, v15 row_shr:8 row_mask:0xf bank_mask:0xf
	v_cndmask_b32_e64 v15, 0, v15, s2
	v_cmp_ne_u32_e64 s2, 0, v16
	v_add_nc_u32_e32 v16, -1, v14
	s_delay_alu instid0(VALU_DEP_3) | instskip(NEXT) | instid1(VALU_DEP_1)
	v_add_nc_u16 v11, v11, v15
	v_and_b32_e32 v15, 0xffff, v11
	ds_swizzle_b32 v15, v15 offset:swizzle(BROADCAST,32,15)
	s_waitcnt lgkmcnt(0)
	v_cndmask_b32_e64 v15, 0, v15, s2
	v_cmp_gt_i32_e64 s2, 0, v16
	s_delay_alu instid0(VALU_DEP_2) | instskip(NEXT) | instid1(VALU_DEP_2)
	v_add_nc_u16 v11, v11, v15
	v_cndmask_b32_e64 v14, v16, v14, s2
	v_cmp_eq_u32_e64 s2, 0, v0
	s_delay_alu instid0(VALU_DEP_3) | instskip(NEXT) | instid1(VALU_DEP_3)
	v_and_b32_e32 v11, 0xffff, v11
	v_lshlrev_b32_e32 v14, 2, v14
	ds_bpermute_b32 v11, v14, v11
	s_waitcnt lgkmcnt(0)
	v_add_nc_u16 v6, v6, v11
	s_delay_alu instid0(VALU_DEP_1) | instskip(NEXT) | instid1(VALU_DEP_1)
	v_cndmask_b32_e64 v5, v6, v5, s2
	v_add_nc_u16 v6, v5, v10
	s_delay_alu instid0(VALU_DEP_1) | instskip(SKIP_1) | instid1(VALU_DEP_2)
	v_add_nc_u16 v7, v6, v7
	v_perm_b32 v5, v6, v5, 0x5040100
	v_add_nc_u16 v10, v7, v12
	s_delay_alu instid0(VALU_DEP_1) | instskip(SKIP_1) | instid1(VALU_DEP_2)
	v_add_nc_u16 v8, v10, v8
	v_perm_b32 v6, v10, v7, 0x5040100
	v_add_nc_u16 v11, v8, v13
	s_delay_alu instid0(VALU_DEP_1)
	v_perm_b32 v7, v11, v8, 0x5040100
	ds_store_b96 v9, v[5:7]
.LBB123_2:
	s_or_b32 exec_lo, exec_lo, s3
	v_cmp_eq_u32_e64 s2, 0, v0
	s_mov_b32 s4, exec_lo
	s_waitcnt lgkmcnt(0)
	s_barrier
	buffer_gl0_inv
	v_cmpx_ne_u32_e32 0, v0
	s_cbranch_execz .LBB123_4
; %bb.3:
	v_add_nc_u32_e32 v0, -2, v1
	ds_load_u16 v2, v0
.LBB123_4:
	s_or_b32 exec_lo, exec_lo, s4
	s_load_b32 s1, s[0:1], 0x10
	s_waitcnt lgkmcnt(0)
	v_mov_b32_e32 v0, s1
	s_and_saveexec_b32 s0, vcc_lo
	s_cbranch_execz .LBB123_8
; %bb.5:
	v_mov_b32_e32 v1, 0
	ds_load_u16 v0, v1 offset:322
	s_and_saveexec_b32 s3, s2
	s_cbranch_execz .LBB123_7
; %bb.6:
	v_mov_b32_e32 v5, s1
	ds_store_b16 v1, v5
.LBB123_7:
	s_or_b32 exec_lo, exec_lo, s3
	s_waitcnt lgkmcnt(0)
	v_add_nc_u32_e32 v0, s1, v0
.LBB123_8:
	s_or_b32 exec_lo, exec_lo, s0
	v_mov_b32_e32 v1, 0
	s_barrier
	buffer_gl0_inv
	ds_load_u16 v5, v1
	s_waitcnt lgkmcnt(0)
	v_add_nc_u16 v2, v5, v2
	global_store_b16 v[3:4], v2, off
	s_and_saveexec_b32 s0, s2
	s_cbranch_execz .LBB123_10
; %bb.9:
	s_mov_b32 s9, 0
	s_delay_alu instid0(SALU_CYCLE_1) | instskip(NEXT) | instid1(SALU_CYCLE_1)
	s_lshl_b64 s[0:1], s[8:9], 1
	s_add_u32 s0, s6, s0
	s_addc_u32 s1, s7, s1
	global_store_b16 v1, v0, s[0:1]
.LBB123_10:
	s_nop 0
	s_sendmsg sendmsg(MSG_DEALLOC_VGPRS)
	s_endpgm
	.section	.rodata,"a",@progbits
	.p2align	6, 0x0
	.amdhsa_kernel _Z37exclusive_scan_prefix_callback_kernelILj162ELN6hipcub18BlockScanAlgorithmE1EsEvPT1_S3_S2_
		.amdhsa_group_segment_fixed_size 384
		.amdhsa_private_segment_fixed_size 0
		.amdhsa_kernarg_size 20
		.amdhsa_user_sgpr_count 15
		.amdhsa_user_sgpr_dispatch_ptr 0
		.amdhsa_user_sgpr_queue_ptr 0
		.amdhsa_user_sgpr_kernarg_segment_ptr 1
		.amdhsa_user_sgpr_dispatch_id 0
		.amdhsa_user_sgpr_private_segment_size 0
		.amdhsa_wavefront_size32 1
		.amdhsa_uses_dynamic_stack 0
		.amdhsa_enable_private_segment 0
		.amdhsa_system_sgpr_workgroup_id_x 1
		.amdhsa_system_sgpr_workgroup_id_y 0
		.amdhsa_system_sgpr_workgroup_id_z 0
		.amdhsa_system_sgpr_workgroup_info 0
		.amdhsa_system_vgpr_workitem_id 0
		.amdhsa_next_free_vgpr 17
		.amdhsa_next_free_sgpr 16
		.amdhsa_reserve_vcc 1
		.amdhsa_float_round_mode_32 0
		.amdhsa_float_round_mode_16_64 0
		.amdhsa_float_denorm_mode_32 3
		.amdhsa_float_denorm_mode_16_64 3
		.amdhsa_dx10_clamp 1
		.amdhsa_ieee_mode 1
		.amdhsa_fp16_overflow 0
		.amdhsa_workgroup_processor_mode 1
		.amdhsa_memory_ordered 1
		.amdhsa_forward_progress 0
		.amdhsa_shared_vgpr_count 0
		.amdhsa_exception_fp_ieee_invalid_op 0
		.amdhsa_exception_fp_denorm_src 0
		.amdhsa_exception_fp_ieee_div_zero 0
		.amdhsa_exception_fp_ieee_overflow 0
		.amdhsa_exception_fp_ieee_underflow 0
		.amdhsa_exception_fp_ieee_inexact 0
		.amdhsa_exception_int_div_zero 0
	.end_amdhsa_kernel
	.section	.text._Z37exclusive_scan_prefix_callback_kernelILj162ELN6hipcub18BlockScanAlgorithmE1EsEvPT1_S3_S2_,"axG",@progbits,_Z37exclusive_scan_prefix_callback_kernelILj162ELN6hipcub18BlockScanAlgorithmE1EsEvPT1_S3_S2_,comdat
.Lfunc_end123:
	.size	_Z37exclusive_scan_prefix_callback_kernelILj162ELN6hipcub18BlockScanAlgorithmE1EsEvPT1_S3_S2_, .Lfunc_end123-_Z37exclusive_scan_prefix_callback_kernelILj162ELN6hipcub18BlockScanAlgorithmE1EsEvPT1_S3_S2_
                                        ; -- End function
	.section	.AMDGPU.csdata,"",@progbits
; Kernel info:
; codeLenInByte = 848
; NumSgprs: 18
; NumVgprs: 17
; ScratchSize: 0
; MemoryBound: 0
; FloatMode: 240
; IeeeMode: 1
; LDSByteSize: 384 bytes/workgroup (compile time only)
; SGPRBlocks: 2
; VGPRBlocks: 2
; NumSGPRsForWavesPerEU: 18
; NumVGPRsForWavesPerEU: 17
; Occupancy: 15
; WaveLimiterHint : 0
; COMPUTE_PGM_RSRC2:SCRATCH_EN: 0
; COMPUTE_PGM_RSRC2:USER_SGPR: 15
; COMPUTE_PGM_RSRC2:TRAP_HANDLER: 0
; COMPUTE_PGM_RSRC2:TGID_X_EN: 1
; COMPUTE_PGM_RSRC2:TGID_Y_EN: 0
; COMPUTE_PGM_RSRC2:TGID_Z_EN: 0
; COMPUTE_PGM_RSRC2:TIDIG_COMP_CNT: 0
	.section	.text._Z37exclusive_scan_prefix_callback_kernelILj37ELN6hipcub18BlockScanAlgorithmE1ElEvPT1_S3_S2_,"axG",@progbits,_Z37exclusive_scan_prefix_callback_kernelILj37ELN6hipcub18BlockScanAlgorithmE1ElEvPT1_S3_S2_,comdat
	.protected	_Z37exclusive_scan_prefix_callback_kernelILj37ELN6hipcub18BlockScanAlgorithmE1ElEvPT1_S3_S2_ ; -- Begin function _Z37exclusive_scan_prefix_callback_kernelILj37ELN6hipcub18BlockScanAlgorithmE1ElEvPT1_S3_S2_
	.globl	_Z37exclusive_scan_prefix_callback_kernelILj37ELN6hipcub18BlockScanAlgorithmE1ElEvPT1_S3_S2_
	.p2align	8
	.type	_Z37exclusive_scan_prefix_callback_kernelILj37ELN6hipcub18BlockScanAlgorithmE1ElEvPT1_S3_S2_,@function
_Z37exclusive_scan_prefix_callback_kernelILj37ELN6hipcub18BlockScanAlgorithmE1ElEvPT1_S3_S2_: ; @_Z37exclusive_scan_prefix_callback_kernelILj37ELN6hipcub18BlockScanAlgorithmE1ElEvPT1_S3_S2_
; %bb.0:
	s_clause 0x1
	s_load_b128 s[4:7], s[0:1], 0x0
	s_load_b64 s[8:9], s[0:1], 0x10
	s_mov_b32 s2, s15
	s_delay_alu instid0(SALU_CYCLE_1) | instskip(SKIP_1) | instid1(VALU_DEP_1)
	v_mad_u64_u32 v[1:2], null, s2, 37, v[0:1]
	v_mov_b32_e32 v2, 0
	v_lshlrev_b64 v[1:2], 3, v[1:2]
	s_waitcnt lgkmcnt(0)
	s_delay_alu instid0(VALU_DEP_1) | instskip(NEXT) | instid1(VALU_DEP_2)
	v_add_co_u32 v5, vcc_lo, s4, v1
	v_add_co_ci_u32_e32 v6, vcc_lo, s5, v2, vcc_lo
	v_lshrrev_b32_e32 v1, 5, v0
	v_cmp_gt_u32_e32 vcc_lo, 32, v0
	global_load_b64 v[7:8], v[5:6], off
	v_add_lshl_u32 v1, v1, v0, 3
	s_waitcnt vmcnt(0)
	ds_store_b64 v1, v[7:8]
	s_waitcnt lgkmcnt(0)
	s_barrier
	buffer_gl0_inv
	s_and_saveexec_b32 s1, vcc_lo
	s_cbranch_execz .LBB124_10
; %bb.1:
	v_lshrrev_b32_e32 v1, 1, v0
	v_mbcnt_lo_u32_b32 v14, -1, 0
	s_mov_b32 s3, exec_lo
	s_delay_alu instid0(VALU_DEP_2) | instskip(NEXT) | instid1(VALU_DEP_2)
	v_and_b32_e32 v1, 24, v1
	v_and_b32_e32 v15, 15, v14
	s_delay_alu instid0(VALU_DEP_2) | instskip(SKIP_3) | instid1(VALU_DEP_1)
	v_lshl_or_b32 v13, v0, 4, v1
	ds_load_2addr_b64 v[1:4], v13 offset1:1
	s_waitcnt lgkmcnt(0)
	v_add_co_u32 v9, s0, v3, v1
	v_add_co_ci_u32_e64 v10, s0, v4, v2, s0
	s_delay_alu instid0(VALU_DEP_2) | instskip(NEXT) | instid1(VALU_DEP_2)
	v_mov_b32_dpp v17, v9 row_shr:1 row_mask:0xf bank_mask:0xf
	v_mov_b32_e32 v12, v10
	v_mov_b32_dpp v16, v10 row_shr:1 row_mask:0xf bank_mask:0xf
	v_mov_b32_e32 v11, v9
	v_cmpx_ne_u32_e32 0, v15
; %bb.2:
	v_add_co_u32 v9, s0, v9, v17
	s_delay_alu instid0(VALU_DEP_1) | instskip(NEXT) | instid1(VALU_DEP_2)
	v_add_co_ci_u32_e64 v10, s0, 0, v10, s0
	v_add_co_u32 v11, s0, 0, v9
	s_delay_alu instid0(VALU_DEP_1) | instskip(NEXT) | instid1(VALU_DEP_1)
	v_add_co_ci_u32_e64 v12, s0, v16, v10, s0
	v_mov_b32_e32 v10, v12
; %bb.3:
	s_or_b32 exec_lo, exec_lo, s3
	v_mov_b32_dpp v17, v9 row_shr:2 row_mask:0xf bank_mask:0xf
	s_delay_alu instid0(VALU_DEP_2)
	v_mov_b32_dpp v16, v10 row_shr:2 row_mask:0xf bank_mask:0xf
	s_mov_b32 s3, exec_lo
	v_cmpx_lt_u32_e32 1, v15
; %bb.4:
	s_delay_alu instid0(VALU_DEP_3) | instskip(NEXT) | instid1(VALU_DEP_1)
	v_add_co_u32 v9, s0, v11, v17
	v_add_co_ci_u32_e64 v10, s0, 0, v12, s0
	s_delay_alu instid0(VALU_DEP_2) | instskip(NEXT) | instid1(VALU_DEP_1)
	v_add_co_u32 v11, s0, 0, v9
	v_add_co_ci_u32_e64 v12, s0, v16, v10, s0
	s_delay_alu instid0(VALU_DEP_1)
	v_mov_b32_e32 v10, v12
; %bb.5:
	s_or_b32 exec_lo, exec_lo, s3
	v_mov_b32_dpp v17, v9 row_shr:4 row_mask:0xf bank_mask:0xf
	s_delay_alu instid0(VALU_DEP_2)
	v_mov_b32_dpp v16, v10 row_shr:4 row_mask:0xf bank_mask:0xf
	s_mov_b32 s3, exec_lo
	v_cmpx_lt_u32_e32 3, v15
; %bb.6:
	s_delay_alu instid0(VALU_DEP_3) | instskip(NEXT) | instid1(VALU_DEP_1)
	v_add_co_u32 v9, s0, v11, v17
	v_add_co_ci_u32_e64 v10, s0, 0, v12, s0
	s_delay_alu instid0(VALU_DEP_2) | instskip(NEXT) | instid1(VALU_DEP_1)
	v_add_co_u32 v11, s0, 0, v9
	v_add_co_ci_u32_e64 v12, s0, v16, v10, s0
	s_delay_alu instid0(VALU_DEP_1)
	;; [unrolled: 16-line block ×3, first 2 shown]
	v_mov_b32_e32 v10, v12
; %bb.9:
	s_or_b32 exec_lo, exec_lo, s3
	ds_swizzle_b32 v15, v9 offset:swizzle(BROADCAST,32,15)
	ds_swizzle_b32 v16, v10 offset:swizzle(BROADCAST,32,15)
	v_add_nc_u32_e32 v17, -1, v14
	v_and_b32_e32 v18, 16, v14
	s_delay_alu instid0(VALU_DEP_2) | instskip(NEXT) | instid1(VALU_DEP_1)
	v_cmp_gt_i32_e64 s0, 0, v17
	v_cndmask_b32_e64 v14, v17, v14, s0
	s_delay_alu instid0(VALU_DEP_1) | instskip(SKIP_2) | instid1(VALU_DEP_1)
	v_lshlrev_b32_e32 v14, 2, v14
	s_waitcnt lgkmcnt(1)
	v_add_co_u32 v11, s0, v11, v15
	v_add_co_ci_u32_e64 v12, s0, 0, v12, s0
	v_cmp_eq_u32_e64 s0, 0, v18
	s_delay_alu instid0(VALU_DEP_1) | instskip(SKIP_1) | instid1(VALU_DEP_3)
	v_cndmask_b32_e64 v9, v11, v9, s0
	s_waitcnt lgkmcnt(0)
	v_add_nc_u32_e32 v11, v16, v12
	ds_bpermute_b32 v9, v14, v9
	v_cndmask_b32_e64 v10, v11, v10, s0
	ds_bpermute_b32 v10, v14, v10
	s_waitcnt lgkmcnt(1)
	v_add_co_u32 v1, s0, v1, v9
	s_delay_alu instid0(VALU_DEP_1) | instskip(NEXT) | instid1(VALU_DEP_2)
	v_add_co_ci_u32_e64 v2, s0, 0, v2, s0
	v_add_co_u32 v1, s0, v1, 0
	s_waitcnt lgkmcnt(0)
	s_delay_alu instid0(VALU_DEP_2) | instskip(SKIP_1) | instid1(VALU_DEP_1)
	v_add_co_ci_u32_e64 v2, s0, v2, v10, s0
	v_cmp_eq_u32_e64 s0, 0, v0
	v_cndmask_b32_e64 v1, v1, v7, s0
	s_delay_alu instid0(VALU_DEP_3) | instskip(NEXT) | instid1(VALU_DEP_2)
	v_cndmask_b32_e64 v2, v2, v8, s0
	v_add_co_u32 v3, s0, v1, v3
	s_delay_alu instid0(VALU_DEP_1)
	v_add_co_ci_u32_e64 v4, s0, v2, v4, s0
	ds_store_2addr_b64 v13, v[1:2], v[3:4] offset1:1
.LBB124_10:
	s_or_b32 exec_lo, exec_lo, s1
	v_mov_b32_e32 v1, 0
	v_cmp_eq_u32_e64 s0, 0, v0
	v_mov_b32_e32 v2, 0
	s_mov_b32 s3, exec_lo
	s_waitcnt lgkmcnt(0)
	s_barrier
	buffer_gl0_inv
	v_cmpx_ne_u32_e32 0, v0
	s_cbranch_execz .LBB124_12
; %bb.11:
	v_add_nc_u32_e32 v0, -1, v0
	s_delay_alu instid0(VALU_DEP_1) | instskip(NEXT) | instid1(VALU_DEP_1)
	v_lshrrev_b32_e32 v1, 5, v0
	v_add_lshl_u32 v0, v1, v0, 3
	ds_load_b64 v[1:2], v0
.LBB124_12:
	s_or_b32 exec_lo, exec_lo, s3
	v_dual_mov_b32 v3, s8 :: v_dual_mov_b32 v4, s9
	s_and_saveexec_b32 s1, vcc_lo
	s_cbranch_execz .LBB124_16
; %bb.13:
	v_mov_b32_e32 v0, 0
	ds_load_b64 v[3:4], v0 offset:296
	s_waitcnt lgkmcnt(0)
	v_add_co_u32 v3, vcc_lo, v3, s8
	v_add_co_ci_u32_e32 v4, vcc_lo, s9, v4, vcc_lo
	s_and_saveexec_b32 s3, s0
	s_cbranch_execz .LBB124_15
; %bb.14:
	v_dual_mov_b32 v7, s8 :: v_dual_mov_b32 v8, s9
	ds_store_b64 v0, v[7:8]
.LBB124_15:
	s_or_b32 exec_lo, exec_lo, s3
.LBB124_16:
	s_delay_alu instid0(SALU_CYCLE_1)
	s_or_b32 exec_lo, exec_lo, s1
	v_mov_b32_e32 v0, 0
	s_waitcnt lgkmcnt(0)
	s_barrier
	buffer_gl0_inv
	ds_load_b64 v[7:8], v0
	s_waitcnt lgkmcnt(0)
	v_add_co_u32 v1, vcc_lo, v7, v1
	v_add_co_ci_u32_e32 v2, vcc_lo, v8, v2, vcc_lo
	global_store_b64 v[5:6], v[1:2], off
	s_and_saveexec_b32 s1, s0
	s_cbranch_execz .LBB124_18
; %bb.17:
	s_mov_b32 s3, 0
	s_delay_alu instid0(SALU_CYCLE_1) | instskip(NEXT) | instid1(SALU_CYCLE_1)
	s_lshl_b64 s[0:1], s[2:3], 3
	s_add_u32 s0, s6, s0
	s_addc_u32 s1, s7, s1
	global_store_b64 v0, v[3:4], s[0:1]
.LBB124_18:
	s_nop 0
	s_sendmsg sendmsg(MSG_DEALLOC_VGPRS)
	s_endpgm
	.section	.rodata,"a",@progbits
	.p2align	6, 0x0
	.amdhsa_kernel _Z37exclusive_scan_prefix_callback_kernelILj37ELN6hipcub18BlockScanAlgorithmE1ElEvPT1_S3_S2_
		.amdhsa_group_segment_fixed_size 528
		.amdhsa_private_segment_fixed_size 0
		.amdhsa_kernarg_size 24
		.amdhsa_user_sgpr_count 15
		.amdhsa_user_sgpr_dispatch_ptr 0
		.amdhsa_user_sgpr_queue_ptr 0
		.amdhsa_user_sgpr_kernarg_segment_ptr 1
		.amdhsa_user_sgpr_dispatch_id 0
		.amdhsa_user_sgpr_private_segment_size 0
		.amdhsa_wavefront_size32 1
		.amdhsa_uses_dynamic_stack 0
		.amdhsa_enable_private_segment 0
		.amdhsa_system_sgpr_workgroup_id_x 1
		.amdhsa_system_sgpr_workgroup_id_y 0
		.amdhsa_system_sgpr_workgroup_id_z 0
		.amdhsa_system_sgpr_workgroup_info 0
		.amdhsa_system_vgpr_workitem_id 0
		.amdhsa_next_free_vgpr 19
		.amdhsa_next_free_sgpr 16
		.amdhsa_reserve_vcc 1
		.amdhsa_float_round_mode_32 0
		.amdhsa_float_round_mode_16_64 0
		.amdhsa_float_denorm_mode_32 3
		.amdhsa_float_denorm_mode_16_64 3
		.amdhsa_dx10_clamp 1
		.amdhsa_ieee_mode 1
		.amdhsa_fp16_overflow 0
		.amdhsa_workgroup_processor_mode 1
		.amdhsa_memory_ordered 1
		.amdhsa_forward_progress 0
		.amdhsa_shared_vgpr_count 0
		.amdhsa_exception_fp_ieee_invalid_op 0
		.amdhsa_exception_fp_denorm_src 0
		.amdhsa_exception_fp_ieee_div_zero 0
		.amdhsa_exception_fp_ieee_overflow 0
		.amdhsa_exception_fp_ieee_underflow 0
		.amdhsa_exception_fp_ieee_inexact 0
		.amdhsa_exception_int_div_zero 0
	.end_amdhsa_kernel
	.section	.text._Z37exclusive_scan_prefix_callback_kernelILj37ELN6hipcub18BlockScanAlgorithmE1ElEvPT1_S3_S2_,"axG",@progbits,_Z37exclusive_scan_prefix_callback_kernelILj37ELN6hipcub18BlockScanAlgorithmE1ElEvPT1_S3_S2_,comdat
.Lfunc_end124:
	.size	_Z37exclusive_scan_prefix_callback_kernelILj37ELN6hipcub18BlockScanAlgorithmE1ElEvPT1_S3_S2_, .Lfunc_end124-_Z37exclusive_scan_prefix_callback_kernelILj37ELN6hipcub18BlockScanAlgorithmE1ElEvPT1_S3_S2_
                                        ; -- End function
	.section	.AMDGPU.csdata,"",@progbits
; Kernel info:
; codeLenInByte = 1004
; NumSgprs: 18
; NumVgprs: 19
; ScratchSize: 0
; MemoryBound: 0
; FloatMode: 240
; IeeeMode: 1
; LDSByteSize: 528 bytes/workgroup (compile time only)
; SGPRBlocks: 2
; VGPRBlocks: 2
; NumSGPRsForWavesPerEU: 18
; NumVGPRsForWavesPerEU: 19
; Occupancy: 16
; WaveLimiterHint : 0
; COMPUTE_PGM_RSRC2:SCRATCH_EN: 0
; COMPUTE_PGM_RSRC2:USER_SGPR: 15
; COMPUTE_PGM_RSRC2:TRAP_HANDLER: 0
; COMPUTE_PGM_RSRC2:TGID_X_EN: 1
; COMPUTE_PGM_RSRC2:TGID_Y_EN: 0
; COMPUTE_PGM_RSRC2:TGID_Z_EN: 0
; COMPUTE_PGM_RSRC2:TIDIG_COMP_CNT: 0
	.section	.text._Z37exclusive_scan_prefix_callback_kernelILj65ELN6hipcub18BlockScanAlgorithmE1EmEvPT1_S3_S2_,"axG",@progbits,_Z37exclusive_scan_prefix_callback_kernelILj65ELN6hipcub18BlockScanAlgorithmE1EmEvPT1_S3_S2_,comdat
	.protected	_Z37exclusive_scan_prefix_callback_kernelILj65ELN6hipcub18BlockScanAlgorithmE1EmEvPT1_S3_S2_ ; -- Begin function _Z37exclusive_scan_prefix_callback_kernelILj65ELN6hipcub18BlockScanAlgorithmE1EmEvPT1_S3_S2_
	.globl	_Z37exclusive_scan_prefix_callback_kernelILj65ELN6hipcub18BlockScanAlgorithmE1EmEvPT1_S3_S2_
	.p2align	8
	.type	_Z37exclusive_scan_prefix_callback_kernelILj65ELN6hipcub18BlockScanAlgorithmE1EmEvPT1_S3_S2_,@function
_Z37exclusive_scan_prefix_callback_kernelILj65ELN6hipcub18BlockScanAlgorithmE1EmEvPT1_S3_S2_: ; @_Z37exclusive_scan_prefix_callback_kernelILj65ELN6hipcub18BlockScanAlgorithmE1EmEvPT1_S3_S2_
; %bb.0:
	s_clause 0x1
	s_load_b128 s[4:7], s[0:1], 0x0
	s_load_b64 s[8:9], s[0:1], 0x10
	s_mov_b32 s2, s15
	v_lshlrev_b32_e32 v15, 3, v0
	v_mad_u64_u32 v[1:2], null, 0x41, s2, v[0:1]
	v_mov_b32_e32 v2, 0
	s_delay_alu instid0(VALU_DEP_1) | instskip(SKIP_1) | instid1(VALU_DEP_1)
	v_lshlrev_b64 v[1:2], 3, v[1:2]
	s_waitcnt lgkmcnt(0)
	v_add_co_u32 v5, vcc_lo, s4, v1
	s_delay_alu instid0(VALU_DEP_2)
	v_add_co_ci_u32_e32 v6, vcc_lo, s5, v2, vcc_lo
	v_cmp_gt_u32_e32 vcc_lo, 32, v0
	global_load_b64 v[7:8], v[5:6], off
	s_waitcnt vmcnt(0)
	ds_store_b64 v15, v[7:8]
	s_waitcnt lgkmcnt(0)
	s_barrier
	buffer_gl0_inv
	s_and_saveexec_b32 s1, vcc_lo
	s_cbranch_execz .LBB125_10
; %bb.1:
	v_mul_u32_u24_e32 v1, 3, v0
	v_mbcnt_lo_u32_b32 v17, -1, 0
	s_mov_b32 s3, exec_lo
	s_delay_alu instid0(VALU_DEP_2) | instskip(NEXT) | instid1(VALU_DEP_2)
	v_lshlrev_b32_e32 v16, 3, v1
	v_and_b32_e32 v18, 15, v17
	ds_load_2addr_b64 v[1:4], v16 offset1:1
	ds_load_b64 v[9:10], v16 offset:16
	s_waitcnt lgkmcnt(1)
	v_add_co_u32 v11, s0, v3, v1
	s_delay_alu instid0(VALU_DEP_1) | instskip(SKIP_1) | instid1(VALU_DEP_2)
	v_add_co_ci_u32_e64 v12, s0, v4, v2, s0
	s_waitcnt lgkmcnt(0)
	v_add_co_u32 v11, s0, v11, v9
	s_delay_alu instid0(VALU_DEP_1) | instskip(NEXT) | instid1(VALU_DEP_2)
	v_add_co_ci_u32_e64 v12, s0, v12, v10, s0
	v_mov_b32_dpp v20, v11 row_shr:1 row_mask:0xf bank_mask:0xf
	s_delay_alu instid0(VALU_DEP_2)
	v_dual_mov_b32 v14, v12 :: v_dual_mov_b32 v13, v11
	v_mov_b32_dpp v19, v12 row_shr:1 row_mask:0xf bank_mask:0xf
	v_cmpx_ne_u32_e32 0, v18
; %bb.2:
	s_delay_alu instid0(VALU_DEP_4) | instskip(NEXT) | instid1(VALU_DEP_1)
	v_add_co_u32 v11, s0, v11, v20
	v_add_co_ci_u32_e64 v12, s0, 0, v12, s0
	s_delay_alu instid0(VALU_DEP_2) | instskip(NEXT) | instid1(VALU_DEP_1)
	v_add_co_u32 v13, s0, 0, v11
	v_add_co_ci_u32_e64 v14, s0, v19, v12, s0
	s_delay_alu instid0(VALU_DEP_1)
	v_mov_b32_e32 v12, v14
; %bb.3:
	s_or_b32 exec_lo, exec_lo, s3
	v_mov_b32_dpp v20, v11 row_shr:2 row_mask:0xf bank_mask:0xf
	s_delay_alu instid0(VALU_DEP_2)
	v_mov_b32_dpp v19, v12 row_shr:2 row_mask:0xf bank_mask:0xf
	s_mov_b32 s3, exec_lo
	v_cmpx_lt_u32_e32 1, v18
; %bb.4:
	s_delay_alu instid0(VALU_DEP_3) | instskip(NEXT) | instid1(VALU_DEP_1)
	v_add_co_u32 v11, s0, v13, v20
	v_add_co_ci_u32_e64 v12, s0, 0, v14, s0
	s_delay_alu instid0(VALU_DEP_2) | instskip(NEXT) | instid1(VALU_DEP_1)
	v_add_co_u32 v13, s0, 0, v11
	v_add_co_ci_u32_e64 v14, s0, v19, v12, s0
	s_delay_alu instid0(VALU_DEP_1)
	v_mov_b32_e32 v12, v14
; %bb.5:
	s_or_b32 exec_lo, exec_lo, s3
	v_mov_b32_dpp v20, v11 row_shr:4 row_mask:0xf bank_mask:0xf
	s_delay_alu instid0(VALU_DEP_2)
	v_mov_b32_dpp v19, v12 row_shr:4 row_mask:0xf bank_mask:0xf
	s_mov_b32 s3, exec_lo
	v_cmpx_lt_u32_e32 3, v18
; %bb.6:
	s_delay_alu instid0(VALU_DEP_3) | instskip(NEXT) | instid1(VALU_DEP_1)
	;; [unrolled: 16-line block ×3, first 2 shown]
	v_add_co_u32 v11, s0, v13, v20
	v_add_co_ci_u32_e64 v12, s0, 0, v14, s0
	s_delay_alu instid0(VALU_DEP_2) | instskip(NEXT) | instid1(VALU_DEP_1)
	v_add_co_u32 v13, s0, 0, v11
	v_add_co_ci_u32_e64 v14, s0, v19, v12, s0
	s_delay_alu instid0(VALU_DEP_1)
	v_mov_b32_e32 v12, v14
; %bb.9:
	s_or_b32 exec_lo, exec_lo, s3
	ds_swizzle_b32 v18, v11 offset:swizzle(BROADCAST,32,15)
	ds_swizzle_b32 v19, v12 offset:swizzle(BROADCAST,32,15)
	v_add_nc_u32_e32 v20, -1, v17
	v_and_b32_e32 v21, 16, v17
	s_delay_alu instid0(VALU_DEP_2) | instskip(NEXT) | instid1(VALU_DEP_1)
	v_cmp_gt_i32_e64 s0, 0, v20
	v_cndmask_b32_e64 v17, v20, v17, s0
	s_delay_alu instid0(VALU_DEP_1) | instskip(SKIP_2) | instid1(VALU_DEP_1)
	v_lshlrev_b32_e32 v17, 2, v17
	s_waitcnt lgkmcnt(1)
	v_add_co_u32 v13, s0, v13, v18
	v_add_co_ci_u32_e64 v14, s0, 0, v14, s0
	v_cmp_eq_u32_e64 s0, 0, v21
	s_delay_alu instid0(VALU_DEP_1) | instskip(SKIP_1) | instid1(VALU_DEP_3)
	v_cndmask_b32_e64 v11, v13, v11, s0
	s_waitcnt lgkmcnt(0)
	v_add_nc_u32_e32 v13, v19, v14
	ds_bpermute_b32 v11, v17, v11
	v_cndmask_b32_e64 v12, v13, v12, s0
	ds_bpermute_b32 v12, v17, v12
	s_waitcnt lgkmcnt(1)
	v_add_co_u32 v1, s0, v1, v11
	s_delay_alu instid0(VALU_DEP_1) | instskip(NEXT) | instid1(VALU_DEP_2)
	v_add_co_ci_u32_e64 v2, s0, 0, v2, s0
	v_add_co_u32 v1, s0, v1, 0
	s_waitcnt lgkmcnt(0)
	s_delay_alu instid0(VALU_DEP_2) | instskip(SKIP_1) | instid1(VALU_DEP_1)
	v_add_co_ci_u32_e64 v2, s0, v2, v12, s0
	v_cmp_eq_u32_e64 s0, 0, v0
	v_cndmask_b32_e64 v1, v1, v7, s0
	s_delay_alu instid0(VALU_DEP_3) | instskip(NEXT) | instid1(VALU_DEP_2)
	v_cndmask_b32_e64 v2, v2, v8, s0
	v_add_co_u32 v3, s0, v1, v3
	s_delay_alu instid0(VALU_DEP_1) | instskip(NEXT) | instid1(VALU_DEP_2)
	v_add_co_ci_u32_e64 v4, s0, v2, v4, s0
	v_add_co_u32 v7, s0, v3, v9
	s_delay_alu instid0(VALU_DEP_1)
	v_add_co_ci_u32_e64 v8, s0, v4, v10, s0
	ds_store_2addr_b64 v16, v[1:2], v[3:4] offset1:1
	ds_store_b64 v16, v[7:8] offset:16
.LBB125_10:
	s_or_b32 exec_lo, exec_lo, s1
	v_mov_b32_e32 v1, 0
	v_cmp_eq_u32_e64 s0, 0, v0
	v_mov_b32_e32 v2, 0
	s_mov_b32 s3, exec_lo
	s_waitcnt lgkmcnt(0)
	s_barrier
	buffer_gl0_inv
	v_cmpx_ne_u32_e32 0, v0
	s_cbranch_execz .LBB125_12
; %bb.11:
	v_add_nc_u32_e32 v0, -8, v15
	ds_load_b64 v[1:2], v0
.LBB125_12:
	s_or_b32 exec_lo, exec_lo, s3
	v_dual_mov_b32 v3, s8 :: v_dual_mov_b32 v4, s9
	s_and_saveexec_b32 s1, vcc_lo
	s_cbranch_execz .LBB125_16
; %bb.13:
	v_mov_b32_e32 v0, 0
	ds_load_b64 v[3:4], v0 offset:512
	s_waitcnt lgkmcnt(0)
	v_add_co_u32 v3, vcc_lo, v3, s8
	v_add_co_ci_u32_e32 v4, vcc_lo, s9, v4, vcc_lo
	s_and_saveexec_b32 s3, s0
	s_cbranch_execz .LBB125_15
; %bb.14:
	v_dual_mov_b32 v7, s8 :: v_dual_mov_b32 v8, s9
	ds_store_b64 v0, v[7:8]
.LBB125_15:
	s_or_b32 exec_lo, exec_lo, s3
.LBB125_16:
	s_delay_alu instid0(SALU_CYCLE_1)
	s_or_b32 exec_lo, exec_lo, s1
	v_mov_b32_e32 v0, 0
	s_waitcnt lgkmcnt(0)
	s_barrier
	buffer_gl0_inv
	ds_load_b64 v[7:8], v0
	s_waitcnt lgkmcnt(0)
	v_add_co_u32 v1, vcc_lo, v7, v1
	v_add_co_ci_u32_e32 v2, vcc_lo, v8, v2, vcc_lo
	global_store_b64 v[5:6], v[1:2], off
	s_and_saveexec_b32 s1, s0
	s_cbranch_execz .LBB125_18
; %bb.17:
	s_mov_b32 s3, 0
	s_delay_alu instid0(SALU_CYCLE_1) | instskip(NEXT) | instid1(SALU_CYCLE_1)
	s_lshl_b64 s[0:1], s[2:3], 3
	s_add_u32 s0, s6, s0
	s_addc_u32 s1, s7, s1
	global_store_b64 v0, v[3:4], s[0:1]
.LBB125_18:
	s_nop 0
	s_sendmsg sendmsg(MSG_DEALLOC_VGPRS)
	s_endpgm
	.section	.rodata,"a",@progbits
	.p2align	6, 0x0
	.amdhsa_kernel _Z37exclusive_scan_prefix_callback_kernelILj65ELN6hipcub18BlockScanAlgorithmE1EmEvPT1_S3_S2_
		.amdhsa_group_segment_fixed_size 768
		.amdhsa_private_segment_fixed_size 0
		.amdhsa_kernarg_size 24
		.amdhsa_user_sgpr_count 15
		.amdhsa_user_sgpr_dispatch_ptr 0
		.amdhsa_user_sgpr_queue_ptr 0
		.amdhsa_user_sgpr_kernarg_segment_ptr 1
		.amdhsa_user_sgpr_dispatch_id 0
		.amdhsa_user_sgpr_private_segment_size 0
		.amdhsa_wavefront_size32 1
		.amdhsa_uses_dynamic_stack 0
		.amdhsa_enable_private_segment 0
		.amdhsa_system_sgpr_workgroup_id_x 1
		.amdhsa_system_sgpr_workgroup_id_y 0
		.amdhsa_system_sgpr_workgroup_id_z 0
		.amdhsa_system_sgpr_workgroup_info 0
		.amdhsa_system_vgpr_workitem_id 0
		.amdhsa_next_free_vgpr 22
		.amdhsa_next_free_sgpr 16
		.amdhsa_reserve_vcc 1
		.amdhsa_float_round_mode_32 0
		.amdhsa_float_round_mode_16_64 0
		.amdhsa_float_denorm_mode_32 3
		.amdhsa_float_denorm_mode_16_64 3
		.amdhsa_dx10_clamp 1
		.amdhsa_ieee_mode 1
		.amdhsa_fp16_overflow 0
		.amdhsa_workgroup_processor_mode 1
		.amdhsa_memory_ordered 1
		.amdhsa_forward_progress 0
		.amdhsa_shared_vgpr_count 0
		.amdhsa_exception_fp_ieee_invalid_op 0
		.amdhsa_exception_fp_denorm_src 0
		.amdhsa_exception_fp_ieee_div_zero 0
		.amdhsa_exception_fp_ieee_overflow 0
		.amdhsa_exception_fp_ieee_underflow 0
		.amdhsa_exception_fp_ieee_inexact 0
		.amdhsa_exception_int_div_zero 0
	.end_amdhsa_kernel
	.section	.text._Z37exclusive_scan_prefix_callback_kernelILj65ELN6hipcub18BlockScanAlgorithmE1EmEvPT1_S3_S2_,"axG",@progbits,_Z37exclusive_scan_prefix_callback_kernelILj65ELN6hipcub18BlockScanAlgorithmE1EmEvPT1_S3_S2_,comdat
.Lfunc_end125:
	.size	_Z37exclusive_scan_prefix_callback_kernelILj65ELN6hipcub18BlockScanAlgorithmE1EmEvPT1_S3_S2_, .Lfunc_end125-_Z37exclusive_scan_prefix_callback_kernelILj65ELN6hipcub18BlockScanAlgorithmE1EmEvPT1_S3_S2_
                                        ; -- End function
	.section	.AMDGPU.csdata,"",@progbits
; Kernel info:
; codeLenInByte = 1040
; NumSgprs: 18
; NumVgprs: 22
; ScratchSize: 0
; MemoryBound: 0
; FloatMode: 240
; IeeeMode: 1
; LDSByteSize: 768 bytes/workgroup (compile time only)
; SGPRBlocks: 2
; VGPRBlocks: 2
; NumSGPRsForWavesPerEU: 18
; NumVGPRsForWavesPerEU: 22
; Occupancy: 16
; WaveLimiterHint : 0
; COMPUTE_PGM_RSRC2:SCRATCH_EN: 0
; COMPUTE_PGM_RSRC2:USER_SGPR: 15
; COMPUTE_PGM_RSRC2:TRAP_HANDLER: 0
; COMPUTE_PGM_RSRC2:TGID_X_EN: 1
; COMPUTE_PGM_RSRC2:TGID_Y_EN: 0
; COMPUTE_PGM_RSRC2:TGID_Z_EN: 0
; COMPUTE_PGM_RSRC2:TIDIG_COMP_CNT: 0
	.section	.text._Z37exclusive_scan_prefix_callback_kernelILj512ELN6hipcub18BlockScanAlgorithmE1EiEvPT1_S3_S2_,"axG",@progbits,_Z37exclusive_scan_prefix_callback_kernelILj512ELN6hipcub18BlockScanAlgorithmE1EiEvPT1_S3_S2_,comdat
	.protected	_Z37exclusive_scan_prefix_callback_kernelILj512ELN6hipcub18BlockScanAlgorithmE1EiEvPT1_S3_S2_ ; -- Begin function _Z37exclusive_scan_prefix_callback_kernelILj512ELN6hipcub18BlockScanAlgorithmE1EiEvPT1_S3_S2_
	.globl	_Z37exclusive_scan_prefix_callback_kernelILj512ELN6hipcub18BlockScanAlgorithmE1EiEvPT1_S3_S2_
	.p2align	8
	.type	_Z37exclusive_scan_prefix_callback_kernelILj512ELN6hipcub18BlockScanAlgorithmE1EiEvPT1_S3_S2_,@function
_Z37exclusive_scan_prefix_callback_kernelILj512ELN6hipcub18BlockScanAlgorithmE1EiEvPT1_S3_S2_: ; @_Z37exclusive_scan_prefix_callback_kernelILj512ELN6hipcub18BlockScanAlgorithmE1EiEvPT1_S3_S2_
; %bb.0:
	s_load_b128 s[4:7], s[0:1], 0x0
	s_mov_b32 s8, s15
	v_mov_b32_e32 v3, 0
	v_lshl_or_b32 v2, s8, 9, v0
	v_lshrrev_b32_e32 v5, 5, v0
	s_delay_alu instid0(VALU_DEP_2) | instskip(NEXT) | instid1(VALU_DEP_2)
	v_lshlrev_b64 v[1:2], 2, v[2:3]
	v_add_lshl_u32 v5, v5, v0, 2
	s_waitcnt lgkmcnt(0)
	s_delay_alu instid0(VALU_DEP_2) | instskip(NEXT) | instid1(VALU_DEP_3)
	v_add_co_u32 v1, vcc_lo, s4, v1
	v_add_co_ci_u32_e32 v2, vcc_lo, s5, v2, vcc_lo
	v_cmp_gt_u32_e32 vcc_lo, 32, v0
	global_load_b32 v4, v[1:2], off
	s_waitcnt vmcnt(0)
	ds_store_b32 v5, v4
	s_waitcnt lgkmcnt(0)
	s_barrier
	buffer_gl0_inv
	s_and_saveexec_b32 s3, vcc_lo
	s_cbranch_execz .LBB126_2
; %bb.1:
	v_lshlrev_b32_e32 v5, 1, v0
	v_mbcnt_lo_u32_b32 v23, -1, 0
	s_delay_alu instid0(VALU_DEP_2) | instskip(NEXT) | instid1(VALU_DEP_2)
	v_and_b32_e32 v5, 0x3fc, v5
	v_and_b32_e32 v24, 15, v23
	v_bfe_i32 v26, v23, 4, 1
	s_delay_alu instid0(VALU_DEP_3) | instskip(NEXT) | instid1(VALU_DEP_3)
	v_lshl_or_b32 v21, v0, 6, v5
	v_cmp_ne_u32_e64 s2, 0, v24
	ds_load_2addr_b32 v[5:6], v21 offset1:1
	ds_load_2addr_b32 v[7:8], v21 offset0:2 offset1:3
	ds_load_2addr_b32 v[9:10], v21 offset0:4 offset1:5
	;; [unrolled: 1-line block ×4, first 2 shown]
	s_waitcnt lgkmcnt(4)
	v_add_nc_u32_e32 v15, v6, v5
	s_waitcnt lgkmcnt(3)
	s_delay_alu instid0(VALU_DEP_1)
	v_add3_u32 v17, v15, v7, v8
	ds_load_2addr_b32 v[15:16], v21 offset0:10 offset1:11
	s_waitcnt lgkmcnt(3)
	v_add3_u32 v22, v17, v9, v10
	ds_load_2addr_b32 v[17:18], v21 offset0:12 offset1:13
	ds_load_2addr_b32 v[19:20], v21 offset0:14 offset1:15
	s_waitcnt lgkmcnt(4)
	v_add3_u32 v22, v22, v11, v12
	s_waitcnt lgkmcnt(3)
	s_delay_alu instid0(VALU_DEP_1) | instskip(SKIP_1) | instid1(VALU_DEP_1)
	v_add3_u32 v22, v22, v13, v14
	s_waitcnt lgkmcnt(2)
	v_add3_u32 v22, v22, v15, v16
	s_waitcnt lgkmcnt(1)
	s_delay_alu instid0(VALU_DEP_1) | instskip(SKIP_1) | instid1(VALU_DEP_1)
	v_add3_u32 v22, v22, v17, v18
	s_waitcnt lgkmcnt(0)
	v_add3_u32 v22, v22, v19, v20
	s_delay_alu instid0(VALU_DEP_1) | instskip(NEXT) | instid1(VALU_DEP_1)
	v_mov_b32_dpp v25, v22 row_shr:1 row_mask:0xf bank_mask:0xf
	v_cndmask_b32_e64 v25, 0, v25, s2
	v_cmp_lt_u32_e64 s2, 1, v24
	s_delay_alu instid0(VALU_DEP_2) | instskip(NEXT) | instid1(VALU_DEP_1)
	v_add_nc_u32_e32 v22, v25, v22
	v_mov_b32_dpp v25, v22 row_shr:2 row_mask:0xf bank_mask:0xf
	s_delay_alu instid0(VALU_DEP_1) | instskip(SKIP_1) | instid1(VALU_DEP_2)
	v_cndmask_b32_e64 v25, 0, v25, s2
	v_cmp_lt_u32_e64 s2, 3, v24
	v_add_nc_u32_e32 v22, v22, v25
	s_delay_alu instid0(VALU_DEP_1) | instskip(NEXT) | instid1(VALU_DEP_1)
	v_mov_b32_dpp v25, v22 row_shr:4 row_mask:0xf bank_mask:0xf
	v_cndmask_b32_e64 v25, 0, v25, s2
	v_cmp_lt_u32_e64 s2, 7, v24
	s_delay_alu instid0(VALU_DEP_2) | instskip(NEXT) | instid1(VALU_DEP_1)
	v_add_nc_u32_e32 v22, v22, v25
	v_mov_b32_dpp v25, v22 row_shr:8 row_mask:0xf bank_mask:0xf
	s_delay_alu instid0(VALU_DEP_1) | instskip(SKIP_1) | instid1(VALU_DEP_2)
	v_cndmask_b32_e64 v24, 0, v25, s2
	v_add_nc_u32_e32 v25, -1, v23
	v_add_nc_u32_e32 v22, v22, v24
	s_delay_alu instid0(VALU_DEP_2) | instskip(SKIP_3) | instid1(VALU_DEP_2)
	v_cmp_gt_i32_e64 s2, 0, v25
	ds_swizzle_b32 v24, v22 offset:swizzle(BROADCAST,32,15)
	v_cndmask_b32_e64 v23, v25, v23, s2
	v_cmp_eq_u32_e64 s2, 0, v0
	v_lshlrev_b32_e32 v23, 2, v23
	s_waitcnt lgkmcnt(0)
	v_and_b32_e32 v24, v26, v24
	s_delay_alu instid0(VALU_DEP_1) | instskip(SKIP_3) | instid1(VALU_DEP_1)
	v_add_nc_u32_e32 v22, v22, v24
	ds_bpermute_b32 v22, v23, v22
	s_waitcnt lgkmcnt(0)
	v_add_nc_u32_e32 v5, v22, v5
	v_cndmask_b32_e64 v4, v5, v4, s2
	s_delay_alu instid0(VALU_DEP_1) | instskip(NEXT) | instid1(VALU_DEP_1)
	v_add_nc_u32_e32 v5, v4, v6
	v_add_nc_u32_e32 v6, v5, v7
	s_delay_alu instid0(VALU_DEP_1) | instskip(NEXT) | instid1(VALU_DEP_1)
	v_add_nc_u32_e32 v7, v6, v8
	v_add_nc_u32_e32 v8, v7, v9
	;; [unrolled: 3-line block ×7, first 2 shown]
	s_delay_alu instid0(VALU_DEP_1)
	v_add_nc_u32_e32 v19, v18, v20
	ds_store_2addr_b32 v21, v4, v5 offset1:1
	ds_store_2addr_b32 v21, v6, v7 offset0:2 offset1:3
	ds_store_2addr_b32 v21, v8, v9 offset0:4 offset1:5
	;; [unrolled: 1-line block ×7, first 2 shown]
.LBB126_2:
	s_or_b32 exec_lo, exec_lo, s3
	v_cmp_eq_u32_e64 s2, 0, v0
	s_mov_b32 s4, exec_lo
	s_waitcnt lgkmcnt(0)
	s_barrier
	buffer_gl0_inv
	v_cmpx_ne_u32_e32 0, v0
	s_cbranch_execz .LBB126_4
; %bb.3:
	v_add_nc_u32_e32 v0, -1, v0
	s_delay_alu instid0(VALU_DEP_1) | instskip(NEXT) | instid1(VALU_DEP_1)
	v_lshrrev_b32_e32 v3, 5, v0
	v_add_lshl_u32 v0, v3, v0, 2
	ds_load_b32 v3, v0
.LBB126_4:
	s_or_b32 exec_lo, exec_lo, s4
	s_load_b32 s1, s[0:1], 0x10
	s_waitcnt lgkmcnt(0)
	v_mov_b32_e32 v0, s1
	s_and_saveexec_b32 s0, vcc_lo
	s_cbranch_execz .LBB126_8
; %bb.5:
	v_mov_b32_e32 v4, 0
	ds_load_b32 v0, v4 offset:2104
	s_and_saveexec_b32 s3, s2
	s_cbranch_execz .LBB126_7
; %bb.6:
	v_mov_b32_e32 v5, s1
	ds_store_b32 v4, v5
.LBB126_7:
	s_or_b32 exec_lo, exec_lo, s3
	s_waitcnt lgkmcnt(0)
	v_add_nc_u32_e32 v0, s1, v0
.LBB126_8:
	s_or_b32 exec_lo, exec_lo, s0
	v_mov_b32_e32 v4, 0
	s_barrier
	buffer_gl0_inv
	ds_load_b32 v5, v4
	s_waitcnt lgkmcnt(0)
	v_add_nc_u32_e32 v3, v5, v3
	global_store_b32 v[1:2], v3, off
	s_and_saveexec_b32 s0, s2
	s_cbranch_execz .LBB126_10
; %bb.9:
	s_mov_b32 s9, 0
	s_delay_alu instid0(SALU_CYCLE_1) | instskip(NEXT) | instid1(SALU_CYCLE_1)
	s_lshl_b64 s[0:1], s[8:9], 2
	s_add_u32 s0, s6, s0
	s_addc_u32 s1, s7, s1
	global_store_b32 v4, v0, s[0:1]
.LBB126_10:
	s_nop 0
	s_sendmsg sendmsg(MSG_DEALLOC_VGPRS)
	s_endpgm
	.section	.rodata,"a",@progbits
	.p2align	6, 0x0
	.amdhsa_kernel _Z37exclusive_scan_prefix_callback_kernelILj512ELN6hipcub18BlockScanAlgorithmE1EiEvPT1_S3_S2_
		.amdhsa_group_segment_fixed_size 2112
		.amdhsa_private_segment_fixed_size 0
		.amdhsa_kernarg_size 20
		.amdhsa_user_sgpr_count 15
		.amdhsa_user_sgpr_dispatch_ptr 0
		.amdhsa_user_sgpr_queue_ptr 0
		.amdhsa_user_sgpr_kernarg_segment_ptr 1
		.amdhsa_user_sgpr_dispatch_id 0
		.amdhsa_user_sgpr_private_segment_size 0
		.amdhsa_wavefront_size32 1
		.amdhsa_uses_dynamic_stack 0
		.amdhsa_enable_private_segment 0
		.amdhsa_system_sgpr_workgroup_id_x 1
		.amdhsa_system_sgpr_workgroup_id_y 0
		.amdhsa_system_sgpr_workgroup_id_z 0
		.amdhsa_system_sgpr_workgroup_info 0
		.amdhsa_system_vgpr_workitem_id 0
		.amdhsa_next_free_vgpr 27
		.amdhsa_next_free_sgpr 16
		.amdhsa_reserve_vcc 1
		.amdhsa_float_round_mode_32 0
		.amdhsa_float_round_mode_16_64 0
		.amdhsa_float_denorm_mode_32 3
		.amdhsa_float_denorm_mode_16_64 3
		.amdhsa_dx10_clamp 1
		.amdhsa_ieee_mode 1
		.amdhsa_fp16_overflow 0
		.amdhsa_workgroup_processor_mode 1
		.amdhsa_memory_ordered 1
		.amdhsa_forward_progress 0
		.amdhsa_shared_vgpr_count 0
		.amdhsa_exception_fp_ieee_invalid_op 0
		.amdhsa_exception_fp_denorm_src 0
		.amdhsa_exception_fp_ieee_div_zero 0
		.amdhsa_exception_fp_ieee_overflow 0
		.amdhsa_exception_fp_ieee_underflow 0
		.amdhsa_exception_fp_ieee_inexact 0
		.amdhsa_exception_int_div_zero 0
	.end_amdhsa_kernel
	.section	.text._Z37exclusive_scan_prefix_callback_kernelILj512ELN6hipcub18BlockScanAlgorithmE1EiEvPT1_S3_S2_,"axG",@progbits,_Z37exclusive_scan_prefix_callback_kernelILj512ELN6hipcub18BlockScanAlgorithmE1EiEvPT1_S3_S2_,comdat
.Lfunc_end126:
	.size	_Z37exclusive_scan_prefix_callback_kernelILj512ELN6hipcub18BlockScanAlgorithmE1EiEvPT1_S3_S2_, .Lfunc_end126-_Z37exclusive_scan_prefix_callback_kernelILj512ELN6hipcub18BlockScanAlgorithmE1EiEvPT1_S3_S2_
                                        ; -- End function
	.section	.AMDGPU.csdata,"",@progbits
; Kernel info:
; codeLenInByte = 940
; NumSgprs: 18
; NumVgprs: 27
; ScratchSize: 0
; MemoryBound: 0
; FloatMode: 240
; IeeeMode: 1
; LDSByteSize: 2112 bytes/workgroup (compile time only)
; SGPRBlocks: 2
; VGPRBlocks: 3
; NumSGPRsForWavesPerEU: 18
; NumVGPRsForWavesPerEU: 27
; Occupancy: 16
; WaveLimiterHint : 0
; COMPUTE_PGM_RSRC2:SCRATCH_EN: 0
; COMPUTE_PGM_RSRC2:USER_SGPR: 15
; COMPUTE_PGM_RSRC2:TRAP_HANDLER: 0
; COMPUTE_PGM_RSRC2:TGID_X_EN: 1
; COMPUTE_PGM_RSRC2:TGID_Y_EN: 0
; COMPUTE_PGM_RSRC2:TGID_Z_EN: 0
; COMPUTE_PGM_RSRC2:TIDIG_COMP_CNT: 0
	.section	.text._Z37exclusive_scan_prefix_callback_kernelILj256ELN6hipcub18BlockScanAlgorithmE1EiEvPT1_S3_S2_,"axG",@progbits,_Z37exclusive_scan_prefix_callback_kernelILj256ELN6hipcub18BlockScanAlgorithmE1EiEvPT1_S3_S2_,comdat
	.protected	_Z37exclusive_scan_prefix_callback_kernelILj256ELN6hipcub18BlockScanAlgorithmE1EiEvPT1_S3_S2_ ; -- Begin function _Z37exclusive_scan_prefix_callback_kernelILj256ELN6hipcub18BlockScanAlgorithmE1EiEvPT1_S3_S2_
	.globl	_Z37exclusive_scan_prefix_callback_kernelILj256ELN6hipcub18BlockScanAlgorithmE1EiEvPT1_S3_S2_
	.p2align	8
	.type	_Z37exclusive_scan_prefix_callback_kernelILj256ELN6hipcub18BlockScanAlgorithmE1EiEvPT1_S3_S2_,@function
_Z37exclusive_scan_prefix_callback_kernelILj256ELN6hipcub18BlockScanAlgorithmE1EiEvPT1_S3_S2_: ; @_Z37exclusive_scan_prefix_callback_kernelILj256ELN6hipcub18BlockScanAlgorithmE1EiEvPT1_S3_S2_
; %bb.0:
	s_load_b128 s[4:7], s[0:1], 0x0
	s_mov_b32 s8, s15
	v_mov_b32_e32 v3, 0
	v_lshl_or_b32 v2, s8, 8, v0
	v_lshrrev_b32_e32 v5, 5, v0
	s_delay_alu instid0(VALU_DEP_2) | instskip(NEXT) | instid1(VALU_DEP_2)
	v_lshlrev_b64 v[1:2], 2, v[2:3]
	v_add_lshl_u32 v5, v5, v0, 2
	s_waitcnt lgkmcnt(0)
	s_delay_alu instid0(VALU_DEP_2) | instskip(NEXT) | instid1(VALU_DEP_3)
	v_add_co_u32 v1, vcc_lo, s4, v1
	v_add_co_ci_u32_e32 v2, vcc_lo, s5, v2, vcc_lo
	v_cmp_gt_u32_e32 vcc_lo, 32, v0
	global_load_b32 v4, v[1:2], off
	s_waitcnt vmcnt(0)
	ds_store_b32 v5, v4
	s_waitcnt lgkmcnt(0)
	s_barrier
	buffer_gl0_inv
	s_and_saveexec_b32 s3, vcc_lo
	s_cbranch_execz .LBB127_2
; %bb.1:
	v_and_b32_e32 v5, 0xfc, v0
	v_mbcnt_lo_u32_b32 v15, -1, 0
	s_delay_alu instid0(VALU_DEP_2) | instskip(NEXT) | instid1(VALU_DEP_2)
	v_lshl_or_b32 v13, v0, 5, v5
	v_and_b32_e32 v16, 15, v15
	v_add_nc_u32_e32 v18, -1, v15
	ds_load_2addr_b32 v[5:6], v13 offset1:1
	ds_load_2addr_b32 v[7:8], v13 offset0:2 offset1:3
	ds_load_2addr_b32 v[9:10], v13 offset0:4 offset1:5
	ds_load_2addr_b32 v[11:12], v13 offset0:6 offset1:7
	v_cmp_ne_u32_e64 s2, 0, v16
	s_waitcnt lgkmcnt(3)
	v_add_nc_u32_e32 v14, v6, v5
	s_waitcnt lgkmcnt(2)
	s_delay_alu instid0(VALU_DEP_1) | instskip(SKIP_1) | instid1(VALU_DEP_1)
	v_add3_u32 v14, v14, v7, v8
	s_waitcnt lgkmcnt(1)
	v_add3_u32 v14, v14, v9, v10
	s_waitcnt lgkmcnt(0)
	s_delay_alu instid0(VALU_DEP_1) | instskip(NEXT) | instid1(VALU_DEP_1)
	v_add3_u32 v14, v14, v11, v12
	v_mov_b32_dpp v17, v14 row_shr:1 row_mask:0xf bank_mask:0xf
	s_delay_alu instid0(VALU_DEP_1) | instskip(SKIP_1) | instid1(VALU_DEP_2)
	v_cndmask_b32_e64 v17, 0, v17, s2
	v_cmp_lt_u32_e64 s2, 1, v16
	v_add_nc_u32_e32 v14, v17, v14
	s_delay_alu instid0(VALU_DEP_1) | instskip(NEXT) | instid1(VALU_DEP_1)
	v_mov_b32_dpp v17, v14 row_shr:2 row_mask:0xf bank_mask:0xf
	v_cndmask_b32_e64 v17, 0, v17, s2
	v_cmp_lt_u32_e64 s2, 3, v16
	s_delay_alu instid0(VALU_DEP_2) | instskip(NEXT) | instid1(VALU_DEP_1)
	v_add_nc_u32_e32 v14, v14, v17
	v_mov_b32_dpp v17, v14 row_shr:4 row_mask:0xf bank_mask:0xf
	s_delay_alu instid0(VALU_DEP_1) | instskip(SKIP_1) | instid1(VALU_DEP_2)
	v_cndmask_b32_e64 v17, 0, v17, s2
	v_cmp_lt_u32_e64 s2, 7, v16
	v_add_nc_u32_e32 v14, v14, v17
	s_delay_alu instid0(VALU_DEP_1) | instskip(NEXT) | instid1(VALU_DEP_1)
	v_mov_b32_dpp v17, v14 row_shr:8 row_mask:0xf bank_mask:0xf
	v_cndmask_b32_e64 v16, 0, v17, s2
	v_bfe_i32 v17, v15, 4, 1
	v_cmp_gt_i32_e64 s2, 0, v18
	s_delay_alu instid0(VALU_DEP_3) | instskip(NEXT) | instid1(VALU_DEP_2)
	v_add_nc_u32_e32 v14, v14, v16
	v_cndmask_b32_e64 v15, v18, v15, s2
	v_cmp_eq_u32_e64 s2, 0, v0
	ds_swizzle_b32 v16, v14 offset:swizzle(BROADCAST,32,15)
	v_lshlrev_b32_e32 v15, 2, v15
	s_waitcnt lgkmcnt(0)
	v_and_b32_e32 v16, v17, v16
	s_delay_alu instid0(VALU_DEP_1) | instskip(SKIP_3) | instid1(VALU_DEP_1)
	v_add_nc_u32_e32 v14, v14, v16
	ds_bpermute_b32 v14, v15, v14
	s_waitcnt lgkmcnt(0)
	v_add_nc_u32_e32 v5, v14, v5
	v_cndmask_b32_e64 v4, v5, v4, s2
	s_delay_alu instid0(VALU_DEP_1) | instskip(NEXT) | instid1(VALU_DEP_1)
	v_add_nc_u32_e32 v5, v4, v6
	v_add_nc_u32_e32 v6, v5, v7
	s_delay_alu instid0(VALU_DEP_1) | instskip(NEXT) | instid1(VALU_DEP_1)
	v_add_nc_u32_e32 v7, v6, v8
	v_add_nc_u32_e32 v8, v7, v9
	;; [unrolled: 3-line block ×3, first 2 shown]
	s_delay_alu instid0(VALU_DEP_1)
	v_add_nc_u32_e32 v11, v10, v12
	ds_store_2addr_b32 v13, v4, v5 offset1:1
	ds_store_2addr_b32 v13, v6, v7 offset0:2 offset1:3
	ds_store_2addr_b32 v13, v8, v9 offset0:4 offset1:5
	;; [unrolled: 1-line block ×3, first 2 shown]
.LBB127_2:
	s_or_b32 exec_lo, exec_lo, s3
	v_cmp_eq_u32_e64 s2, 0, v0
	s_mov_b32 s4, exec_lo
	s_waitcnt lgkmcnt(0)
	s_barrier
	buffer_gl0_inv
	v_cmpx_ne_u32_e32 0, v0
	s_cbranch_execz .LBB127_4
; %bb.3:
	v_add_nc_u32_e32 v0, -1, v0
	s_delay_alu instid0(VALU_DEP_1) | instskip(NEXT) | instid1(VALU_DEP_1)
	v_lshrrev_b32_e32 v3, 5, v0
	v_add_lshl_u32 v0, v3, v0, 2
	ds_load_b32 v3, v0
.LBB127_4:
	s_or_b32 exec_lo, exec_lo, s4
	s_load_b32 s1, s[0:1], 0x10
	s_waitcnt lgkmcnt(0)
	v_mov_b32_e32 v0, s1
	s_and_saveexec_b32 s0, vcc_lo
	s_cbranch_execz .LBB127_8
; %bb.5:
	v_mov_b32_e32 v4, 0
	ds_load_b32 v0, v4 offset:1048
	s_and_saveexec_b32 s3, s2
	s_cbranch_execz .LBB127_7
; %bb.6:
	v_mov_b32_e32 v5, s1
	ds_store_b32 v4, v5
.LBB127_7:
	s_or_b32 exec_lo, exec_lo, s3
	s_waitcnt lgkmcnt(0)
	v_add_nc_u32_e32 v0, s1, v0
.LBB127_8:
	s_or_b32 exec_lo, exec_lo, s0
	v_mov_b32_e32 v4, 0
	s_barrier
	buffer_gl0_inv
	ds_load_b32 v5, v4
	s_waitcnt lgkmcnt(0)
	v_add_nc_u32_e32 v3, v5, v3
	global_store_b32 v[1:2], v3, off
	s_and_saveexec_b32 s0, s2
	s_cbranch_execz .LBB127_10
; %bb.9:
	s_mov_b32 s9, 0
	s_delay_alu instid0(SALU_CYCLE_1) | instskip(NEXT) | instid1(SALU_CYCLE_1)
	s_lshl_b64 s[0:1], s[8:9], 2
	s_add_u32 s0, s6, s0
	s_addc_u32 s1, s7, s1
	global_store_b32 v4, v0, s[0:1]
.LBB127_10:
	s_nop 0
	s_sendmsg sendmsg(MSG_DEALLOC_VGPRS)
	s_endpgm
	.section	.rodata,"a",@progbits
	.p2align	6, 0x0
	.amdhsa_kernel _Z37exclusive_scan_prefix_callback_kernelILj256ELN6hipcub18BlockScanAlgorithmE1EiEvPT1_S3_S2_
		.amdhsa_group_segment_fixed_size 1056
		.amdhsa_private_segment_fixed_size 0
		.amdhsa_kernarg_size 20
		.amdhsa_user_sgpr_count 15
		.amdhsa_user_sgpr_dispatch_ptr 0
		.amdhsa_user_sgpr_queue_ptr 0
		.amdhsa_user_sgpr_kernarg_segment_ptr 1
		.amdhsa_user_sgpr_dispatch_id 0
		.amdhsa_user_sgpr_private_segment_size 0
		.amdhsa_wavefront_size32 1
		.amdhsa_uses_dynamic_stack 0
		.amdhsa_enable_private_segment 0
		.amdhsa_system_sgpr_workgroup_id_x 1
		.amdhsa_system_sgpr_workgroup_id_y 0
		.amdhsa_system_sgpr_workgroup_id_z 0
		.amdhsa_system_sgpr_workgroup_info 0
		.amdhsa_system_vgpr_workitem_id 0
		.amdhsa_next_free_vgpr 19
		.amdhsa_next_free_sgpr 16
		.amdhsa_reserve_vcc 1
		.amdhsa_float_round_mode_32 0
		.amdhsa_float_round_mode_16_64 0
		.amdhsa_float_denorm_mode_32 3
		.amdhsa_float_denorm_mode_16_64 3
		.amdhsa_dx10_clamp 1
		.amdhsa_ieee_mode 1
		.amdhsa_fp16_overflow 0
		.amdhsa_workgroup_processor_mode 1
		.amdhsa_memory_ordered 1
		.amdhsa_forward_progress 0
		.amdhsa_shared_vgpr_count 0
		.amdhsa_exception_fp_ieee_invalid_op 0
		.amdhsa_exception_fp_denorm_src 0
		.amdhsa_exception_fp_ieee_div_zero 0
		.amdhsa_exception_fp_ieee_overflow 0
		.amdhsa_exception_fp_ieee_underflow 0
		.amdhsa_exception_fp_ieee_inexact 0
		.amdhsa_exception_int_div_zero 0
	.end_amdhsa_kernel
	.section	.text._Z37exclusive_scan_prefix_callback_kernelILj256ELN6hipcub18BlockScanAlgorithmE1EiEvPT1_S3_S2_,"axG",@progbits,_Z37exclusive_scan_prefix_callback_kernelILj256ELN6hipcub18BlockScanAlgorithmE1EiEvPT1_S3_S2_,comdat
.Lfunc_end127:
	.size	_Z37exclusive_scan_prefix_callback_kernelILj256ELN6hipcub18BlockScanAlgorithmE1EiEvPT1_S3_S2_, .Lfunc_end127-_Z37exclusive_scan_prefix_callback_kernelILj256ELN6hipcub18BlockScanAlgorithmE1EiEvPT1_S3_S2_
                                        ; -- End function
	.section	.AMDGPU.csdata,"",@progbits
; Kernel info:
; codeLenInByte = 764
; NumSgprs: 18
; NumVgprs: 19
; ScratchSize: 0
; MemoryBound: 0
; FloatMode: 240
; IeeeMode: 1
; LDSByteSize: 1056 bytes/workgroup (compile time only)
; SGPRBlocks: 2
; VGPRBlocks: 2
; NumSGPRsForWavesPerEU: 18
; NumVGPRsForWavesPerEU: 19
; Occupancy: 16
; WaveLimiterHint : 0
; COMPUTE_PGM_RSRC2:SCRATCH_EN: 0
; COMPUTE_PGM_RSRC2:USER_SGPR: 15
; COMPUTE_PGM_RSRC2:TRAP_HANDLER: 0
; COMPUTE_PGM_RSRC2:TGID_X_EN: 1
; COMPUTE_PGM_RSRC2:TGID_Y_EN: 0
; COMPUTE_PGM_RSRC2:TGID_Z_EN: 0
; COMPUTE_PGM_RSRC2:TIDIG_COMP_CNT: 0
	.section	.text._Z37exclusive_scan_prefix_callback_kernelILj128ELN6hipcub18BlockScanAlgorithmE1EiEvPT1_S3_S2_,"axG",@progbits,_Z37exclusive_scan_prefix_callback_kernelILj128ELN6hipcub18BlockScanAlgorithmE1EiEvPT1_S3_S2_,comdat
	.protected	_Z37exclusive_scan_prefix_callback_kernelILj128ELN6hipcub18BlockScanAlgorithmE1EiEvPT1_S3_S2_ ; -- Begin function _Z37exclusive_scan_prefix_callback_kernelILj128ELN6hipcub18BlockScanAlgorithmE1EiEvPT1_S3_S2_
	.globl	_Z37exclusive_scan_prefix_callback_kernelILj128ELN6hipcub18BlockScanAlgorithmE1EiEvPT1_S3_S2_
	.p2align	8
	.type	_Z37exclusive_scan_prefix_callback_kernelILj128ELN6hipcub18BlockScanAlgorithmE1EiEvPT1_S3_S2_,@function
_Z37exclusive_scan_prefix_callback_kernelILj128ELN6hipcub18BlockScanAlgorithmE1EiEvPT1_S3_S2_: ; @_Z37exclusive_scan_prefix_callback_kernelILj128ELN6hipcub18BlockScanAlgorithmE1EiEvPT1_S3_S2_
; %bb.0:
	s_load_b128 s[4:7], s[0:1], 0x0
	s_mov_b32 s8, s15
	v_mov_b32_e32 v3, 0
	v_lshl_or_b32 v2, s8, 7, v0
	v_lshrrev_b32_e32 v5, 5, v0
	s_delay_alu instid0(VALU_DEP_2) | instskip(NEXT) | instid1(VALU_DEP_2)
	v_lshlrev_b64 v[1:2], 2, v[2:3]
	v_add_lshl_u32 v5, v5, v0, 2
	s_waitcnt lgkmcnt(0)
	s_delay_alu instid0(VALU_DEP_2) | instskip(NEXT) | instid1(VALU_DEP_3)
	v_add_co_u32 v1, vcc_lo, s4, v1
	v_add_co_ci_u32_e32 v2, vcc_lo, s5, v2, vcc_lo
	v_cmp_gt_u32_e32 vcc_lo, 32, v0
	global_load_b32 v4, v[1:2], off
	s_waitcnt vmcnt(0)
	ds_store_b32 v5, v4
	s_waitcnt lgkmcnt(0)
	s_barrier
	buffer_gl0_inv
	s_and_saveexec_b32 s3, vcc_lo
	s_cbranch_execz .LBB128_2
; %bb.1:
	v_lshrrev_b32_e32 v5, 1, v0
	v_mbcnt_lo_u32_b32 v11, -1, 0
	s_delay_alu instid0(VALU_DEP_2) | instskip(NEXT) | instid1(VALU_DEP_2)
	v_and_b32_e32 v5, 60, v5
	v_and_b32_e32 v12, 15, v11
	v_add_nc_u32_e32 v14, -1, v11
	s_delay_alu instid0(VALU_DEP_3) | instskip(NEXT) | instid1(VALU_DEP_3)
	v_lshl_or_b32 v9, v0, 4, v5
	v_cmp_ne_u32_e64 s2, 0, v12
	ds_load_2addr_b32 v[5:6], v9 offset1:1
	ds_load_2addr_b32 v[7:8], v9 offset0:2 offset1:3
	s_waitcnt lgkmcnt(1)
	v_add_nc_u32_e32 v10, v6, v5
	s_waitcnt lgkmcnt(0)
	s_delay_alu instid0(VALU_DEP_1) | instskip(NEXT) | instid1(VALU_DEP_1)
	v_add3_u32 v10, v10, v7, v8
	v_mov_b32_dpp v13, v10 row_shr:1 row_mask:0xf bank_mask:0xf
	s_delay_alu instid0(VALU_DEP_1) | instskip(SKIP_1) | instid1(VALU_DEP_2)
	v_cndmask_b32_e64 v13, 0, v13, s2
	v_cmp_lt_u32_e64 s2, 1, v12
	v_add_nc_u32_e32 v10, v13, v10
	s_delay_alu instid0(VALU_DEP_1) | instskip(NEXT) | instid1(VALU_DEP_1)
	v_mov_b32_dpp v13, v10 row_shr:2 row_mask:0xf bank_mask:0xf
	v_cndmask_b32_e64 v13, 0, v13, s2
	v_cmp_lt_u32_e64 s2, 3, v12
	s_delay_alu instid0(VALU_DEP_2) | instskip(NEXT) | instid1(VALU_DEP_1)
	v_add_nc_u32_e32 v10, v10, v13
	v_mov_b32_dpp v13, v10 row_shr:4 row_mask:0xf bank_mask:0xf
	s_delay_alu instid0(VALU_DEP_1) | instskip(SKIP_1) | instid1(VALU_DEP_2)
	v_cndmask_b32_e64 v13, 0, v13, s2
	v_cmp_lt_u32_e64 s2, 7, v12
	v_add_nc_u32_e32 v10, v10, v13
	s_delay_alu instid0(VALU_DEP_1) | instskip(NEXT) | instid1(VALU_DEP_1)
	v_mov_b32_dpp v13, v10 row_shr:8 row_mask:0xf bank_mask:0xf
	v_cndmask_b32_e64 v12, 0, v13, s2
	v_bfe_i32 v13, v11, 4, 1
	v_cmp_gt_i32_e64 s2, 0, v14
	s_delay_alu instid0(VALU_DEP_3) | instskip(NEXT) | instid1(VALU_DEP_2)
	v_add_nc_u32_e32 v10, v10, v12
	v_cndmask_b32_e64 v11, v14, v11, s2
	v_cmp_eq_u32_e64 s2, 0, v0
	ds_swizzle_b32 v12, v10 offset:swizzle(BROADCAST,32,15)
	v_lshlrev_b32_e32 v11, 2, v11
	s_waitcnt lgkmcnt(0)
	v_and_b32_e32 v12, v13, v12
	s_delay_alu instid0(VALU_DEP_1) | instskip(SKIP_3) | instid1(VALU_DEP_1)
	v_add_nc_u32_e32 v10, v10, v12
	ds_bpermute_b32 v10, v11, v10
	s_waitcnt lgkmcnt(0)
	v_add_nc_u32_e32 v5, v10, v5
	v_cndmask_b32_e64 v4, v5, v4, s2
	s_delay_alu instid0(VALU_DEP_1) | instskip(NEXT) | instid1(VALU_DEP_1)
	v_add_nc_u32_e32 v5, v4, v6
	v_add_nc_u32_e32 v6, v5, v7
	s_delay_alu instid0(VALU_DEP_1)
	v_add_nc_u32_e32 v7, v6, v8
	ds_store_2addr_b32 v9, v4, v5 offset1:1
	ds_store_2addr_b32 v9, v6, v7 offset0:2 offset1:3
.LBB128_2:
	s_or_b32 exec_lo, exec_lo, s3
	v_cmp_eq_u32_e64 s2, 0, v0
	s_mov_b32 s4, exec_lo
	s_waitcnt lgkmcnt(0)
	s_barrier
	buffer_gl0_inv
	v_cmpx_ne_u32_e32 0, v0
	s_cbranch_execz .LBB128_4
; %bb.3:
	v_add_nc_u32_e32 v0, -1, v0
	s_delay_alu instid0(VALU_DEP_1) | instskip(NEXT) | instid1(VALU_DEP_1)
	v_lshrrev_b32_e32 v3, 5, v0
	v_add_lshl_u32 v0, v3, v0, 2
	ds_load_b32 v3, v0
.LBB128_4:
	s_or_b32 exec_lo, exec_lo, s4
	s_load_b32 s1, s[0:1], 0x10
	s_waitcnt lgkmcnt(0)
	v_mov_b32_e32 v0, s1
	s_and_saveexec_b32 s0, vcc_lo
	s_cbranch_execz .LBB128_8
; %bb.5:
	v_mov_b32_e32 v4, 0
	ds_load_b32 v0, v4 offset:520
	s_and_saveexec_b32 s3, s2
	s_cbranch_execz .LBB128_7
; %bb.6:
	v_mov_b32_e32 v5, s1
	ds_store_b32 v4, v5
.LBB128_7:
	s_or_b32 exec_lo, exec_lo, s3
	s_waitcnt lgkmcnt(0)
	v_add_nc_u32_e32 v0, s1, v0
.LBB128_8:
	s_or_b32 exec_lo, exec_lo, s0
	v_mov_b32_e32 v4, 0
	s_barrier
	buffer_gl0_inv
	ds_load_b32 v5, v4
	s_waitcnt lgkmcnt(0)
	v_add_nc_u32_e32 v3, v5, v3
	global_store_b32 v[1:2], v3, off
	s_and_saveexec_b32 s0, s2
	s_cbranch_execz .LBB128_10
; %bb.9:
	s_mov_b32 s9, 0
	s_delay_alu instid0(SALU_CYCLE_1) | instskip(NEXT) | instid1(SALU_CYCLE_1)
	s_lshl_b64 s[0:1], s[8:9], 2
	s_add_u32 s0, s6, s0
	s_addc_u32 s1, s7, s1
	global_store_b32 v4, v0, s[0:1]
.LBB128_10:
	s_nop 0
	s_sendmsg sendmsg(MSG_DEALLOC_VGPRS)
	s_endpgm
	.section	.rodata,"a",@progbits
	.p2align	6, 0x0
	.amdhsa_kernel _Z37exclusive_scan_prefix_callback_kernelILj128ELN6hipcub18BlockScanAlgorithmE1EiEvPT1_S3_S2_
		.amdhsa_group_segment_fixed_size 528
		.amdhsa_private_segment_fixed_size 0
		.amdhsa_kernarg_size 20
		.amdhsa_user_sgpr_count 15
		.amdhsa_user_sgpr_dispatch_ptr 0
		.amdhsa_user_sgpr_queue_ptr 0
		.amdhsa_user_sgpr_kernarg_segment_ptr 1
		.amdhsa_user_sgpr_dispatch_id 0
		.amdhsa_user_sgpr_private_segment_size 0
		.amdhsa_wavefront_size32 1
		.amdhsa_uses_dynamic_stack 0
		.amdhsa_enable_private_segment 0
		.amdhsa_system_sgpr_workgroup_id_x 1
		.amdhsa_system_sgpr_workgroup_id_y 0
		.amdhsa_system_sgpr_workgroup_id_z 0
		.amdhsa_system_sgpr_workgroup_info 0
		.amdhsa_system_vgpr_workitem_id 0
		.amdhsa_next_free_vgpr 15
		.amdhsa_next_free_sgpr 16
		.amdhsa_reserve_vcc 1
		.amdhsa_float_round_mode_32 0
		.amdhsa_float_round_mode_16_64 0
		.amdhsa_float_denorm_mode_32 3
		.amdhsa_float_denorm_mode_16_64 3
		.amdhsa_dx10_clamp 1
		.amdhsa_ieee_mode 1
		.amdhsa_fp16_overflow 0
		.amdhsa_workgroup_processor_mode 1
		.amdhsa_memory_ordered 1
		.amdhsa_forward_progress 0
		.amdhsa_shared_vgpr_count 0
		.amdhsa_exception_fp_ieee_invalid_op 0
		.amdhsa_exception_fp_denorm_src 0
		.amdhsa_exception_fp_ieee_div_zero 0
		.amdhsa_exception_fp_ieee_overflow 0
		.amdhsa_exception_fp_ieee_underflow 0
		.amdhsa_exception_fp_ieee_inexact 0
		.amdhsa_exception_int_div_zero 0
	.end_amdhsa_kernel
	.section	.text._Z37exclusive_scan_prefix_callback_kernelILj128ELN6hipcub18BlockScanAlgorithmE1EiEvPT1_S3_S2_,"axG",@progbits,_Z37exclusive_scan_prefix_callback_kernelILj128ELN6hipcub18BlockScanAlgorithmE1EiEvPT1_S3_S2_,comdat
.Lfunc_end128:
	.size	_Z37exclusive_scan_prefix_callback_kernelILj128ELN6hipcub18BlockScanAlgorithmE1EiEvPT1_S3_S2_, .Lfunc_end128-_Z37exclusive_scan_prefix_callback_kernelILj128ELN6hipcub18BlockScanAlgorithmE1EiEvPT1_S3_S2_
                                        ; -- End function
	.section	.AMDGPU.csdata,"",@progbits
; Kernel info:
; codeLenInByte = 684
; NumSgprs: 18
; NumVgprs: 15
; ScratchSize: 0
; MemoryBound: 0
; FloatMode: 240
; IeeeMode: 1
; LDSByteSize: 528 bytes/workgroup (compile time only)
; SGPRBlocks: 2
; VGPRBlocks: 1
; NumSGPRsForWavesPerEU: 18
; NumVGPRsForWavesPerEU: 15
; Occupancy: 16
; WaveLimiterHint : 0
; COMPUTE_PGM_RSRC2:SCRATCH_EN: 0
; COMPUTE_PGM_RSRC2:USER_SGPR: 15
; COMPUTE_PGM_RSRC2:TRAP_HANDLER: 0
; COMPUTE_PGM_RSRC2:TGID_X_EN: 1
; COMPUTE_PGM_RSRC2:TGID_Y_EN: 0
; COMPUTE_PGM_RSRC2:TGID_Z_EN: 0
; COMPUTE_PGM_RSRC2:TIDIG_COMP_CNT: 0
	.section	.text._Z37exclusive_scan_prefix_callback_kernelILj64ELN6hipcub18BlockScanAlgorithmE1EiEvPT1_S3_S2_,"axG",@progbits,_Z37exclusive_scan_prefix_callback_kernelILj64ELN6hipcub18BlockScanAlgorithmE1EiEvPT1_S3_S2_,comdat
	.protected	_Z37exclusive_scan_prefix_callback_kernelILj64ELN6hipcub18BlockScanAlgorithmE1EiEvPT1_S3_S2_ ; -- Begin function _Z37exclusive_scan_prefix_callback_kernelILj64ELN6hipcub18BlockScanAlgorithmE1EiEvPT1_S3_S2_
	.globl	_Z37exclusive_scan_prefix_callback_kernelILj64ELN6hipcub18BlockScanAlgorithmE1EiEvPT1_S3_S2_
	.p2align	8
	.type	_Z37exclusive_scan_prefix_callback_kernelILj64ELN6hipcub18BlockScanAlgorithmE1EiEvPT1_S3_S2_,@function
_Z37exclusive_scan_prefix_callback_kernelILj64ELN6hipcub18BlockScanAlgorithmE1EiEvPT1_S3_S2_: ; @_Z37exclusive_scan_prefix_callback_kernelILj64ELN6hipcub18BlockScanAlgorithmE1EiEvPT1_S3_S2_
; %bb.0:
	s_load_b128 s[4:7], s[0:1], 0x0
	s_mov_b32 s8, s15
	v_mov_b32_e32 v3, 0
	v_lshl_or_b32 v2, s8, 6, v0
	v_lshrrev_b32_e32 v5, 5, v0
	s_delay_alu instid0(VALU_DEP_2) | instskip(NEXT) | instid1(VALU_DEP_2)
	v_lshlrev_b64 v[1:2], 2, v[2:3]
	v_add_lshl_u32 v5, v5, v0, 2
	s_waitcnt lgkmcnt(0)
	s_delay_alu instid0(VALU_DEP_2) | instskip(NEXT) | instid1(VALU_DEP_3)
	v_add_co_u32 v1, vcc_lo, s4, v1
	v_add_co_ci_u32_e32 v2, vcc_lo, s5, v2, vcc_lo
	v_cmp_gt_u32_e32 vcc_lo, 32, v0
	global_load_b32 v4, v[1:2], off
	s_waitcnt vmcnt(0)
	ds_store_b32 v5, v4
	s_waitcnt lgkmcnt(0)
	s_barrier
	buffer_gl0_inv
	s_and_saveexec_b32 s3, vcc_lo
	s_cbranch_execz .LBB129_2
; %bb.1:
	v_lshrrev_b32_e32 v5, 2, v0
	v_mbcnt_lo_u32_b32 v8, -1, 0
	s_delay_alu instid0(VALU_DEP_2) | instskip(NEXT) | instid1(VALU_DEP_2)
	v_and_b32_e32 v5, 12, v5
	v_and_b32_e32 v10, 15, v8
	v_add_nc_u32_e32 v12, -1, v8
	s_delay_alu instid0(VALU_DEP_3) | instskip(NEXT) | instid1(VALU_DEP_3)
	v_lshl_or_b32 v7, v0, 3, v5
	v_cmp_ne_u32_e64 s2, 0, v10
	ds_load_2addr_b32 v[5:6], v7 offset1:1
	s_waitcnt lgkmcnt(0)
	v_add_nc_u32_e32 v9, v6, v5
	s_delay_alu instid0(VALU_DEP_1) | instskip(NEXT) | instid1(VALU_DEP_1)
	v_mov_b32_dpp v11, v9 row_shr:1 row_mask:0xf bank_mask:0xf
	v_cndmask_b32_e64 v11, 0, v11, s2
	v_cmp_lt_u32_e64 s2, 1, v10
	s_delay_alu instid0(VALU_DEP_2) | instskip(NEXT) | instid1(VALU_DEP_1)
	v_add_nc_u32_e32 v9, v11, v9
	v_mov_b32_dpp v11, v9 row_shr:2 row_mask:0xf bank_mask:0xf
	s_delay_alu instid0(VALU_DEP_1) | instskip(SKIP_1) | instid1(VALU_DEP_2)
	v_cndmask_b32_e64 v11, 0, v11, s2
	v_cmp_lt_u32_e64 s2, 3, v10
	v_add_nc_u32_e32 v9, v9, v11
	s_delay_alu instid0(VALU_DEP_1) | instskip(NEXT) | instid1(VALU_DEP_1)
	v_mov_b32_dpp v11, v9 row_shr:4 row_mask:0xf bank_mask:0xf
	v_cndmask_b32_e64 v11, 0, v11, s2
	v_cmp_lt_u32_e64 s2, 7, v10
	s_delay_alu instid0(VALU_DEP_2) | instskip(NEXT) | instid1(VALU_DEP_1)
	v_add_nc_u32_e32 v9, v9, v11
	v_mov_b32_dpp v11, v9 row_shr:8 row_mask:0xf bank_mask:0xf
	s_delay_alu instid0(VALU_DEP_1) | instskip(SKIP_2) | instid1(VALU_DEP_3)
	v_cndmask_b32_e64 v10, 0, v11, s2
	v_bfe_i32 v11, v8, 4, 1
	v_cmp_gt_i32_e64 s2, 0, v12
	v_add_nc_u32_e32 v9, v9, v10
	s_delay_alu instid0(VALU_DEP_2)
	v_cndmask_b32_e64 v8, v12, v8, s2
	v_cmp_eq_u32_e64 s2, 0, v0
	ds_swizzle_b32 v10, v9 offset:swizzle(BROADCAST,32,15)
	v_lshlrev_b32_e32 v8, 2, v8
	s_waitcnt lgkmcnt(0)
	v_and_b32_e32 v10, v11, v10
	s_delay_alu instid0(VALU_DEP_1) | instskip(SKIP_3) | instid1(VALU_DEP_1)
	v_add_nc_u32_e32 v9, v9, v10
	ds_bpermute_b32 v8, v8, v9
	s_waitcnt lgkmcnt(0)
	v_add_nc_u32_e32 v5, v8, v5
	v_cndmask_b32_e64 v4, v5, v4, s2
	s_delay_alu instid0(VALU_DEP_1)
	v_add_nc_u32_e32 v5, v4, v6
	ds_store_2addr_b32 v7, v4, v5 offset1:1
.LBB129_2:
	s_or_b32 exec_lo, exec_lo, s3
	v_cmp_eq_u32_e64 s2, 0, v0
	s_mov_b32 s4, exec_lo
	s_waitcnt lgkmcnt(0)
	s_barrier
	buffer_gl0_inv
	v_cmpx_ne_u32_e32 0, v0
	s_cbranch_execz .LBB129_4
; %bb.3:
	v_add_nc_u32_e32 v0, -1, v0
	s_delay_alu instid0(VALU_DEP_1) | instskip(NEXT) | instid1(VALU_DEP_1)
	v_lshrrev_b32_e32 v3, 5, v0
	v_add_lshl_u32 v0, v3, v0, 2
	ds_load_b32 v3, v0
.LBB129_4:
	s_or_b32 exec_lo, exec_lo, s4
	s_load_b32 s1, s[0:1], 0x10
	s_waitcnt lgkmcnt(0)
	v_mov_b32_e32 v0, s1
	s_and_saveexec_b32 s0, vcc_lo
	s_cbranch_execz .LBB129_8
; %bb.5:
	v_mov_b32_e32 v4, 0
	ds_load_b32 v0, v4 offset:256
	s_and_saveexec_b32 s3, s2
	s_cbranch_execz .LBB129_7
; %bb.6:
	v_mov_b32_e32 v5, s1
	ds_store_b32 v4, v5
.LBB129_7:
	s_or_b32 exec_lo, exec_lo, s3
	s_waitcnt lgkmcnt(0)
	v_add_nc_u32_e32 v0, s1, v0
.LBB129_8:
	s_or_b32 exec_lo, exec_lo, s0
	v_mov_b32_e32 v4, 0
	s_barrier
	buffer_gl0_inv
	ds_load_b32 v5, v4
	s_waitcnt lgkmcnt(0)
	v_add_nc_u32_e32 v3, v5, v3
	global_store_b32 v[1:2], v3, off
	s_and_saveexec_b32 s0, s2
	s_cbranch_execz .LBB129_10
; %bb.9:
	s_mov_b32 s9, 0
	s_delay_alu instid0(SALU_CYCLE_1) | instskip(NEXT) | instid1(SALU_CYCLE_1)
	s_lshl_b64 s[0:1], s[8:9], 2
	s_add_u32 s0, s6, s0
	s_addc_u32 s1, s7, s1
	global_store_b32 v4, v0, s[0:1]
.LBB129_10:
	s_nop 0
	s_sendmsg sendmsg(MSG_DEALLOC_VGPRS)
	s_endpgm
	.section	.rodata,"a",@progbits
	.p2align	6, 0x0
	.amdhsa_kernel _Z37exclusive_scan_prefix_callback_kernelILj64ELN6hipcub18BlockScanAlgorithmE1EiEvPT1_S3_S2_
		.amdhsa_group_segment_fixed_size 264
		.amdhsa_private_segment_fixed_size 0
		.amdhsa_kernarg_size 20
		.amdhsa_user_sgpr_count 15
		.amdhsa_user_sgpr_dispatch_ptr 0
		.amdhsa_user_sgpr_queue_ptr 0
		.amdhsa_user_sgpr_kernarg_segment_ptr 1
		.amdhsa_user_sgpr_dispatch_id 0
		.amdhsa_user_sgpr_private_segment_size 0
		.amdhsa_wavefront_size32 1
		.amdhsa_uses_dynamic_stack 0
		.amdhsa_enable_private_segment 0
		.amdhsa_system_sgpr_workgroup_id_x 1
		.amdhsa_system_sgpr_workgroup_id_y 0
		.amdhsa_system_sgpr_workgroup_id_z 0
		.amdhsa_system_sgpr_workgroup_info 0
		.amdhsa_system_vgpr_workitem_id 0
		.amdhsa_next_free_vgpr 13
		.amdhsa_next_free_sgpr 16
		.amdhsa_reserve_vcc 1
		.amdhsa_float_round_mode_32 0
		.amdhsa_float_round_mode_16_64 0
		.amdhsa_float_denorm_mode_32 3
		.amdhsa_float_denorm_mode_16_64 3
		.amdhsa_dx10_clamp 1
		.amdhsa_ieee_mode 1
		.amdhsa_fp16_overflow 0
		.amdhsa_workgroup_processor_mode 1
		.amdhsa_memory_ordered 1
		.amdhsa_forward_progress 0
		.amdhsa_shared_vgpr_count 0
		.amdhsa_exception_fp_ieee_invalid_op 0
		.amdhsa_exception_fp_denorm_src 0
		.amdhsa_exception_fp_ieee_div_zero 0
		.amdhsa_exception_fp_ieee_overflow 0
		.amdhsa_exception_fp_ieee_underflow 0
		.amdhsa_exception_fp_ieee_inexact 0
		.amdhsa_exception_int_div_zero 0
	.end_amdhsa_kernel
	.section	.text._Z37exclusive_scan_prefix_callback_kernelILj64ELN6hipcub18BlockScanAlgorithmE1EiEvPT1_S3_S2_,"axG",@progbits,_Z37exclusive_scan_prefix_callback_kernelILj64ELN6hipcub18BlockScanAlgorithmE1EiEvPT1_S3_S2_,comdat
.Lfunc_end129:
	.size	_Z37exclusive_scan_prefix_callback_kernelILj64ELN6hipcub18BlockScanAlgorithmE1EiEvPT1_S3_S2_, .Lfunc_end129-_Z37exclusive_scan_prefix_callback_kernelILj64ELN6hipcub18BlockScanAlgorithmE1EiEvPT1_S3_S2_
                                        ; -- End function
	.section	.AMDGPU.csdata,"",@progbits
; Kernel info:
; codeLenInByte = 644
; NumSgprs: 18
; NumVgprs: 13
; ScratchSize: 0
; MemoryBound: 0
; FloatMode: 240
; IeeeMode: 1
; LDSByteSize: 264 bytes/workgroup (compile time only)
; SGPRBlocks: 2
; VGPRBlocks: 1
; NumSGPRsForWavesPerEU: 18
; NumVGPRsForWavesPerEU: 13
; Occupancy: 16
; WaveLimiterHint : 0
; COMPUTE_PGM_RSRC2:SCRATCH_EN: 0
; COMPUTE_PGM_RSRC2:USER_SGPR: 15
; COMPUTE_PGM_RSRC2:TRAP_HANDLER: 0
; COMPUTE_PGM_RSRC2:TGID_X_EN: 1
; COMPUTE_PGM_RSRC2:TGID_Y_EN: 0
; COMPUTE_PGM_RSRC2:TGID_Z_EN: 0
; COMPUTE_PGM_RSRC2:TIDIG_COMP_CNT: 0
	.section	.text._Z37exclusive_scan_prefix_callback_kernelILj377ELN6hipcub18BlockScanAlgorithmE0ElEvPT1_S3_S2_,"axG",@progbits,_Z37exclusive_scan_prefix_callback_kernelILj377ELN6hipcub18BlockScanAlgorithmE0ElEvPT1_S3_S2_,comdat
	.protected	_Z37exclusive_scan_prefix_callback_kernelILj377ELN6hipcub18BlockScanAlgorithmE0ElEvPT1_S3_S2_ ; -- Begin function _Z37exclusive_scan_prefix_callback_kernelILj377ELN6hipcub18BlockScanAlgorithmE0ElEvPT1_S3_S2_
	.globl	_Z37exclusive_scan_prefix_callback_kernelILj377ELN6hipcub18BlockScanAlgorithmE0ElEvPT1_S3_S2_
	.p2align	8
	.type	_Z37exclusive_scan_prefix_callback_kernelILj377ELN6hipcub18BlockScanAlgorithmE0ElEvPT1_S3_S2_,@function
_Z37exclusive_scan_prefix_callback_kernelILj377ELN6hipcub18BlockScanAlgorithmE0ElEvPT1_S3_S2_: ; @_Z37exclusive_scan_prefix_callback_kernelILj377ELN6hipcub18BlockScanAlgorithmE0ElEvPT1_S3_S2_
; %bb.0:
	s_load_b128 s[4:7], s[0:1], 0x0
	s_mov_b32 s8, s15
	v_mbcnt_lo_u32_b32 v7, -1, 0
	v_mad_u64_u32 v[1:2], null, 0x179, s8, v[0:1]
	s_delay_alu instid0(VALU_DEP_2) | instskip(NEXT) | instid1(VALU_DEP_1)
	v_dual_mov_b32 v2, 0 :: v_dual_and_b32 v5, 15, v7
	v_lshlrev_b64 v[1:2], 3, v[1:2]
	s_waitcnt lgkmcnt(0)
	s_delay_alu instid0(VALU_DEP_1) | instskip(NEXT) | instid1(VALU_DEP_2)
	v_add_co_u32 v1, vcc_lo, s4, v1
	v_add_co_ci_u32_e32 v2, vcc_lo, s5, v2, vcc_lo
	v_cmp_ne_u32_e32 vcc_lo, 0, v5
	global_load_b64 v[3:4], v[1:2], off
	s_waitcnt vmcnt(0)
	v_mov_b32_dpp v9, v3 row_shr:1 row_mask:0xf bank_mask:0xf
	v_mov_b32_dpp v6, v4 row_shr:1 row_mask:0xf bank_mask:0xf
	v_mov_b32_e32 v8, v3
	s_and_saveexec_b32 s3, vcc_lo
; %bb.1:
	s_delay_alu instid0(VALU_DEP_3) | instskip(NEXT) | instid1(VALU_DEP_1)
	v_add_co_u32 v8, s2, v3, v9
	v_add_co_ci_u32_e64 v4, s2, 0, v4, s2
	s_delay_alu instid0(VALU_DEP_2) | instskip(NEXT) | instid1(VALU_DEP_1)
	v_add_co_u32 v3, s2, 0, v8
	v_add_co_ci_u32_e64 v4, s2, v6, v4, s2
; %bb.2:
	s_or_b32 exec_lo, exec_lo, s3
	v_mov_b32_dpp v9, v8 row_shr:2 row_mask:0xf bank_mask:0xf
	s_delay_alu instid0(VALU_DEP_2) | instskip(SKIP_1) | instid1(VALU_DEP_1)
	v_mov_b32_dpp v6, v4 row_shr:2 row_mask:0xf bank_mask:0xf
	v_cmp_lt_u32_e64 s2, 1, v5
	s_and_saveexec_b32 s4, s2
; %bb.3:
	s_delay_alu instid0(VALU_DEP_3) | instskip(NEXT) | instid1(VALU_DEP_1)
	v_add_co_u32 v8, s3, v3, v9
	v_add_co_ci_u32_e64 v4, s3, 0, v4, s3
	s_delay_alu instid0(VALU_DEP_2) | instskip(NEXT) | instid1(VALU_DEP_1)
	v_add_co_u32 v3, s3, 0, v8
	v_add_co_ci_u32_e64 v4, s3, v6, v4, s3
; %bb.4:
	s_or_b32 exec_lo, exec_lo, s4
	v_mov_b32_dpp v9, v8 row_shr:4 row_mask:0xf bank_mask:0xf
	s_delay_alu instid0(VALU_DEP_2) | instskip(SKIP_1) | instid1(VALU_DEP_1)
	v_mov_b32_dpp v6, v4 row_shr:4 row_mask:0xf bank_mask:0xf
	v_cmp_lt_u32_e64 s3, 3, v5
	s_and_saveexec_b32 s5, s3
	;; [unrolled: 14-line block ×3, first 2 shown]
; %bb.7:
	s_delay_alu instid0(VALU_DEP_3) | instskip(NEXT) | instid1(VALU_DEP_1)
	v_add_co_u32 v8, s5, v3, v9
	v_add_co_ci_u32_e64 v4, s5, 0, v4, s5
	s_delay_alu instid0(VALU_DEP_2) | instskip(NEXT) | instid1(VALU_DEP_1)
	v_add_co_u32 v3, s5, 0, v8
	v_add_co_ci_u32_e64 v4, s5, v6, v4, s5
; %bb.8:
	s_or_b32 exec_lo, exec_lo, s9
	ds_swizzle_b32 v6, v8 offset:swizzle(BROADCAST,32,15)
	ds_swizzle_b32 v5, v4 offset:swizzle(BROADCAST,32,15)
	v_and_b32_e32 v9, 16, v7
	s_mov_b32 s9, exec_lo
	s_delay_alu instid0(VALU_DEP_1)
	v_cmpx_ne_u32_e32 0, v9
	s_cbranch_execz .LBB130_10
; %bb.9:
	s_waitcnt lgkmcnt(1)
	v_add_co_u32 v8, s5, v3, v6
	s_delay_alu instid0(VALU_DEP_1) | instskip(NEXT) | instid1(VALU_DEP_2)
	v_add_co_ci_u32_e64 v4, s5, 0, v4, s5
	v_add_co_u32 v3, s5, 0, v8
	s_waitcnt lgkmcnt(0)
	s_delay_alu instid0(VALU_DEP_2)
	v_add_co_ci_u32_e64 v4, s5, v5, v4, s5
.LBB130_10:
	s_or_b32 exec_lo, exec_lo, s9
	s_load_b64 s[10:11], s[0:1], 0x10
	s_waitcnt lgkmcnt(0)
	v_and_b32_e32 v5, 0x1e0, v0
	v_lshrrev_b32_e32 v9, 5, v0
	s_mov_b32 s1, exec_lo
	s_delay_alu instid0(VALU_DEP_2) | instskip(NEXT) | instid1(VALU_DEP_1)
	v_min_u32_e32 v5, 0x159, v5
	v_add_nc_u32_e32 v5, 31, v5
	s_delay_alu instid0(VALU_DEP_1)
	v_cmpx_eq_u32_e64 v5, v0
	s_cbranch_execz .LBB130_12
; %bb.11:
	v_lshlrev_b32_e32 v5, 3, v9
	ds_store_b64 v5, v[3:4]
.LBB130_12:
	s_or_b32 exec_lo, exec_lo, s1
	s_delay_alu instid0(SALU_CYCLE_1)
	s_mov_b32 s1, exec_lo
	s_waitcnt lgkmcnt(0)
	s_barrier
	buffer_gl0_inv
	v_cmpx_gt_u32_e32 12, v0
	s_cbranch_execz .LBB130_22
; %bb.13:
	v_lshlrev_b32_e32 v3, 3, v0
	ds_load_b64 v[5:6], v3
	s_waitcnt lgkmcnt(0)
	v_mov_b32_e32 v10, v5
	v_mov_b32_dpp v12, v5 row_shr:1 row_mask:0xf bank_mask:0xf
	v_mov_b32_dpp v11, v6 row_shr:1 row_mask:0xf bank_mask:0xf
	s_and_saveexec_b32 s0, vcc_lo
; %bb.14:
	s_delay_alu instid0(VALU_DEP_2) | instskip(SKIP_1) | instid1(VALU_DEP_2)
	v_add_co_u32 v10, vcc_lo, v5, v12
	v_add_co_ci_u32_e32 v6, vcc_lo, 0, v6, vcc_lo
	v_add_co_u32 v5, vcc_lo, 0, v10
	s_delay_alu instid0(VALU_DEP_2)
	v_add_co_ci_u32_e32 v6, vcc_lo, v11, v6, vcc_lo
; %bb.15:
	s_or_b32 exec_lo, exec_lo, s0
	v_mov_b32_dpp v12, v10 row_shr:2 row_mask:0xf bank_mask:0xf
	s_delay_alu instid0(VALU_DEP_2)
	v_mov_b32_dpp v11, v6 row_shr:2 row_mask:0xf bank_mask:0xf
	s_and_saveexec_b32 s0, s2
; %bb.16:
	s_delay_alu instid0(VALU_DEP_2) | instskip(SKIP_1) | instid1(VALU_DEP_2)
	v_add_co_u32 v10, vcc_lo, v5, v12
	v_add_co_ci_u32_e32 v6, vcc_lo, 0, v6, vcc_lo
	v_add_co_u32 v5, vcc_lo, 0, v10
	s_delay_alu instid0(VALU_DEP_2)
	v_add_co_ci_u32_e32 v6, vcc_lo, v11, v6, vcc_lo
; %bb.17:
	s_or_b32 exec_lo, exec_lo, s0
	v_mov_b32_dpp v12, v10 row_shr:4 row_mask:0xf bank_mask:0xf
	s_delay_alu instid0(VALU_DEP_2)
	v_mov_b32_dpp v11, v6 row_shr:4 row_mask:0xf bank_mask:0xf
	s_and_saveexec_b32 s0, s3
	;; [unrolled: 13-line block ×3, first 2 shown]
; %bb.20:
	s_delay_alu instid0(VALU_DEP_2) | instskip(SKIP_1) | instid1(VALU_DEP_2)
	v_add_co_u32 v5, vcc_lo, v5, v11
	v_add_co_ci_u32_e32 v6, vcc_lo, 0, v6, vcc_lo
	v_add_co_u32 v5, vcc_lo, v5, 0
	s_delay_alu instid0(VALU_DEP_2)
	v_add_co_ci_u32_e32 v6, vcc_lo, v6, v10, vcc_lo
; %bb.21:
	s_or_b32 exec_lo, exec_lo, s0
	ds_store_b64 v3, v[5:6]
.LBB130_22:
	s_or_b32 exec_lo, exec_lo, s1
	v_cmp_gt_u32_e32 vcc_lo, 32, v0
	s_mov_b32 s1, exec_lo
	s_waitcnt lgkmcnt(0)
	s_barrier
	buffer_gl0_inv
                                        ; implicit-def: $vgpr5_vgpr6
	v_cmpx_lt_u32_e32 31, v0
	s_cbranch_execz .LBB130_24
; %bb.23:
	v_lshl_add_u32 v3, v9, 3, -8
	ds_load_b64 v[5:6], v3
	s_waitcnt lgkmcnt(0)
	v_add_co_u32 v8, s0, v8, v5
	s_delay_alu instid0(VALU_DEP_1)
	v_add_co_ci_u32_e64 v4, s0, v4, v6, s0
.LBB130_24:
	s_or_b32 exec_lo, exec_lo, s1
	v_add_nc_u32_e32 v3, -1, v7
	s_delay_alu instid0(VALU_DEP_1) | instskip(NEXT) | instid1(VALU_DEP_1)
	v_cmp_gt_i32_e64 s0, 0, v3
	v_cndmask_b32_e64 v3, v3, v7, s0
	s_delay_alu instid0(VALU_DEP_1)
	v_lshlrev_b32_e32 v3, 2, v3
	ds_bpermute_b32 v8, v3, v8
	ds_bpermute_b32 v9, v3, v4
	v_dual_mov_b32 v3, s10 :: v_dual_mov_b32 v4, s11
	s_and_saveexec_b32 s0, vcc_lo
	s_cbranch_execz .LBB130_28
; %bb.25:
	v_mov_b32_e32 v10, 0
	s_mov_b32 s1, exec_lo
	ds_load_b64 v[3:4], v10 offset:88
	s_waitcnt lgkmcnt(0)
	v_add_co_u32 v3, vcc_lo, v3, s10
	v_add_co_ci_u32_e32 v4, vcc_lo, s11, v4, vcc_lo
	v_cmpx_eq_u32_e32 0, v0
	s_cbranch_execz .LBB130_27
; %bb.26:
	v_dual_mov_b32 v12, s11 :: v_dual_mov_b32 v11, s10
	ds_store_b64 v10, v[11:12] offset:88
.LBB130_27:
	s_or_b32 exec_lo, exec_lo, s1
.LBB130_28:
	s_delay_alu instid0(SALU_CYCLE_1)
	s_or_b32 exec_lo, exec_lo, s0
	v_cmp_eq_u32_e32 vcc_lo, 0, v7
	v_mov_b32_e32 v10, 0
	s_waitcnt lgkmcnt(0)
	s_barrier
	buffer_gl0_inv
	v_cndmask_b32_e32 v5, v8, v5, vcc_lo
	ds_load_b64 v[11:12], v10 offset:88
	v_cndmask_b32_e32 v6, v9, v6, vcc_lo
	v_cmp_eq_u32_e32 vcc_lo, 0, v0
	v_cndmask_b32_e64 v5, v5, 0, vcc_lo
	s_delay_alu instid0(VALU_DEP_3) | instskip(SKIP_1) | instid1(VALU_DEP_2)
	v_cndmask_b32_e64 v0, v6, 0, vcc_lo
	s_waitcnt lgkmcnt(0)
	v_add_co_u32 v5, s0, v11, v5
	s_delay_alu instid0(VALU_DEP_1)
	v_add_co_ci_u32_e64 v6, s0, v12, v0, s0
	global_store_b64 v[1:2], v[5:6], off
	s_and_saveexec_b32 s0, vcc_lo
	s_cbranch_execz .LBB130_30
; %bb.29:
	s_mov_b32 s9, 0
	s_delay_alu instid0(SALU_CYCLE_1) | instskip(NEXT) | instid1(SALU_CYCLE_1)
	s_lshl_b64 s[0:1], s[8:9], 3
	s_add_u32 s0, s6, s0
	s_addc_u32 s1, s7, s1
	global_store_b64 v10, v[3:4], s[0:1]
.LBB130_30:
	s_nop 0
	s_sendmsg sendmsg(MSG_DEALLOC_VGPRS)
	s_endpgm
	.section	.rodata,"a",@progbits
	.p2align	6, 0x0
	.amdhsa_kernel _Z37exclusive_scan_prefix_callback_kernelILj377ELN6hipcub18BlockScanAlgorithmE0ElEvPT1_S3_S2_
		.amdhsa_group_segment_fixed_size 96
		.amdhsa_private_segment_fixed_size 0
		.amdhsa_kernarg_size 24
		.amdhsa_user_sgpr_count 15
		.amdhsa_user_sgpr_dispatch_ptr 0
		.amdhsa_user_sgpr_queue_ptr 0
		.amdhsa_user_sgpr_kernarg_segment_ptr 1
		.amdhsa_user_sgpr_dispatch_id 0
		.amdhsa_user_sgpr_private_segment_size 0
		.amdhsa_wavefront_size32 1
		.amdhsa_uses_dynamic_stack 0
		.amdhsa_enable_private_segment 0
		.amdhsa_system_sgpr_workgroup_id_x 1
		.amdhsa_system_sgpr_workgroup_id_y 0
		.amdhsa_system_sgpr_workgroup_id_z 0
		.amdhsa_system_sgpr_workgroup_info 0
		.amdhsa_system_vgpr_workitem_id 0
		.amdhsa_next_free_vgpr 13
		.amdhsa_next_free_sgpr 16
		.amdhsa_reserve_vcc 1
		.amdhsa_float_round_mode_32 0
		.amdhsa_float_round_mode_16_64 0
		.amdhsa_float_denorm_mode_32 3
		.amdhsa_float_denorm_mode_16_64 3
		.amdhsa_dx10_clamp 1
		.amdhsa_ieee_mode 1
		.amdhsa_fp16_overflow 0
		.amdhsa_workgroup_processor_mode 1
		.amdhsa_memory_ordered 1
		.amdhsa_forward_progress 0
		.amdhsa_shared_vgpr_count 0
		.amdhsa_exception_fp_ieee_invalid_op 0
		.amdhsa_exception_fp_denorm_src 0
		.amdhsa_exception_fp_ieee_div_zero 0
		.amdhsa_exception_fp_ieee_overflow 0
		.amdhsa_exception_fp_ieee_underflow 0
		.amdhsa_exception_fp_ieee_inexact 0
		.amdhsa_exception_int_div_zero 0
	.end_amdhsa_kernel
	.section	.text._Z37exclusive_scan_prefix_callback_kernelILj377ELN6hipcub18BlockScanAlgorithmE0ElEvPT1_S3_S2_,"axG",@progbits,_Z37exclusive_scan_prefix_callback_kernelILj377ELN6hipcub18BlockScanAlgorithmE0ElEvPT1_S3_S2_,comdat
.Lfunc_end130:
	.size	_Z37exclusive_scan_prefix_callback_kernelILj377ELN6hipcub18BlockScanAlgorithmE0ElEvPT1_S3_S2_, .Lfunc_end130-_Z37exclusive_scan_prefix_callback_kernelILj377ELN6hipcub18BlockScanAlgorithmE0ElEvPT1_S3_S2_
                                        ; -- End function
	.section	.AMDGPU.csdata,"",@progbits
; Kernel info:
; codeLenInByte = 1200
; NumSgprs: 18
; NumVgprs: 13
; ScratchSize: 0
; MemoryBound: 0
; FloatMode: 240
; IeeeMode: 1
; LDSByteSize: 96 bytes/workgroup (compile time only)
; SGPRBlocks: 2
; VGPRBlocks: 1
; NumSGPRsForWavesPerEU: 18
; NumVGPRsForWavesPerEU: 13
; Occupancy: 15
; WaveLimiterHint : 0
; COMPUTE_PGM_RSRC2:SCRATCH_EN: 0
; COMPUTE_PGM_RSRC2:USER_SGPR: 15
; COMPUTE_PGM_RSRC2:TRAP_HANDLER: 0
; COMPUTE_PGM_RSRC2:TGID_X_EN: 1
; COMPUTE_PGM_RSRC2:TGID_Y_EN: 0
; COMPUTE_PGM_RSRC2:TGID_Z_EN: 0
; COMPUTE_PGM_RSRC2:TIDIG_COMP_CNT: 0
	.section	.text._Z37exclusive_scan_prefix_callback_kernelILj256ELN6hipcub18BlockScanAlgorithmE0ElEvPT1_S3_S2_,"axG",@progbits,_Z37exclusive_scan_prefix_callback_kernelILj256ELN6hipcub18BlockScanAlgorithmE0ElEvPT1_S3_S2_,comdat
	.protected	_Z37exclusive_scan_prefix_callback_kernelILj256ELN6hipcub18BlockScanAlgorithmE0ElEvPT1_S3_S2_ ; -- Begin function _Z37exclusive_scan_prefix_callback_kernelILj256ELN6hipcub18BlockScanAlgorithmE0ElEvPT1_S3_S2_
	.globl	_Z37exclusive_scan_prefix_callback_kernelILj256ELN6hipcub18BlockScanAlgorithmE0ElEvPT1_S3_S2_
	.p2align	8
	.type	_Z37exclusive_scan_prefix_callback_kernelILj256ELN6hipcub18BlockScanAlgorithmE0ElEvPT1_S3_S2_,@function
_Z37exclusive_scan_prefix_callback_kernelILj256ELN6hipcub18BlockScanAlgorithmE0ElEvPT1_S3_S2_: ; @_Z37exclusive_scan_prefix_callback_kernelILj256ELN6hipcub18BlockScanAlgorithmE0ElEvPT1_S3_S2_
; %bb.0:
	s_load_b128 s[4:7], s[0:1], 0x0
	s_mov_b32 s2, s15
	v_mbcnt_lo_u32_b32 v7, -1, 0
	v_mov_b32_e32 v2, 0
	v_lshl_or_b32 v1, s2, 8, v0
	s_mov_b32 s3, exec_lo
	s_delay_alu instid0(VALU_DEP_3) | instskip(NEXT) | instid1(VALU_DEP_2)
	v_and_b32_e32 v5, 15, v7
	v_lshlrev_b64 v[1:2], 3, v[1:2]
	s_waitcnt lgkmcnt(0)
	s_delay_alu instid0(VALU_DEP_1) | instskip(NEXT) | instid1(VALU_DEP_2)
	v_add_co_u32 v1, vcc_lo, s4, v1
	v_add_co_ci_u32_e32 v2, vcc_lo, s5, v2, vcc_lo
	global_load_b64 v[3:4], v[1:2], off
	s_waitcnt vmcnt(0)
	v_mov_b32_dpp v9, v3 row_shr:1 row_mask:0xf bank_mask:0xf
	v_mov_b32_dpp v6, v4 row_shr:1 row_mask:0xf bank_mask:0xf
	v_mov_b32_e32 v8, v3
	v_cmpx_ne_u32_e32 0, v5
; %bb.1:
	s_delay_alu instid0(VALU_DEP_4) | instskip(SKIP_1) | instid1(VALU_DEP_2)
	v_add_co_u32 v8, vcc_lo, v3, v9
	v_add_co_ci_u32_e32 v4, vcc_lo, 0, v4, vcc_lo
	v_add_co_u32 v3, vcc_lo, 0, v8
	s_delay_alu instid0(VALU_DEP_2)
	v_add_co_ci_u32_e32 v4, vcc_lo, v6, v4, vcc_lo
; %bb.2:
	s_or_b32 exec_lo, exec_lo, s3
	v_mov_b32_dpp v9, v8 row_shr:2 row_mask:0xf bank_mask:0xf
	s_delay_alu instid0(VALU_DEP_2)
	v_mov_b32_dpp v6, v4 row_shr:2 row_mask:0xf bank_mask:0xf
	s_mov_b32 s3, exec_lo
	v_cmpx_lt_u32_e32 1, v5
; %bb.3:
	s_delay_alu instid0(VALU_DEP_3) | instskip(SKIP_1) | instid1(VALU_DEP_2)
	v_add_co_u32 v8, vcc_lo, v3, v9
	v_add_co_ci_u32_e32 v4, vcc_lo, 0, v4, vcc_lo
	v_add_co_u32 v3, vcc_lo, 0, v8
	s_delay_alu instid0(VALU_DEP_2)
	v_add_co_ci_u32_e32 v4, vcc_lo, v6, v4, vcc_lo
; %bb.4:
	s_or_b32 exec_lo, exec_lo, s3
	v_mov_b32_dpp v9, v8 row_shr:4 row_mask:0xf bank_mask:0xf
	s_delay_alu instid0(VALU_DEP_2)
	v_mov_b32_dpp v6, v4 row_shr:4 row_mask:0xf bank_mask:0xf
	s_mov_b32 s3, exec_lo
	v_cmpx_lt_u32_e32 3, v5
; %bb.5:
	s_delay_alu instid0(VALU_DEP_3) | instskip(SKIP_1) | instid1(VALU_DEP_2)
	;; [unrolled: 14-line block ×3, first 2 shown]
	v_add_co_u32 v8, vcc_lo, v3, v9
	v_add_co_ci_u32_e32 v4, vcc_lo, 0, v4, vcc_lo
	v_add_co_u32 v3, vcc_lo, 0, v8
	s_delay_alu instid0(VALU_DEP_2)
	v_add_co_ci_u32_e32 v4, vcc_lo, v6, v4, vcc_lo
; %bb.8:
	s_or_b32 exec_lo, exec_lo, s3
	ds_swizzle_b32 v6, v8 offset:swizzle(BROADCAST,32,15)
	ds_swizzle_b32 v5, v4 offset:swizzle(BROADCAST,32,15)
	v_and_b32_e32 v9, 16, v7
	s_mov_b32 s3, exec_lo
	s_delay_alu instid0(VALU_DEP_1)
	v_cmpx_ne_u32_e32 0, v9
	s_cbranch_execz .LBB131_10
; %bb.9:
	s_waitcnt lgkmcnt(1)
	v_add_co_u32 v8, vcc_lo, v3, v6
	v_add_co_ci_u32_e32 v4, vcc_lo, 0, v4, vcc_lo
	s_delay_alu instid0(VALU_DEP_2) | instskip(SKIP_1) | instid1(VALU_DEP_2)
	v_add_co_u32 v3, vcc_lo, 0, v8
	s_waitcnt lgkmcnt(0)
	v_add_co_ci_u32_e32 v4, vcc_lo, v5, v4, vcc_lo
.LBB131_10:
	s_or_b32 exec_lo, exec_lo, s3
	s_load_b64 s[4:5], s[0:1], 0x10
	s_waitcnt lgkmcnt(0)
	v_or_b32_e32 v5, 31, v0
	v_lshrrev_b32_e32 v9, 5, v0
	s_mov_b32 s0, exec_lo
	s_delay_alu instid0(VALU_DEP_2)
	v_cmpx_eq_u32_e64 v5, v0
	s_cbranch_execz .LBB131_12
; %bb.11:
	s_delay_alu instid0(VALU_DEP_2)
	v_lshlrev_b32_e32 v5, 3, v9
	ds_store_b64 v5, v[3:4]
.LBB131_12:
	s_or_b32 exec_lo, exec_lo, s0
	s_delay_alu instid0(SALU_CYCLE_1)
	s_mov_b32 s0, exec_lo
	s_waitcnt lgkmcnt(0)
	s_barrier
	buffer_gl0_inv
	v_cmpx_gt_u32_e32 8, v0
	s_cbranch_execz .LBB131_20
; %bb.13:
	v_lshlrev_b32_e32 v3, 3, v0
	s_mov_b32 s1, exec_lo
	ds_load_b64 v[5:6], v3
	s_waitcnt lgkmcnt(0)
	v_dual_mov_b32 v11, v5 :: v_dual_and_b32 v10, 7, v7
	v_mov_b32_dpp v13, v5 row_shr:1 row_mask:0xf bank_mask:0xf
	v_mov_b32_dpp v12, v6 row_shr:1 row_mask:0xf bank_mask:0xf
	s_delay_alu instid0(VALU_DEP_3)
	v_cmpx_ne_u32_e32 0, v10
; %bb.14:
	s_delay_alu instid0(VALU_DEP_3) | instskip(SKIP_1) | instid1(VALU_DEP_2)
	v_add_co_u32 v11, vcc_lo, v5, v13
	v_add_co_ci_u32_e32 v6, vcc_lo, 0, v6, vcc_lo
	v_add_co_u32 v5, vcc_lo, 0, v11
	s_delay_alu instid0(VALU_DEP_2)
	v_add_co_ci_u32_e32 v6, vcc_lo, v12, v6, vcc_lo
; %bb.15:
	s_or_b32 exec_lo, exec_lo, s1
	v_mov_b32_dpp v13, v11 row_shr:2 row_mask:0xf bank_mask:0xf
	s_delay_alu instid0(VALU_DEP_2)
	v_mov_b32_dpp v12, v6 row_shr:2 row_mask:0xf bank_mask:0xf
	s_mov_b32 s1, exec_lo
	v_cmpx_lt_u32_e32 1, v10
; %bb.16:
	s_delay_alu instid0(VALU_DEP_3) | instskip(SKIP_1) | instid1(VALU_DEP_2)
	v_add_co_u32 v11, vcc_lo, v5, v13
	v_add_co_ci_u32_e32 v6, vcc_lo, 0, v6, vcc_lo
	v_add_co_u32 v5, vcc_lo, 0, v11
	s_delay_alu instid0(VALU_DEP_2)
	v_add_co_ci_u32_e32 v6, vcc_lo, v12, v6, vcc_lo
; %bb.17:
	s_or_b32 exec_lo, exec_lo, s1
	v_mov_b32_dpp v12, v11 row_shr:4 row_mask:0xf bank_mask:0xf
	s_delay_alu instid0(VALU_DEP_2)
	v_mov_b32_dpp v11, v6 row_shr:4 row_mask:0xf bank_mask:0xf
	s_mov_b32 s1, exec_lo
	v_cmpx_lt_u32_e32 3, v10
; %bb.18:
	s_delay_alu instid0(VALU_DEP_3) | instskip(SKIP_1) | instid1(VALU_DEP_2)
	v_add_co_u32 v5, vcc_lo, v5, v12
	v_add_co_ci_u32_e32 v6, vcc_lo, 0, v6, vcc_lo
	v_add_co_u32 v5, vcc_lo, v5, 0
	s_delay_alu instid0(VALU_DEP_2)
	v_add_co_ci_u32_e32 v6, vcc_lo, v6, v11, vcc_lo
; %bb.19:
	s_or_b32 exec_lo, exec_lo, s1
	ds_store_b64 v3, v[5:6]
.LBB131_20:
	s_or_b32 exec_lo, exec_lo, s0
	v_cmp_gt_u32_e32 vcc_lo, 32, v0
	s_mov_b32 s1, exec_lo
	s_waitcnt lgkmcnt(0)
	s_barrier
	buffer_gl0_inv
                                        ; implicit-def: $vgpr5_vgpr6
	v_cmpx_lt_u32_e32 31, v0
	s_cbranch_execz .LBB131_22
; %bb.21:
	v_lshl_add_u32 v3, v9, 3, -8
	ds_load_b64 v[5:6], v3
	s_waitcnt lgkmcnt(0)
	v_add_co_u32 v8, s0, v8, v5
	s_delay_alu instid0(VALU_DEP_1)
	v_add_co_ci_u32_e64 v4, s0, v4, v6, s0
.LBB131_22:
	s_or_b32 exec_lo, exec_lo, s1
	v_add_nc_u32_e32 v3, -1, v7
	s_delay_alu instid0(VALU_DEP_1) | instskip(NEXT) | instid1(VALU_DEP_1)
	v_cmp_gt_i32_e64 s0, 0, v3
	v_cndmask_b32_e64 v3, v3, v7, s0
	s_delay_alu instid0(VALU_DEP_1)
	v_lshlrev_b32_e32 v3, 2, v3
	ds_bpermute_b32 v8, v3, v8
	ds_bpermute_b32 v9, v3, v4
	v_dual_mov_b32 v3, s4 :: v_dual_mov_b32 v4, s5
	s_and_saveexec_b32 s0, vcc_lo
	s_cbranch_execz .LBB131_26
; %bb.23:
	v_mov_b32_e32 v10, 0
	s_mov_b32 s1, exec_lo
	ds_load_b64 v[3:4], v10 offset:56
	s_waitcnt lgkmcnt(0)
	v_add_co_u32 v3, vcc_lo, v3, s4
	v_add_co_ci_u32_e32 v4, vcc_lo, s5, v4, vcc_lo
	v_cmpx_eq_u32_e32 0, v0
	s_cbranch_execz .LBB131_25
; %bb.24:
	v_dual_mov_b32 v12, s5 :: v_dual_mov_b32 v11, s4
	ds_store_b64 v10, v[11:12] offset:56
.LBB131_25:
	s_or_b32 exec_lo, exec_lo, s1
.LBB131_26:
	s_delay_alu instid0(SALU_CYCLE_1)
	s_or_b32 exec_lo, exec_lo, s0
	v_cmp_eq_u32_e32 vcc_lo, 0, v7
	v_mov_b32_e32 v10, 0
	s_waitcnt lgkmcnt(0)
	s_barrier
	buffer_gl0_inv
	v_cndmask_b32_e32 v5, v8, v5, vcc_lo
	ds_load_b64 v[11:12], v10 offset:56
	v_cndmask_b32_e32 v6, v9, v6, vcc_lo
	v_cmp_eq_u32_e32 vcc_lo, 0, v0
	v_cndmask_b32_e64 v5, v5, 0, vcc_lo
	s_delay_alu instid0(VALU_DEP_3) | instskip(SKIP_1) | instid1(VALU_DEP_2)
	v_cndmask_b32_e64 v0, v6, 0, vcc_lo
	s_waitcnt lgkmcnt(0)
	v_add_co_u32 v5, s0, v11, v5
	s_delay_alu instid0(VALU_DEP_1)
	v_add_co_ci_u32_e64 v6, s0, v12, v0, s0
	global_store_b64 v[1:2], v[5:6], off
	s_and_saveexec_b32 s0, vcc_lo
	s_cbranch_execz .LBB131_28
; %bb.27:
	s_mov_b32 s3, 0
	s_delay_alu instid0(SALU_CYCLE_1) | instskip(NEXT) | instid1(SALU_CYCLE_1)
	s_lshl_b64 s[0:1], s[2:3], 3
	s_add_u32 s0, s6, s0
	s_addc_u32 s1, s7, s1
	global_store_b64 v10, v[3:4], s[0:1]
.LBB131_28:
	s_nop 0
	s_sendmsg sendmsg(MSG_DEALLOC_VGPRS)
	s_endpgm
	.section	.rodata,"a",@progbits
	.p2align	6, 0x0
	.amdhsa_kernel _Z37exclusive_scan_prefix_callback_kernelILj256ELN6hipcub18BlockScanAlgorithmE0ElEvPT1_S3_S2_
		.amdhsa_group_segment_fixed_size 64
		.amdhsa_private_segment_fixed_size 0
		.amdhsa_kernarg_size 24
		.amdhsa_user_sgpr_count 15
		.amdhsa_user_sgpr_dispatch_ptr 0
		.amdhsa_user_sgpr_queue_ptr 0
		.amdhsa_user_sgpr_kernarg_segment_ptr 1
		.amdhsa_user_sgpr_dispatch_id 0
		.amdhsa_user_sgpr_private_segment_size 0
		.amdhsa_wavefront_size32 1
		.amdhsa_uses_dynamic_stack 0
		.amdhsa_enable_private_segment 0
		.amdhsa_system_sgpr_workgroup_id_x 1
		.amdhsa_system_sgpr_workgroup_id_y 0
		.amdhsa_system_sgpr_workgroup_id_z 0
		.amdhsa_system_sgpr_workgroup_info 0
		.amdhsa_system_vgpr_workitem_id 0
		.amdhsa_next_free_vgpr 14
		.amdhsa_next_free_sgpr 16
		.amdhsa_reserve_vcc 1
		.amdhsa_float_round_mode_32 0
		.amdhsa_float_round_mode_16_64 0
		.amdhsa_float_denorm_mode_32 3
		.amdhsa_float_denorm_mode_16_64 3
		.amdhsa_dx10_clamp 1
		.amdhsa_ieee_mode 1
		.amdhsa_fp16_overflow 0
		.amdhsa_workgroup_processor_mode 1
		.amdhsa_memory_ordered 1
		.amdhsa_forward_progress 0
		.amdhsa_shared_vgpr_count 0
		.amdhsa_exception_fp_ieee_invalid_op 0
		.amdhsa_exception_fp_denorm_src 0
		.amdhsa_exception_fp_ieee_div_zero 0
		.amdhsa_exception_fp_ieee_overflow 0
		.amdhsa_exception_fp_ieee_underflow 0
		.amdhsa_exception_fp_ieee_inexact 0
		.amdhsa_exception_int_div_zero 0
	.end_amdhsa_kernel
	.section	.text._Z37exclusive_scan_prefix_callback_kernelILj256ELN6hipcub18BlockScanAlgorithmE0ElEvPT1_S3_S2_,"axG",@progbits,_Z37exclusive_scan_prefix_callback_kernelILj256ELN6hipcub18BlockScanAlgorithmE0ElEvPT1_S3_S2_,comdat
.Lfunc_end131:
	.size	_Z37exclusive_scan_prefix_callback_kernelILj256ELN6hipcub18BlockScanAlgorithmE0ElEvPT1_S3_S2_, .Lfunc_end131-_Z37exclusive_scan_prefix_callback_kernelILj256ELN6hipcub18BlockScanAlgorithmE0ElEvPT1_S3_S2_
                                        ; -- End function
	.section	.AMDGPU.csdata,"",@progbits
; Kernel info:
; codeLenInByte = 1084
; NumSgprs: 18
; NumVgprs: 14
; ScratchSize: 0
; MemoryBound: 0
; FloatMode: 240
; IeeeMode: 1
; LDSByteSize: 64 bytes/workgroup (compile time only)
; SGPRBlocks: 2
; VGPRBlocks: 1
; NumSGPRsForWavesPerEU: 18
; NumVGPRsForWavesPerEU: 14
; Occupancy: 16
; WaveLimiterHint : 0
; COMPUTE_PGM_RSRC2:SCRATCH_EN: 0
; COMPUTE_PGM_RSRC2:USER_SGPR: 15
; COMPUTE_PGM_RSRC2:TRAP_HANDLER: 0
; COMPUTE_PGM_RSRC2:TGID_X_EN: 1
; COMPUTE_PGM_RSRC2:TGID_Y_EN: 0
; COMPUTE_PGM_RSRC2:TGID_Z_EN: 0
; COMPUTE_PGM_RSRC2:TIDIG_COMP_CNT: 0
	.section	.text._Z37exclusive_scan_prefix_callback_kernelILj64ELN6hipcub18BlockScanAlgorithmE0ElEvPT1_S3_S2_,"axG",@progbits,_Z37exclusive_scan_prefix_callback_kernelILj64ELN6hipcub18BlockScanAlgorithmE0ElEvPT1_S3_S2_,comdat
	.protected	_Z37exclusive_scan_prefix_callback_kernelILj64ELN6hipcub18BlockScanAlgorithmE0ElEvPT1_S3_S2_ ; -- Begin function _Z37exclusive_scan_prefix_callback_kernelILj64ELN6hipcub18BlockScanAlgorithmE0ElEvPT1_S3_S2_
	.globl	_Z37exclusive_scan_prefix_callback_kernelILj64ELN6hipcub18BlockScanAlgorithmE0ElEvPT1_S3_S2_
	.p2align	8
	.type	_Z37exclusive_scan_prefix_callback_kernelILj64ELN6hipcub18BlockScanAlgorithmE0ElEvPT1_S3_S2_,@function
_Z37exclusive_scan_prefix_callback_kernelILj64ELN6hipcub18BlockScanAlgorithmE0ElEvPT1_S3_S2_: ; @_Z37exclusive_scan_prefix_callback_kernelILj64ELN6hipcub18BlockScanAlgorithmE0ElEvPT1_S3_S2_
; %bb.0:
	s_load_b128 s[4:7], s[0:1], 0x0
	s_mov_b32 s2, s15
	v_mbcnt_lo_u32_b32 v7, -1, 0
	v_mov_b32_e32 v2, 0
	v_lshl_or_b32 v1, s2, 6, v0
	s_mov_b32 s3, exec_lo
	s_delay_alu instid0(VALU_DEP_3) | instskip(NEXT) | instid1(VALU_DEP_2)
	v_and_b32_e32 v5, 15, v7
	v_lshlrev_b64 v[1:2], 3, v[1:2]
	s_waitcnt lgkmcnt(0)
	s_delay_alu instid0(VALU_DEP_1) | instskip(NEXT) | instid1(VALU_DEP_2)
	v_add_co_u32 v1, vcc_lo, s4, v1
	v_add_co_ci_u32_e32 v2, vcc_lo, s5, v2, vcc_lo
	global_load_b64 v[3:4], v[1:2], off
	s_waitcnt vmcnt(0)
	v_mov_b32_dpp v9, v3 row_shr:1 row_mask:0xf bank_mask:0xf
	v_mov_b32_dpp v6, v4 row_shr:1 row_mask:0xf bank_mask:0xf
	v_mov_b32_e32 v8, v3
	v_cmpx_ne_u32_e32 0, v5
; %bb.1:
	s_delay_alu instid0(VALU_DEP_4) | instskip(SKIP_1) | instid1(VALU_DEP_2)
	v_add_co_u32 v8, vcc_lo, v3, v9
	v_add_co_ci_u32_e32 v4, vcc_lo, 0, v4, vcc_lo
	v_add_co_u32 v3, vcc_lo, 0, v8
	s_delay_alu instid0(VALU_DEP_2)
	v_add_co_ci_u32_e32 v4, vcc_lo, v6, v4, vcc_lo
; %bb.2:
	s_or_b32 exec_lo, exec_lo, s3
	v_mov_b32_dpp v9, v8 row_shr:2 row_mask:0xf bank_mask:0xf
	s_delay_alu instid0(VALU_DEP_2)
	v_mov_b32_dpp v6, v4 row_shr:2 row_mask:0xf bank_mask:0xf
	s_mov_b32 s3, exec_lo
	v_cmpx_lt_u32_e32 1, v5
; %bb.3:
	s_delay_alu instid0(VALU_DEP_3) | instskip(SKIP_1) | instid1(VALU_DEP_2)
	v_add_co_u32 v8, vcc_lo, v3, v9
	v_add_co_ci_u32_e32 v4, vcc_lo, 0, v4, vcc_lo
	v_add_co_u32 v3, vcc_lo, 0, v8
	s_delay_alu instid0(VALU_DEP_2)
	v_add_co_ci_u32_e32 v4, vcc_lo, v6, v4, vcc_lo
; %bb.4:
	s_or_b32 exec_lo, exec_lo, s3
	v_mov_b32_dpp v9, v8 row_shr:4 row_mask:0xf bank_mask:0xf
	s_delay_alu instid0(VALU_DEP_2)
	v_mov_b32_dpp v6, v4 row_shr:4 row_mask:0xf bank_mask:0xf
	s_mov_b32 s3, exec_lo
	v_cmpx_lt_u32_e32 3, v5
; %bb.5:
	s_delay_alu instid0(VALU_DEP_3) | instskip(SKIP_1) | instid1(VALU_DEP_2)
	;; [unrolled: 14-line block ×3, first 2 shown]
	v_add_co_u32 v8, vcc_lo, v3, v9
	v_add_co_ci_u32_e32 v4, vcc_lo, 0, v4, vcc_lo
	v_add_co_u32 v3, vcc_lo, 0, v8
	s_delay_alu instid0(VALU_DEP_2)
	v_add_co_ci_u32_e32 v4, vcc_lo, v6, v4, vcc_lo
; %bb.8:
	s_or_b32 exec_lo, exec_lo, s3
	ds_swizzle_b32 v6, v8 offset:swizzle(BROADCAST,32,15)
	ds_swizzle_b32 v5, v4 offset:swizzle(BROADCAST,32,15)
	v_and_b32_e32 v9, 16, v7
	s_mov_b32 s3, exec_lo
	s_delay_alu instid0(VALU_DEP_1)
	v_cmpx_ne_u32_e32 0, v9
	s_cbranch_execz .LBB132_10
; %bb.9:
	s_waitcnt lgkmcnt(1)
	v_add_co_u32 v8, vcc_lo, v3, v6
	v_add_co_ci_u32_e32 v4, vcc_lo, 0, v4, vcc_lo
	s_delay_alu instid0(VALU_DEP_2) | instskip(SKIP_1) | instid1(VALU_DEP_2)
	v_add_co_u32 v3, vcc_lo, 0, v8
	s_waitcnt lgkmcnt(0)
	v_add_co_ci_u32_e32 v4, vcc_lo, v5, v4, vcc_lo
.LBB132_10:
	s_or_b32 exec_lo, exec_lo, s3
	s_load_b64 s[4:5], s[0:1], 0x10
	s_waitcnt lgkmcnt(0)
	v_or_b32_e32 v5, 31, v0
	v_lshrrev_b32_e32 v9, 5, v0
	s_mov_b32 s0, exec_lo
	s_delay_alu instid0(VALU_DEP_2)
	v_cmpx_eq_u32_e64 v5, v0
	s_cbranch_execz .LBB132_12
; %bb.11:
	s_delay_alu instid0(VALU_DEP_2)
	v_lshlrev_b32_e32 v5, 3, v9
	ds_store_b64 v5, v[3:4]
.LBB132_12:
	s_or_b32 exec_lo, exec_lo, s0
	s_delay_alu instid0(SALU_CYCLE_1)
	s_mov_b32 s0, exec_lo
	s_waitcnt lgkmcnt(0)
	s_barrier
	buffer_gl0_inv
	v_cmpx_gt_u32_e32 2, v0
	s_cbranch_execz .LBB132_16
; %bb.13:
	v_lshlrev_b32_e32 v3, 3, v0
	v_and_b32_e32 v12, 1, v7
	s_mov_b32 s1, exec_lo
	ds_load_b64 v[5:6], v3
	s_waitcnt lgkmcnt(0)
	v_mov_b32_dpp v11, v5 row_shr:1 row_mask:0xf bank_mask:0xf
	v_mov_b32_dpp v10, v6 row_shr:1 row_mask:0xf bank_mask:0xf
	v_cmpx_eq_u32_e32 1, v12
; %bb.14:
	s_delay_alu instid0(VALU_DEP_3) | instskip(SKIP_1) | instid1(VALU_DEP_2)
	v_add_co_u32 v5, vcc_lo, v5, v11
	v_add_co_ci_u32_e32 v6, vcc_lo, 0, v6, vcc_lo
	v_add_co_u32 v5, vcc_lo, v5, 0
	s_delay_alu instid0(VALU_DEP_2)
	v_add_co_ci_u32_e32 v6, vcc_lo, v6, v10, vcc_lo
; %bb.15:
	s_or_b32 exec_lo, exec_lo, s1
	ds_store_b64 v3, v[5:6]
.LBB132_16:
	s_or_b32 exec_lo, exec_lo, s0
	v_cmp_gt_u32_e32 vcc_lo, 32, v0
	s_mov_b32 s1, exec_lo
	s_waitcnt lgkmcnt(0)
	s_barrier
	buffer_gl0_inv
                                        ; implicit-def: $vgpr5_vgpr6
	v_cmpx_lt_u32_e32 31, v0
	s_cbranch_execz .LBB132_18
; %bb.17:
	v_lshl_add_u32 v3, v9, 3, -8
	ds_load_b64 v[5:6], v3
	s_waitcnt lgkmcnt(0)
	v_add_co_u32 v8, s0, v8, v5
	s_delay_alu instid0(VALU_DEP_1)
	v_add_co_ci_u32_e64 v4, s0, v4, v6, s0
.LBB132_18:
	s_or_b32 exec_lo, exec_lo, s1
	v_add_nc_u32_e32 v3, -1, v7
	s_delay_alu instid0(VALU_DEP_1) | instskip(NEXT) | instid1(VALU_DEP_1)
	v_cmp_gt_i32_e64 s0, 0, v3
	v_cndmask_b32_e64 v3, v3, v7, s0
	s_delay_alu instid0(VALU_DEP_1)
	v_lshlrev_b32_e32 v3, 2, v3
	ds_bpermute_b32 v8, v3, v8
	ds_bpermute_b32 v9, v3, v4
	v_dual_mov_b32 v3, s4 :: v_dual_mov_b32 v4, s5
	s_and_saveexec_b32 s0, vcc_lo
	s_cbranch_execz .LBB132_22
; %bb.19:
	v_mov_b32_e32 v10, 0
	s_mov_b32 s1, exec_lo
	ds_load_b64 v[3:4], v10 offset:8
	s_waitcnt lgkmcnt(0)
	v_add_co_u32 v3, vcc_lo, v3, s4
	v_add_co_ci_u32_e32 v4, vcc_lo, s5, v4, vcc_lo
	v_cmpx_eq_u32_e32 0, v0
	s_cbranch_execz .LBB132_21
; %bb.20:
	v_dual_mov_b32 v12, s5 :: v_dual_mov_b32 v11, s4
	ds_store_b64 v10, v[11:12] offset:8
.LBB132_21:
	s_or_b32 exec_lo, exec_lo, s1
.LBB132_22:
	s_delay_alu instid0(SALU_CYCLE_1)
	s_or_b32 exec_lo, exec_lo, s0
	v_cmp_eq_u32_e32 vcc_lo, 0, v7
	v_mov_b32_e32 v10, 0
	s_waitcnt lgkmcnt(0)
	s_barrier
	buffer_gl0_inv
	v_cndmask_b32_e32 v5, v8, v5, vcc_lo
	ds_load_b64 v[11:12], v10 offset:8
	v_cndmask_b32_e32 v6, v9, v6, vcc_lo
	v_cmp_eq_u32_e32 vcc_lo, 0, v0
	v_cndmask_b32_e64 v5, v5, 0, vcc_lo
	s_delay_alu instid0(VALU_DEP_3) | instskip(SKIP_1) | instid1(VALU_DEP_2)
	v_cndmask_b32_e64 v0, v6, 0, vcc_lo
	s_waitcnt lgkmcnt(0)
	v_add_co_u32 v5, s0, v11, v5
	s_delay_alu instid0(VALU_DEP_1)
	v_add_co_ci_u32_e64 v6, s0, v12, v0, s0
	global_store_b64 v[1:2], v[5:6], off
	s_and_saveexec_b32 s0, vcc_lo
	s_cbranch_execz .LBB132_24
; %bb.23:
	s_mov_b32 s3, 0
	s_delay_alu instid0(SALU_CYCLE_1) | instskip(NEXT) | instid1(SALU_CYCLE_1)
	s_lshl_b64 s[0:1], s[2:3], 3
	s_add_u32 s0, s6, s0
	s_addc_u32 s1, s7, s1
	global_store_b64 v10, v[3:4], s[0:1]
.LBB132_24:
	s_nop 0
	s_sendmsg sendmsg(MSG_DEALLOC_VGPRS)
	s_endpgm
	.section	.rodata,"a",@progbits
	.p2align	6, 0x0
	.amdhsa_kernel _Z37exclusive_scan_prefix_callback_kernelILj64ELN6hipcub18BlockScanAlgorithmE0ElEvPT1_S3_S2_
		.amdhsa_group_segment_fixed_size 16
		.amdhsa_private_segment_fixed_size 0
		.amdhsa_kernarg_size 24
		.amdhsa_user_sgpr_count 15
		.amdhsa_user_sgpr_dispatch_ptr 0
		.amdhsa_user_sgpr_queue_ptr 0
		.amdhsa_user_sgpr_kernarg_segment_ptr 1
		.amdhsa_user_sgpr_dispatch_id 0
		.amdhsa_user_sgpr_private_segment_size 0
		.amdhsa_wavefront_size32 1
		.amdhsa_uses_dynamic_stack 0
		.amdhsa_enable_private_segment 0
		.amdhsa_system_sgpr_workgroup_id_x 1
		.amdhsa_system_sgpr_workgroup_id_y 0
		.amdhsa_system_sgpr_workgroup_id_z 0
		.amdhsa_system_sgpr_workgroup_info 0
		.amdhsa_system_vgpr_workitem_id 0
		.amdhsa_next_free_vgpr 13
		.amdhsa_next_free_sgpr 16
		.amdhsa_reserve_vcc 1
		.amdhsa_float_round_mode_32 0
		.amdhsa_float_round_mode_16_64 0
		.amdhsa_float_denorm_mode_32 3
		.amdhsa_float_denorm_mode_16_64 3
		.amdhsa_dx10_clamp 1
		.amdhsa_ieee_mode 1
		.amdhsa_fp16_overflow 0
		.amdhsa_workgroup_processor_mode 1
		.amdhsa_memory_ordered 1
		.amdhsa_forward_progress 0
		.amdhsa_shared_vgpr_count 0
		.amdhsa_exception_fp_ieee_invalid_op 0
		.amdhsa_exception_fp_denorm_src 0
		.amdhsa_exception_fp_ieee_div_zero 0
		.amdhsa_exception_fp_ieee_overflow 0
		.amdhsa_exception_fp_ieee_underflow 0
		.amdhsa_exception_fp_ieee_inexact 0
		.amdhsa_exception_int_div_zero 0
	.end_amdhsa_kernel
	.section	.text._Z37exclusive_scan_prefix_callback_kernelILj64ELN6hipcub18BlockScanAlgorithmE0ElEvPT1_S3_S2_,"axG",@progbits,_Z37exclusive_scan_prefix_callback_kernelILj64ELN6hipcub18BlockScanAlgorithmE0ElEvPT1_S3_S2_,comdat
.Lfunc_end132:
	.size	_Z37exclusive_scan_prefix_callback_kernelILj64ELN6hipcub18BlockScanAlgorithmE0ElEvPT1_S3_S2_, .Lfunc_end132-_Z37exclusive_scan_prefix_callback_kernelILj64ELN6hipcub18BlockScanAlgorithmE0ElEvPT1_S3_S2_
                                        ; -- End function
	.section	.AMDGPU.csdata,"",@progbits
; Kernel info:
; codeLenInByte = 948
; NumSgprs: 18
; NumVgprs: 13
; ScratchSize: 0
; MemoryBound: 0
; FloatMode: 240
; IeeeMode: 1
; LDSByteSize: 16 bytes/workgroup (compile time only)
; SGPRBlocks: 2
; VGPRBlocks: 1
; NumSGPRsForWavesPerEU: 18
; NumVGPRsForWavesPerEU: 13
; Occupancy: 16
; WaveLimiterHint : 0
; COMPUTE_PGM_RSRC2:SCRATCH_EN: 0
; COMPUTE_PGM_RSRC2:USER_SGPR: 15
; COMPUTE_PGM_RSRC2:TRAP_HANDLER: 0
; COMPUTE_PGM_RSRC2:TGID_X_EN: 1
; COMPUTE_PGM_RSRC2:TGID_Y_EN: 0
; COMPUTE_PGM_RSRC2:TGID_Z_EN: 0
; COMPUTE_PGM_RSRC2:TIDIG_COMP_CNT: 0
	.section	.text._Z37exclusive_scan_prefix_callback_kernelILj377ELN6hipcub18BlockScanAlgorithmE0EjEvPT1_S3_S2_,"axG",@progbits,_Z37exclusive_scan_prefix_callback_kernelILj377ELN6hipcub18BlockScanAlgorithmE0EjEvPT1_S3_S2_,comdat
	.protected	_Z37exclusive_scan_prefix_callback_kernelILj377ELN6hipcub18BlockScanAlgorithmE0EjEvPT1_S3_S2_ ; -- Begin function _Z37exclusive_scan_prefix_callback_kernelILj377ELN6hipcub18BlockScanAlgorithmE0EjEvPT1_S3_S2_
	.globl	_Z37exclusive_scan_prefix_callback_kernelILj377ELN6hipcub18BlockScanAlgorithmE0EjEvPT1_S3_S2_
	.p2align	8
	.type	_Z37exclusive_scan_prefix_callback_kernelILj377ELN6hipcub18BlockScanAlgorithmE0EjEvPT1_S3_S2_,@function
_Z37exclusive_scan_prefix_callback_kernelILj377ELN6hipcub18BlockScanAlgorithmE0EjEvPT1_S3_S2_: ; @_Z37exclusive_scan_prefix_callback_kernelILj377ELN6hipcub18BlockScanAlgorithmE0EjEvPT1_S3_S2_
; %bb.0:
	s_load_b128 s[4:7], s[0:1], 0x0
	s_mov_b32 s8, s15
	v_mbcnt_lo_u32_b32 v3, -1, 0
	v_mad_u64_u32 v[1:2], null, 0x179, s8, v[0:1]
	v_mov_b32_e32 v2, 0
	s_mov_b32 s9, exec_lo
	s_delay_alu instid0(VALU_DEP_3) | instskip(SKIP_1) | instid1(VALU_DEP_3)
	v_and_b32_e32 v5, 15, v3
	v_bfe_i32 v7, v3, 4, 1
	v_lshlrev_b64 v[1:2], 2, v[1:2]
	s_delay_alu instid0(VALU_DEP_3) | instskip(SKIP_2) | instid1(VALU_DEP_3)
	v_cmp_lt_u32_e64 s2, 1, v5
	v_cmp_lt_u32_e64 s3, 3, v5
	s_waitcnt lgkmcnt(0)
	v_add_co_u32 v1, vcc_lo, s4, v1
	s_delay_alu instid0(VALU_DEP_4)
	v_add_co_ci_u32_e32 v2, vcc_lo, s5, v2, vcc_lo
	v_cmp_eq_u32_e32 vcc_lo, 0, v5
	v_cmp_lt_u32_e64 s4, 7, v5
	global_load_b32 v4, v[1:2], off
	s_waitcnt vmcnt(0)
	v_mov_b32_dpp v6, v4 row_shr:1 row_mask:0xf bank_mask:0xf
	s_delay_alu instid0(VALU_DEP_1) | instskip(NEXT) | instid1(VALU_DEP_1)
	v_cndmask_b32_e64 v6, v6, 0, vcc_lo
	v_add_nc_u32_e32 v4, v6, v4
	s_delay_alu instid0(VALU_DEP_1) | instskip(NEXT) | instid1(VALU_DEP_1)
	v_mov_b32_dpp v6, v4 row_shr:2 row_mask:0xf bank_mask:0xf
	v_cndmask_b32_e64 v6, 0, v6, s2
	s_delay_alu instid0(VALU_DEP_1) | instskip(NEXT) | instid1(VALU_DEP_1)
	v_add_nc_u32_e32 v4, v4, v6
	v_mov_b32_dpp v6, v4 row_shr:4 row_mask:0xf bank_mask:0xf
	s_delay_alu instid0(VALU_DEP_1) | instskip(NEXT) | instid1(VALU_DEP_1)
	v_cndmask_b32_e64 v6, 0, v6, s3
	v_add_nc_u32_e32 v4, v4, v6
	s_delay_alu instid0(VALU_DEP_1) | instskip(NEXT) | instid1(VALU_DEP_1)
	v_mov_b32_dpp v6, v4 row_shr:8 row_mask:0xf bank_mask:0xf
	v_cndmask_b32_e64 v5, 0, v6, s4
	v_and_b32_e32 v6, 0x1e0, v0
	s_delay_alu instid0(VALU_DEP_2) | instskip(NEXT) | instid1(VALU_DEP_2)
	v_add_nc_u32_e32 v4, v4, v5
	v_min_u32_e32 v6, 0x159, v6
	ds_swizzle_b32 v5, v4 offset:swizzle(BROADCAST,32,15)
	v_add_nc_u32_e32 v6, 31, v6
	s_waitcnt lgkmcnt(0)
	v_and_b32_e32 v7, v7, v5
	v_lshrrev_b32_e32 v5, 5, v0
	s_delay_alu instid0(VALU_DEP_2)
	v_add_nc_u32_e32 v4, v4, v7
	v_cmpx_eq_u32_e64 v6, v0
	s_cbranch_execz .LBB133_2
; %bb.1:
	s_delay_alu instid0(VALU_DEP_3)
	v_lshlrev_b32_e32 v6, 2, v5
	ds_store_b32 v6, v4
.LBB133_2:
	s_or_b32 exec_lo, exec_lo, s9
	s_delay_alu instid0(SALU_CYCLE_1)
	s_mov_b32 s9, exec_lo
	s_waitcnt lgkmcnt(0)
	s_barrier
	buffer_gl0_inv
	v_cmpx_gt_u32_e32 12, v0
	s_cbranch_execz .LBB133_4
; %bb.3:
	v_lshlrev_b32_e32 v6, 2, v0
	ds_load_b32 v7, v6
	s_waitcnt lgkmcnt(0)
	v_mov_b32_dpp v8, v7 row_shr:1 row_mask:0xf bank_mask:0xf
	s_delay_alu instid0(VALU_DEP_1) | instskip(NEXT) | instid1(VALU_DEP_1)
	v_cndmask_b32_e64 v8, v8, 0, vcc_lo
	v_add_nc_u32_e32 v7, v8, v7
	s_delay_alu instid0(VALU_DEP_1) | instskip(NEXT) | instid1(VALU_DEP_1)
	v_mov_b32_dpp v8, v7 row_shr:2 row_mask:0xf bank_mask:0xf
	v_cndmask_b32_e64 v8, 0, v8, s2
	s_delay_alu instid0(VALU_DEP_1) | instskip(NEXT) | instid1(VALU_DEP_1)
	v_add_nc_u32_e32 v7, v7, v8
	v_mov_b32_dpp v8, v7 row_shr:4 row_mask:0xf bank_mask:0xf
	s_delay_alu instid0(VALU_DEP_1) | instskip(NEXT) | instid1(VALU_DEP_1)
	v_cndmask_b32_e64 v8, 0, v8, s3
	v_add_nc_u32_e32 v7, v7, v8
	s_delay_alu instid0(VALU_DEP_1) | instskip(NEXT) | instid1(VALU_DEP_1)
	v_mov_b32_dpp v8, v7 row_shr:8 row_mask:0xf bank_mask:0xf
	v_cndmask_b32_e64 v8, 0, v8, s4
	s_delay_alu instid0(VALU_DEP_1)
	v_add_nc_u32_e32 v7, v7, v8
	ds_store_b32 v6, v7
.LBB133_4:
	s_or_b32 exec_lo, exec_lo, s9
	v_cmp_gt_u32_e32 vcc_lo, 32, v0
	s_mov_b32 s3, exec_lo
	s_waitcnt lgkmcnt(0)
	s_barrier
	buffer_gl0_inv
                                        ; implicit-def: $vgpr6
	v_cmpx_lt_u32_e32 31, v0
	s_cbranch_execz .LBB133_6
; %bb.5:
	v_lshl_add_u32 v5, v5, 2, -4
	ds_load_b32 v6, v5
	s_waitcnt lgkmcnt(0)
	v_add_nc_u32_e32 v4, v6, v4
.LBB133_6:
	s_or_b32 exec_lo, exec_lo, s3
	s_load_b32 s0, s[0:1], 0x10
	v_add_nc_u32_e32 v5, -1, v3
	s_delay_alu instid0(VALU_DEP_1) | instskip(NEXT) | instid1(VALU_DEP_1)
	v_cmp_gt_i32_e64 s2, 0, v5
	v_cndmask_b32_e64 v5, v5, v3, s2
	s_delay_alu instid0(VALU_DEP_1)
	v_lshlrev_b32_e32 v5, 2, v5
	ds_bpermute_b32 v5, v5, v4
	s_waitcnt lgkmcnt(0)
	v_mov_b32_e32 v4, s0
	s_and_saveexec_b32 s1, vcc_lo
	s_cbranch_execz .LBB133_10
; %bb.7:
	v_mov_b32_e32 v7, 0
	s_mov_b32 s2, exec_lo
	ds_load_b32 v4, v7 offset:44
	v_cmpx_eq_u32_e32 0, v0
	s_cbranch_execz .LBB133_9
; %bb.8:
	v_mov_b32_e32 v8, s0
	ds_store_b32 v7, v8 offset:44
.LBB133_9:
	s_or_b32 exec_lo, exec_lo, s2
	s_waitcnt lgkmcnt(0)
	v_add_nc_u32_e32 v4, s0, v4
.LBB133_10:
	s_or_b32 exec_lo, exec_lo, s1
	v_cmp_eq_u32_e32 vcc_lo, 0, v3
	s_barrier
	buffer_gl0_inv
	v_cndmask_b32_e32 v3, v5, v6, vcc_lo
	v_cmp_eq_u32_e32 vcc_lo, 0, v0
	s_delay_alu instid0(VALU_DEP_2)
	v_cndmask_b32_e64 v0, v3, 0, vcc_lo
	v_mov_b32_e32 v7, 0
	ds_load_b32 v8, v7 offset:44
	s_waitcnt lgkmcnt(0)
	v_add_nc_u32_e32 v0, v8, v0
	global_store_b32 v[1:2], v0, off
	s_and_saveexec_b32 s0, vcc_lo
	s_cbranch_execz .LBB133_12
; %bb.11:
	s_mov_b32 s9, 0
	s_delay_alu instid0(SALU_CYCLE_1) | instskip(NEXT) | instid1(SALU_CYCLE_1)
	s_lshl_b64 s[0:1], s[8:9], 2
	s_add_u32 s0, s6, s0
	s_addc_u32 s1, s7, s1
	global_store_b32 v7, v4, s[0:1]
.LBB133_12:
	s_nop 0
	s_sendmsg sendmsg(MSG_DEALLOC_VGPRS)
	s_endpgm
	.section	.rodata,"a",@progbits
	.p2align	6, 0x0
	.amdhsa_kernel _Z37exclusive_scan_prefix_callback_kernelILj377ELN6hipcub18BlockScanAlgorithmE0EjEvPT1_S3_S2_
		.amdhsa_group_segment_fixed_size 48
		.amdhsa_private_segment_fixed_size 0
		.amdhsa_kernarg_size 20
		.amdhsa_user_sgpr_count 15
		.amdhsa_user_sgpr_dispatch_ptr 0
		.amdhsa_user_sgpr_queue_ptr 0
		.amdhsa_user_sgpr_kernarg_segment_ptr 1
		.amdhsa_user_sgpr_dispatch_id 0
		.amdhsa_user_sgpr_private_segment_size 0
		.amdhsa_wavefront_size32 1
		.amdhsa_uses_dynamic_stack 0
		.amdhsa_enable_private_segment 0
		.amdhsa_system_sgpr_workgroup_id_x 1
		.amdhsa_system_sgpr_workgroup_id_y 0
		.amdhsa_system_sgpr_workgroup_id_z 0
		.amdhsa_system_sgpr_workgroup_info 0
		.amdhsa_system_vgpr_workitem_id 0
		.amdhsa_next_free_vgpr 9
		.amdhsa_next_free_sgpr 16
		.amdhsa_reserve_vcc 1
		.amdhsa_float_round_mode_32 0
		.amdhsa_float_round_mode_16_64 0
		.amdhsa_float_denorm_mode_32 3
		.amdhsa_float_denorm_mode_16_64 3
		.amdhsa_dx10_clamp 1
		.amdhsa_ieee_mode 1
		.amdhsa_fp16_overflow 0
		.amdhsa_workgroup_processor_mode 1
		.amdhsa_memory_ordered 1
		.amdhsa_forward_progress 0
		.amdhsa_shared_vgpr_count 0
		.amdhsa_exception_fp_ieee_invalid_op 0
		.amdhsa_exception_fp_denorm_src 0
		.amdhsa_exception_fp_ieee_div_zero 0
		.amdhsa_exception_fp_ieee_overflow 0
		.amdhsa_exception_fp_ieee_underflow 0
		.amdhsa_exception_fp_ieee_inexact 0
		.amdhsa_exception_int_div_zero 0
	.end_amdhsa_kernel
	.section	.text._Z37exclusive_scan_prefix_callback_kernelILj377ELN6hipcub18BlockScanAlgorithmE0EjEvPT1_S3_S2_,"axG",@progbits,_Z37exclusive_scan_prefix_callback_kernelILj377ELN6hipcub18BlockScanAlgorithmE0EjEvPT1_S3_S2_,comdat
.Lfunc_end133:
	.size	_Z37exclusive_scan_prefix_callback_kernelILj377ELN6hipcub18BlockScanAlgorithmE0EjEvPT1_S3_S2_, .Lfunc_end133-_Z37exclusive_scan_prefix_callback_kernelILj377ELN6hipcub18BlockScanAlgorithmE0EjEvPT1_S3_S2_
                                        ; -- End function
	.section	.AMDGPU.csdata,"",@progbits
; Kernel info:
; codeLenInByte = 764
; NumSgprs: 18
; NumVgprs: 9
; ScratchSize: 0
; MemoryBound: 0
; FloatMode: 240
; IeeeMode: 1
; LDSByteSize: 48 bytes/workgroup (compile time only)
; SGPRBlocks: 2
; VGPRBlocks: 1
; NumSGPRsForWavesPerEU: 18
; NumVGPRsForWavesPerEU: 9
; Occupancy: 15
; WaveLimiterHint : 0
; COMPUTE_PGM_RSRC2:SCRATCH_EN: 0
; COMPUTE_PGM_RSRC2:USER_SGPR: 15
; COMPUTE_PGM_RSRC2:TRAP_HANDLER: 0
; COMPUTE_PGM_RSRC2:TGID_X_EN: 1
; COMPUTE_PGM_RSRC2:TGID_Y_EN: 0
; COMPUTE_PGM_RSRC2:TGID_Z_EN: 0
; COMPUTE_PGM_RSRC2:TIDIG_COMP_CNT: 0
	.section	.text._Z37exclusive_scan_prefix_callback_kernelILj256ELN6hipcub18BlockScanAlgorithmE0EjEvPT1_S3_S2_,"axG",@progbits,_Z37exclusive_scan_prefix_callback_kernelILj256ELN6hipcub18BlockScanAlgorithmE0EjEvPT1_S3_S2_,comdat
	.protected	_Z37exclusive_scan_prefix_callback_kernelILj256ELN6hipcub18BlockScanAlgorithmE0EjEvPT1_S3_S2_ ; -- Begin function _Z37exclusive_scan_prefix_callback_kernelILj256ELN6hipcub18BlockScanAlgorithmE0EjEvPT1_S3_S2_
	.globl	_Z37exclusive_scan_prefix_callback_kernelILj256ELN6hipcub18BlockScanAlgorithmE0EjEvPT1_S3_S2_
	.p2align	8
	.type	_Z37exclusive_scan_prefix_callback_kernelILj256ELN6hipcub18BlockScanAlgorithmE0EjEvPT1_S3_S2_,@function
_Z37exclusive_scan_prefix_callback_kernelILj256ELN6hipcub18BlockScanAlgorithmE0EjEvPT1_S3_S2_: ; @_Z37exclusive_scan_prefix_callback_kernelILj256ELN6hipcub18BlockScanAlgorithmE0EjEvPT1_S3_S2_
; %bb.0:
	s_load_b128 s[4:7], s[0:1], 0x0
	s_mov_b32 s8, s15
	v_mbcnt_lo_u32_b32 v3, -1, 0
	v_mov_b32_e32 v2, 0
	v_lshl_or_b32 v1, s8, 8, v0
	v_or_b32_e32 v7, 31, v0
	s_mov_b32 s2, exec_lo
	v_and_b32_e32 v5, 15, v3
	s_delay_alu instid0(VALU_DEP_3) | instskip(SKIP_1) | instid1(VALU_DEP_1)
	v_lshlrev_b64 v[1:2], 2, v[1:2]
	s_waitcnt lgkmcnt(0)
	v_add_co_u32 v1, vcc_lo, s4, v1
	s_delay_alu instid0(VALU_DEP_2) | instskip(SKIP_4) | instid1(VALU_DEP_1)
	v_add_co_ci_u32_e32 v2, vcc_lo, s5, v2, vcc_lo
	v_cmp_ne_u32_e32 vcc_lo, 0, v5
	global_load_b32 v4, v[1:2], off
	s_waitcnt vmcnt(0)
	v_mov_b32_dpp v6, v4 row_shr:1 row_mask:0xf bank_mask:0xf
	v_cndmask_b32_e32 v6, 0, v6, vcc_lo
	v_cmp_lt_u32_e32 vcc_lo, 1, v5
	s_delay_alu instid0(VALU_DEP_2) | instskip(NEXT) | instid1(VALU_DEP_1)
	v_add_nc_u32_e32 v4, v6, v4
	v_mov_b32_dpp v6, v4 row_shr:2 row_mask:0xf bank_mask:0xf
	s_delay_alu instid0(VALU_DEP_1) | instskip(SKIP_1) | instid1(VALU_DEP_2)
	v_cndmask_b32_e32 v6, 0, v6, vcc_lo
	v_cmp_lt_u32_e32 vcc_lo, 3, v5
	v_add_nc_u32_e32 v4, v4, v6
	s_delay_alu instid0(VALU_DEP_1) | instskip(NEXT) | instid1(VALU_DEP_1)
	v_mov_b32_dpp v6, v4 row_shr:4 row_mask:0xf bank_mask:0xf
	v_cndmask_b32_e32 v6, 0, v6, vcc_lo
	v_cmp_lt_u32_e32 vcc_lo, 7, v5
	s_delay_alu instid0(VALU_DEP_2) | instskip(NEXT) | instid1(VALU_DEP_1)
	v_add_nc_u32_e32 v4, v4, v6
	v_mov_b32_dpp v6, v4 row_shr:8 row_mask:0xf bank_mask:0xf
	s_delay_alu instid0(VALU_DEP_1) | instskip(SKIP_1) | instid1(VALU_DEP_2)
	v_cndmask_b32_e32 v5, 0, v6, vcc_lo
	v_bfe_i32 v6, v3, 4, 1
	v_add_nc_u32_e32 v4, v4, v5
	ds_swizzle_b32 v5, v4 offset:swizzle(BROADCAST,32,15)
	s_waitcnt lgkmcnt(0)
	v_and_b32_e32 v6, v6, v5
	v_lshrrev_b32_e32 v5, 5, v0
	s_delay_alu instid0(VALU_DEP_2)
	v_add_nc_u32_e32 v4, v4, v6
	v_cmpx_eq_u32_e64 v7, v0
	s_cbranch_execz .LBB134_2
; %bb.1:
	s_delay_alu instid0(VALU_DEP_3)
	v_lshlrev_b32_e32 v6, 2, v5
	ds_store_b32 v6, v4
.LBB134_2:
	s_or_b32 exec_lo, exec_lo, s2
	s_delay_alu instid0(SALU_CYCLE_1)
	s_mov_b32 s2, exec_lo
	s_waitcnt lgkmcnt(0)
	s_barrier
	buffer_gl0_inv
	v_cmpx_gt_u32_e32 8, v0
	s_cbranch_execz .LBB134_4
; %bb.3:
	v_and_b32_e32 v8, 7, v3
	s_delay_alu instid0(VALU_DEP_1) | instskip(SKIP_4) | instid1(VALU_DEP_1)
	v_cmp_ne_u32_e32 vcc_lo, 0, v8
	v_lshlrev_b32_e32 v6, 2, v0
	ds_load_b32 v7, v6
	s_waitcnt lgkmcnt(0)
	v_mov_b32_dpp v9, v7 row_shr:1 row_mask:0xf bank_mask:0xf
	v_cndmask_b32_e32 v9, 0, v9, vcc_lo
	v_cmp_lt_u32_e32 vcc_lo, 1, v8
	s_delay_alu instid0(VALU_DEP_2) | instskip(NEXT) | instid1(VALU_DEP_1)
	v_add_nc_u32_e32 v7, v9, v7
	v_mov_b32_dpp v9, v7 row_shr:2 row_mask:0xf bank_mask:0xf
	s_delay_alu instid0(VALU_DEP_1) | instskip(SKIP_1) | instid1(VALU_DEP_2)
	v_cndmask_b32_e32 v9, 0, v9, vcc_lo
	v_cmp_lt_u32_e32 vcc_lo, 3, v8
	v_add_nc_u32_e32 v7, v7, v9
	s_delay_alu instid0(VALU_DEP_1) | instskip(NEXT) | instid1(VALU_DEP_1)
	v_mov_b32_dpp v9, v7 row_shr:4 row_mask:0xf bank_mask:0xf
	v_cndmask_b32_e32 v8, 0, v9, vcc_lo
	s_delay_alu instid0(VALU_DEP_1)
	v_add_nc_u32_e32 v7, v7, v8
	ds_store_b32 v6, v7
.LBB134_4:
	s_or_b32 exec_lo, exec_lo, s2
	v_cmp_gt_u32_e32 vcc_lo, 32, v0
	s_mov_b32 s3, exec_lo
	s_waitcnt lgkmcnt(0)
	s_barrier
	buffer_gl0_inv
                                        ; implicit-def: $vgpr6
	v_cmpx_lt_u32_e32 31, v0
	s_cbranch_execz .LBB134_6
; %bb.5:
	v_lshl_add_u32 v5, v5, 2, -4
	ds_load_b32 v6, v5
	s_waitcnt lgkmcnt(0)
	v_add_nc_u32_e32 v4, v6, v4
.LBB134_6:
	s_or_b32 exec_lo, exec_lo, s3
	s_load_b32 s0, s[0:1], 0x10
	v_add_nc_u32_e32 v5, -1, v3
	s_delay_alu instid0(VALU_DEP_1) | instskip(NEXT) | instid1(VALU_DEP_1)
	v_cmp_gt_i32_e64 s2, 0, v5
	v_cndmask_b32_e64 v5, v5, v3, s2
	s_delay_alu instid0(VALU_DEP_1)
	v_lshlrev_b32_e32 v5, 2, v5
	ds_bpermute_b32 v5, v5, v4
	s_waitcnt lgkmcnt(0)
	v_mov_b32_e32 v4, s0
	s_and_saveexec_b32 s1, vcc_lo
	s_cbranch_execz .LBB134_10
; %bb.7:
	v_mov_b32_e32 v7, 0
	s_mov_b32 s2, exec_lo
	ds_load_b32 v4, v7 offset:28
	v_cmpx_eq_u32_e32 0, v0
	s_cbranch_execz .LBB134_9
; %bb.8:
	v_mov_b32_e32 v8, s0
	ds_store_b32 v7, v8 offset:28
.LBB134_9:
	s_or_b32 exec_lo, exec_lo, s2
	s_waitcnt lgkmcnt(0)
	v_add_nc_u32_e32 v4, s0, v4
.LBB134_10:
	s_or_b32 exec_lo, exec_lo, s1
	v_cmp_eq_u32_e32 vcc_lo, 0, v3
	s_barrier
	buffer_gl0_inv
	v_cndmask_b32_e32 v3, v5, v6, vcc_lo
	v_cmp_eq_u32_e32 vcc_lo, 0, v0
	s_delay_alu instid0(VALU_DEP_2)
	v_cndmask_b32_e64 v0, v3, 0, vcc_lo
	v_mov_b32_e32 v7, 0
	ds_load_b32 v8, v7 offset:28
	s_waitcnt lgkmcnt(0)
	v_add_nc_u32_e32 v0, v8, v0
	global_store_b32 v[1:2], v0, off
	s_and_saveexec_b32 s0, vcc_lo
	s_cbranch_execz .LBB134_12
; %bb.11:
	s_mov_b32 s9, 0
	s_delay_alu instid0(SALU_CYCLE_1) | instskip(NEXT) | instid1(SALU_CYCLE_1)
	s_lshl_b64 s[0:1], s[8:9], 2
	s_add_u32 s0, s6, s0
	s_addc_u32 s1, s7, s1
	global_store_b32 v7, v4, s[0:1]
.LBB134_12:
	s_nop 0
	s_sendmsg sendmsg(MSG_DEALLOC_VGPRS)
	s_endpgm
	.section	.rodata,"a",@progbits
	.p2align	6, 0x0
	.amdhsa_kernel _Z37exclusive_scan_prefix_callback_kernelILj256ELN6hipcub18BlockScanAlgorithmE0EjEvPT1_S3_S2_
		.amdhsa_group_segment_fixed_size 32
		.amdhsa_private_segment_fixed_size 0
		.amdhsa_kernarg_size 20
		.amdhsa_user_sgpr_count 15
		.amdhsa_user_sgpr_dispatch_ptr 0
		.amdhsa_user_sgpr_queue_ptr 0
		.amdhsa_user_sgpr_kernarg_segment_ptr 1
		.amdhsa_user_sgpr_dispatch_id 0
		.amdhsa_user_sgpr_private_segment_size 0
		.amdhsa_wavefront_size32 1
		.amdhsa_uses_dynamic_stack 0
		.amdhsa_enable_private_segment 0
		.amdhsa_system_sgpr_workgroup_id_x 1
		.amdhsa_system_sgpr_workgroup_id_y 0
		.amdhsa_system_sgpr_workgroup_id_z 0
		.amdhsa_system_sgpr_workgroup_info 0
		.amdhsa_system_vgpr_workitem_id 0
		.amdhsa_next_free_vgpr 10
		.amdhsa_next_free_sgpr 16
		.amdhsa_reserve_vcc 1
		.amdhsa_float_round_mode_32 0
		.amdhsa_float_round_mode_16_64 0
		.amdhsa_float_denorm_mode_32 3
		.amdhsa_float_denorm_mode_16_64 3
		.amdhsa_dx10_clamp 1
		.amdhsa_ieee_mode 1
		.amdhsa_fp16_overflow 0
		.amdhsa_workgroup_processor_mode 1
		.amdhsa_memory_ordered 1
		.amdhsa_forward_progress 0
		.amdhsa_shared_vgpr_count 0
		.amdhsa_exception_fp_ieee_invalid_op 0
		.amdhsa_exception_fp_denorm_src 0
		.amdhsa_exception_fp_ieee_div_zero 0
		.amdhsa_exception_fp_ieee_overflow 0
		.amdhsa_exception_fp_ieee_underflow 0
		.amdhsa_exception_fp_ieee_inexact 0
		.amdhsa_exception_int_div_zero 0
	.end_amdhsa_kernel
	.section	.text._Z37exclusive_scan_prefix_callback_kernelILj256ELN6hipcub18BlockScanAlgorithmE0EjEvPT1_S3_S2_,"axG",@progbits,_Z37exclusive_scan_prefix_callback_kernelILj256ELN6hipcub18BlockScanAlgorithmE0EjEvPT1_S3_S2_,comdat
.Lfunc_end134:
	.size	_Z37exclusive_scan_prefix_callback_kernelILj256ELN6hipcub18BlockScanAlgorithmE0EjEvPT1_S3_S2_, .Lfunc_end134-_Z37exclusive_scan_prefix_callback_kernelILj256ELN6hipcub18BlockScanAlgorithmE0EjEvPT1_S3_S2_
                                        ; -- End function
	.section	.AMDGPU.csdata,"",@progbits
; Kernel info:
; codeLenInByte = 688
; NumSgprs: 18
; NumVgprs: 10
; ScratchSize: 0
; MemoryBound: 0
; FloatMode: 240
; IeeeMode: 1
; LDSByteSize: 32 bytes/workgroup (compile time only)
; SGPRBlocks: 2
; VGPRBlocks: 1
; NumSGPRsForWavesPerEU: 18
; NumVGPRsForWavesPerEU: 10
; Occupancy: 16
; WaveLimiterHint : 0
; COMPUTE_PGM_RSRC2:SCRATCH_EN: 0
; COMPUTE_PGM_RSRC2:USER_SGPR: 15
; COMPUTE_PGM_RSRC2:TRAP_HANDLER: 0
; COMPUTE_PGM_RSRC2:TGID_X_EN: 1
; COMPUTE_PGM_RSRC2:TGID_Y_EN: 0
; COMPUTE_PGM_RSRC2:TGID_Z_EN: 0
; COMPUTE_PGM_RSRC2:TIDIG_COMP_CNT: 0
	.section	.text._Z37exclusive_scan_prefix_callback_kernelILj64ELN6hipcub18BlockScanAlgorithmE0EjEvPT1_S3_S2_,"axG",@progbits,_Z37exclusive_scan_prefix_callback_kernelILj64ELN6hipcub18BlockScanAlgorithmE0EjEvPT1_S3_S2_,comdat
	.protected	_Z37exclusive_scan_prefix_callback_kernelILj64ELN6hipcub18BlockScanAlgorithmE0EjEvPT1_S3_S2_ ; -- Begin function _Z37exclusive_scan_prefix_callback_kernelILj64ELN6hipcub18BlockScanAlgorithmE0EjEvPT1_S3_S2_
	.globl	_Z37exclusive_scan_prefix_callback_kernelILj64ELN6hipcub18BlockScanAlgorithmE0EjEvPT1_S3_S2_
	.p2align	8
	.type	_Z37exclusive_scan_prefix_callback_kernelILj64ELN6hipcub18BlockScanAlgorithmE0EjEvPT1_S3_S2_,@function
_Z37exclusive_scan_prefix_callback_kernelILj64ELN6hipcub18BlockScanAlgorithmE0EjEvPT1_S3_S2_: ; @_Z37exclusive_scan_prefix_callback_kernelILj64ELN6hipcub18BlockScanAlgorithmE0EjEvPT1_S3_S2_
; %bb.0:
	s_load_b128 s[4:7], s[0:1], 0x0
	s_mov_b32 s8, s15
	v_mbcnt_lo_u32_b32 v3, -1, 0
	v_mov_b32_e32 v2, 0
	v_lshl_or_b32 v1, s8, 6, v0
	v_or_b32_e32 v7, 31, v0
	s_mov_b32 s2, exec_lo
	v_and_b32_e32 v5, 15, v3
	s_delay_alu instid0(VALU_DEP_3) | instskip(SKIP_1) | instid1(VALU_DEP_1)
	v_lshlrev_b64 v[1:2], 2, v[1:2]
	s_waitcnt lgkmcnt(0)
	v_add_co_u32 v1, vcc_lo, s4, v1
	s_delay_alu instid0(VALU_DEP_2) | instskip(SKIP_4) | instid1(VALU_DEP_1)
	v_add_co_ci_u32_e32 v2, vcc_lo, s5, v2, vcc_lo
	v_cmp_ne_u32_e32 vcc_lo, 0, v5
	global_load_b32 v4, v[1:2], off
	s_waitcnt vmcnt(0)
	v_mov_b32_dpp v6, v4 row_shr:1 row_mask:0xf bank_mask:0xf
	v_cndmask_b32_e32 v6, 0, v6, vcc_lo
	v_cmp_lt_u32_e32 vcc_lo, 1, v5
	s_delay_alu instid0(VALU_DEP_2) | instskip(NEXT) | instid1(VALU_DEP_1)
	v_add_nc_u32_e32 v4, v6, v4
	v_mov_b32_dpp v6, v4 row_shr:2 row_mask:0xf bank_mask:0xf
	s_delay_alu instid0(VALU_DEP_1) | instskip(SKIP_1) | instid1(VALU_DEP_2)
	v_cndmask_b32_e32 v6, 0, v6, vcc_lo
	v_cmp_lt_u32_e32 vcc_lo, 3, v5
	v_add_nc_u32_e32 v4, v4, v6
	s_delay_alu instid0(VALU_DEP_1) | instskip(NEXT) | instid1(VALU_DEP_1)
	v_mov_b32_dpp v6, v4 row_shr:4 row_mask:0xf bank_mask:0xf
	v_cndmask_b32_e32 v6, 0, v6, vcc_lo
	v_cmp_lt_u32_e32 vcc_lo, 7, v5
	s_delay_alu instid0(VALU_DEP_2) | instskip(NEXT) | instid1(VALU_DEP_1)
	v_add_nc_u32_e32 v4, v4, v6
	v_mov_b32_dpp v6, v4 row_shr:8 row_mask:0xf bank_mask:0xf
	s_delay_alu instid0(VALU_DEP_1) | instskip(SKIP_1) | instid1(VALU_DEP_2)
	v_cndmask_b32_e32 v5, 0, v6, vcc_lo
	v_bfe_i32 v6, v3, 4, 1
	v_add_nc_u32_e32 v4, v4, v5
	ds_swizzle_b32 v5, v4 offset:swizzle(BROADCAST,32,15)
	s_waitcnt lgkmcnt(0)
	v_and_b32_e32 v5, v6, v5
	v_lshrrev_b32_e32 v6, 5, v0
	s_delay_alu instid0(VALU_DEP_2)
	v_add_nc_u32_e32 v4, v4, v5
	v_cmpx_eq_u32_e64 v7, v0
	s_cbranch_execz .LBB135_2
; %bb.1:
	s_delay_alu instid0(VALU_DEP_3)
	v_lshlrev_b32_e32 v5, 2, v6
	ds_store_b32 v5, v4
.LBB135_2:
	s_or_b32 exec_lo, exec_lo, s2
	s_delay_alu instid0(SALU_CYCLE_1)
	s_mov_b32 s2, exec_lo
	s_waitcnt lgkmcnt(0)
	s_barrier
	buffer_gl0_inv
	v_cmpx_gt_u32_e32 2, v0
	s_cbranch_execz .LBB135_4
; %bb.3:
	v_lshlrev_b32_e32 v5, 2, v0
	v_bfe_i32 v8, v3, 0, 1
	ds_load_b32 v7, v5
	s_waitcnt lgkmcnt(0)
	v_mov_b32_dpp v9, v7 row_shr:1 row_mask:0xf bank_mask:0xf
	s_delay_alu instid0(VALU_DEP_1) | instskip(NEXT) | instid1(VALU_DEP_1)
	v_and_b32_e32 v8, v8, v9
	v_add_nc_u32_e32 v7, v8, v7
	ds_store_b32 v5, v7
.LBB135_4:
	s_or_b32 exec_lo, exec_lo, s2
	v_cmp_gt_u32_e32 vcc_lo, 32, v0
	s_mov_b32 s3, exec_lo
	s_waitcnt lgkmcnt(0)
	s_barrier
	buffer_gl0_inv
                                        ; implicit-def: $vgpr5
	v_cmpx_lt_u32_e32 31, v0
	s_cbranch_execz .LBB135_6
; %bb.5:
	v_lshl_add_u32 v5, v6, 2, -4
	ds_load_b32 v5, v5
	s_waitcnt lgkmcnt(0)
	v_add_nc_u32_e32 v4, v5, v4
.LBB135_6:
	s_or_b32 exec_lo, exec_lo, s3
	v_add_nc_u32_e32 v6, -1, v3
	s_load_b32 s0, s[0:1], 0x10
	s_delay_alu instid0(VALU_DEP_1) | instskip(NEXT) | instid1(VALU_DEP_1)
	v_cmp_gt_i32_e64 s2, 0, v6
	v_cndmask_b32_e64 v6, v6, v3, s2
	s_delay_alu instid0(VALU_DEP_1)
	v_lshlrev_b32_e32 v6, 2, v6
	ds_bpermute_b32 v6, v6, v4
	s_waitcnt lgkmcnt(0)
	v_mov_b32_e32 v4, s0
	s_and_saveexec_b32 s1, vcc_lo
	s_cbranch_execz .LBB135_10
; %bb.7:
	v_mov_b32_e32 v7, 0
	s_mov_b32 s2, exec_lo
	ds_load_b32 v4, v7 offset:4
	v_cmpx_eq_u32_e32 0, v0
	s_cbranch_execz .LBB135_9
; %bb.8:
	v_mov_b32_e32 v8, s0
	ds_store_b32 v7, v8 offset:4
.LBB135_9:
	s_or_b32 exec_lo, exec_lo, s2
	s_waitcnt lgkmcnt(0)
	v_add_nc_u32_e32 v4, s0, v4
.LBB135_10:
	s_or_b32 exec_lo, exec_lo, s1
	v_cmp_eq_u32_e32 vcc_lo, 0, v3
	s_barrier
	buffer_gl0_inv
	v_cndmask_b32_e32 v3, v6, v5, vcc_lo
	v_cmp_eq_u32_e32 vcc_lo, 0, v0
	s_delay_alu instid0(VALU_DEP_2)
	v_cndmask_b32_e64 v0, v3, 0, vcc_lo
	v_mov_b32_e32 v7, 0
	ds_load_b32 v8, v7 offset:4
	s_waitcnt lgkmcnt(0)
	v_add_nc_u32_e32 v0, v8, v0
	global_store_b32 v[1:2], v0, off
	s_and_saveexec_b32 s0, vcc_lo
	s_cbranch_execz .LBB135_12
; %bb.11:
	s_mov_b32 s9, 0
	s_delay_alu instid0(SALU_CYCLE_1) | instskip(NEXT) | instid1(SALU_CYCLE_1)
	s_lshl_b64 s[0:1], s[8:9], 2
	s_add_u32 s0, s6, s0
	s_addc_u32 s1, s7, s1
	global_store_b32 v7, v4, s[0:1]
.LBB135_12:
	s_nop 0
	s_sendmsg sendmsg(MSG_DEALLOC_VGPRS)
	s_endpgm
	.section	.rodata,"a",@progbits
	.p2align	6, 0x0
	.amdhsa_kernel _Z37exclusive_scan_prefix_callback_kernelILj64ELN6hipcub18BlockScanAlgorithmE0EjEvPT1_S3_S2_
		.amdhsa_group_segment_fixed_size 8
		.amdhsa_private_segment_fixed_size 0
		.amdhsa_kernarg_size 20
		.amdhsa_user_sgpr_count 15
		.amdhsa_user_sgpr_dispatch_ptr 0
		.amdhsa_user_sgpr_queue_ptr 0
		.amdhsa_user_sgpr_kernarg_segment_ptr 1
		.amdhsa_user_sgpr_dispatch_id 0
		.amdhsa_user_sgpr_private_segment_size 0
		.amdhsa_wavefront_size32 1
		.amdhsa_uses_dynamic_stack 0
		.amdhsa_enable_private_segment 0
		.amdhsa_system_sgpr_workgroup_id_x 1
		.amdhsa_system_sgpr_workgroup_id_y 0
		.amdhsa_system_sgpr_workgroup_id_z 0
		.amdhsa_system_sgpr_workgroup_info 0
		.amdhsa_system_vgpr_workitem_id 0
		.amdhsa_next_free_vgpr 10
		.amdhsa_next_free_sgpr 16
		.amdhsa_reserve_vcc 1
		.amdhsa_float_round_mode_32 0
		.amdhsa_float_round_mode_16_64 0
		.amdhsa_float_denorm_mode_32 3
		.amdhsa_float_denorm_mode_16_64 3
		.amdhsa_dx10_clamp 1
		.amdhsa_ieee_mode 1
		.amdhsa_fp16_overflow 0
		.amdhsa_workgroup_processor_mode 1
		.amdhsa_memory_ordered 1
		.amdhsa_forward_progress 0
		.amdhsa_shared_vgpr_count 0
		.amdhsa_exception_fp_ieee_invalid_op 0
		.amdhsa_exception_fp_denorm_src 0
		.amdhsa_exception_fp_ieee_div_zero 0
		.amdhsa_exception_fp_ieee_overflow 0
		.amdhsa_exception_fp_ieee_underflow 0
		.amdhsa_exception_fp_ieee_inexact 0
		.amdhsa_exception_int_div_zero 0
	.end_amdhsa_kernel
	.section	.text._Z37exclusive_scan_prefix_callback_kernelILj64ELN6hipcub18BlockScanAlgorithmE0EjEvPT1_S3_S2_,"axG",@progbits,_Z37exclusive_scan_prefix_callback_kernelILj64ELN6hipcub18BlockScanAlgorithmE0EjEvPT1_S3_S2_,comdat
.Lfunc_end135:
	.size	_Z37exclusive_scan_prefix_callback_kernelILj64ELN6hipcub18BlockScanAlgorithmE0EjEvPT1_S3_S2_, .Lfunc_end135-_Z37exclusive_scan_prefix_callback_kernelILj64ELN6hipcub18BlockScanAlgorithmE0EjEvPT1_S3_S2_
                                        ; -- End function
	.section	.AMDGPU.csdata,"",@progbits
; Kernel info:
; codeLenInByte = 632
; NumSgprs: 18
; NumVgprs: 10
; ScratchSize: 0
; MemoryBound: 0
; FloatMode: 240
; IeeeMode: 1
; LDSByteSize: 8 bytes/workgroup (compile time only)
; SGPRBlocks: 2
; VGPRBlocks: 1
; NumSGPRsForWavesPerEU: 18
; NumVGPRsForWavesPerEU: 10
; Occupancy: 16
; WaveLimiterHint : 0
; COMPUTE_PGM_RSRC2:SCRATCH_EN: 0
; COMPUTE_PGM_RSRC2:USER_SGPR: 15
; COMPUTE_PGM_RSRC2:TRAP_HANDLER: 0
; COMPUTE_PGM_RSRC2:TGID_X_EN: 1
; COMPUTE_PGM_RSRC2:TGID_Y_EN: 0
; COMPUTE_PGM_RSRC2:TGID_Z_EN: 0
; COMPUTE_PGM_RSRC2:TIDIG_COMP_CNT: 0
	.section	.text._Z37exclusive_scan_prefix_callback_kernelILj255ELN6hipcub18BlockScanAlgorithmE0EiEvPT1_S3_S2_,"axG",@progbits,_Z37exclusive_scan_prefix_callback_kernelILj255ELN6hipcub18BlockScanAlgorithmE0EiEvPT1_S3_S2_,comdat
	.protected	_Z37exclusive_scan_prefix_callback_kernelILj255ELN6hipcub18BlockScanAlgorithmE0EiEvPT1_S3_S2_ ; -- Begin function _Z37exclusive_scan_prefix_callback_kernelILj255ELN6hipcub18BlockScanAlgorithmE0EiEvPT1_S3_S2_
	.globl	_Z37exclusive_scan_prefix_callback_kernelILj255ELN6hipcub18BlockScanAlgorithmE0EiEvPT1_S3_S2_
	.p2align	8
	.type	_Z37exclusive_scan_prefix_callback_kernelILj255ELN6hipcub18BlockScanAlgorithmE0EiEvPT1_S3_S2_,@function
_Z37exclusive_scan_prefix_callback_kernelILj255ELN6hipcub18BlockScanAlgorithmE0EiEvPT1_S3_S2_: ; @_Z37exclusive_scan_prefix_callback_kernelILj255ELN6hipcub18BlockScanAlgorithmE0EiEvPT1_S3_S2_
; %bb.0:
	s_load_b128 s[4:7], s[0:1], 0x0
	s_mov_b32 s8, s15
	v_mbcnt_lo_u32_b32 v3, -1, 0
	v_mad_u64_u32 v[1:2], null, 0xff, s8, v[0:1]
	v_mov_b32_e32 v2, 0
	s_mov_b32 s2, exec_lo
	s_delay_alu instid0(VALU_DEP_3) | instskip(SKIP_1) | instid1(VALU_DEP_3)
	v_and_b32_e32 v5, 15, v3
	v_bfe_i32 v7, v3, 4, 1
	v_lshlrev_b64 v[1:2], 2, v[1:2]
	s_waitcnt lgkmcnt(0)
	s_delay_alu instid0(VALU_DEP_1) | instskip(NEXT) | instid1(VALU_DEP_2)
	v_add_co_u32 v1, vcc_lo, s4, v1
	v_add_co_ci_u32_e32 v2, vcc_lo, s5, v2, vcc_lo
	v_cmp_ne_u32_e32 vcc_lo, 0, v5
	global_load_b32 v4, v[1:2], off
	s_waitcnt vmcnt(0)
	v_mov_b32_dpp v6, v4 row_shr:1 row_mask:0xf bank_mask:0xf
	s_delay_alu instid0(VALU_DEP_1) | instskip(SKIP_1) | instid1(VALU_DEP_2)
	v_cndmask_b32_e32 v6, 0, v6, vcc_lo
	v_cmp_lt_u32_e32 vcc_lo, 1, v5
	v_add_nc_u32_e32 v4, v6, v4
	s_delay_alu instid0(VALU_DEP_1) | instskip(NEXT) | instid1(VALU_DEP_1)
	v_mov_b32_dpp v6, v4 row_shr:2 row_mask:0xf bank_mask:0xf
	v_cndmask_b32_e32 v6, 0, v6, vcc_lo
	v_cmp_lt_u32_e32 vcc_lo, 3, v5
	s_delay_alu instid0(VALU_DEP_2) | instskip(NEXT) | instid1(VALU_DEP_1)
	v_add_nc_u32_e32 v4, v4, v6
	v_mov_b32_dpp v6, v4 row_shr:4 row_mask:0xf bank_mask:0xf
	s_delay_alu instid0(VALU_DEP_1) | instskip(SKIP_1) | instid1(VALU_DEP_2)
	v_cndmask_b32_e32 v6, 0, v6, vcc_lo
	v_cmp_lt_u32_e32 vcc_lo, 7, v5
	v_add_nc_u32_e32 v4, v4, v6
	s_delay_alu instid0(VALU_DEP_1) | instskip(NEXT) | instid1(VALU_DEP_1)
	v_mov_b32_dpp v6, v4 row_shr:8 row_mask:0xf bank_mask:0xf
	v_dual_cndmask_b32 v5, 0, v6 :: v_dual_and_b32 v6, 0xe0, v0
	s_delay_alu instid0(VALU_DEP_1) | instskip(NEXT) | instid1(VALU_DEP_2)
	v_add_nc_u32_e32 v4, v4, v5
	v_min_u32_e32 v6, 0xdf, v6
	ds_swizzle_b32 v5, v4 offset:swizzle(BROADCAST,32,15)
	v_add_nc_u32_e32 v6, 31, v6
	s_waitcnt lgkmcnt(0)
	v_and_b32_e32 v7, v7, v5
	v_lshrrev_b32_e32 v5, 5, v0
	s_delay_alu instid0(VALU_DEP_2)
	v_add_nc_u32_e32 v4, v4, v7
	v_cmpx_eq_u32_e64 v6, v0
	s_cbranch_execz .LBB136_2
; %bb.1:
	s_delay_alu instid0(VALU_DEP_3)
	v_lshlrev_b32_e32 v6, 2, v5
	ds_store_b32 v6, v4
.LBB136_2:
	s_or_b32 exec_lo, exec_lo, s2
	s_delay_alu instid0(SALU_CYCLE_1)
	s_mov_b32 s2, exec_lo
	s_waitcnt lgkmcnt(0)
	s_barrier
	buffer_gl0_inv
	v_cmpx_gt_u32_e32 8, v0
	s_cbranch_execz .LBB136_4
; %bb.3:
	v_and_b32_e32 v8, 7, v3
	s_delay_alu instid0(VALU_DEP_1) | instskip(SKIP_4) | instid1(VALU_DEP_1)
	v_cmp_ne_u32_e32 vcc_lo, 0, v8
	v_lshlrev_b32_e32 v6, 2, v0
	ds_load_b32 v7, v6
	s_waitcnt lgkmcnt(0)
	v_mov_b32_dpp v9, v7 row_shr:1 row_mask:0xf bank_mask:0xf
	v_cndmask_b32_e32 v9, 0, v9, vcc_lo
	v_cmp_lt_u32_e32 vcc_lo, 1, v8
	s_delay_alu instid0(VALU_DEP_2) | instskip(NEXT) | instid1(VALU_DEP_1)
	v_add_nc_u32_e32 v7, v9, v7
	v_mov_b32_dpp v9, v7 row_shr:2 row_mask:0xf bank_mask:0xf
	s_delay_alu instid0(VALU_DEP_1) | instskip(SKIP_1) | instid1(VALU_DEP_2)
	v_cndmask_b32_e32 v9, 0, v9, vcc_lo
	v_cmp_lt_u32_e32 vcc_lo, 3, v8
	v_add_nc_u32_e32 v7, v7, v9
	s_delay_alu instid0(VALU_DEP_1) | instskip(NEXT) | instid1(VALU_DEP_1)
	v_mov_b32_dpp v9, v7 row_shr:4 row_mask:0xf bank_mask:0xf
	v_cndmask_b32_e32 v8, 0, v9, vcc_lo
	s_delay_alu instid0(VALU_DEP_1)
	v_add_nc_u32_e32 v7, v7, v8
	ds_store_b32 v6, v7
.LBB136_4:
	s_or_b32 exec_lo, exec_lo, s2
	v_cmp_gt_u32_e32 vcc_lo, 32, v0
	s_mov_b32 s3, exec_lo
	s_waitcnt lgkmcnt(0)
	s_barrier
	buffer_gl0_inv
                                        ; implicit-def: $vgpr6
	v_cmpx_lt_u32_e32 31, v0
	s_cbranch_execz .LBB136_6
; %bb.5:
	v_lshl_add_u32 v5, v5, 2, -4
	ds_load_b32 v6, v5
	s_waitcnt lgkmcnt(0)
	v_add_nc_u32_e32 v4, v6, v4
.LBB136_6:
	s_or_b32 exec_lo, exec_lo, s3
	s_load_b32 s0, s[0:1], 0x10
	v_add_nc_u32_e32 v5, -1, v3
	s_delay_alu instid0(VALU_DEP_1) | instskip(NEXT) | instid1(VALU_DEP_1)
	v_cmp_gt_i32_e64 s2, 0, v5
	v_cndmask_b32_e64 v5, v5, v3, s2
	s_delay_alu instid0(VALU_DEP_1)
	v_lshlrev_b32_e32 v5, 2, v5
	ds_bpermute_b32 v5, v5, v4
	s_waitcnt lgkmcnt(0)
	v_mov_b32_e32 v4, s0
	s_and_saveexec_b32 s1, vcc_lo
	s_cbranch_execz .LBB136_10
; %bb.7:
	v_mov_b32_e32 v7, 0
	s_mov_b32 s2, exec_lo
	ds_load_b32 v4, v7 offset:28
	v_cmpx_eq_u32_e32 0, v0
	s_cbranch_execz .LBB136_9
; %bb.8:
	v_mov_b32_e32 v8, s0
	ds_store_b32 v7, v8 offset:28
.LBB136_9:
	s_or_b32 exec_lo, exec_lo, s2
	s_waitcnt lgkmcnt(0)
	v_add_nc_u32_e32 v4, s0, v4
.LBB136_10:
	s_or_b32 exec_lo, exec_lo, s1
	v_cmp_eq_u32_e32 vcc_lo, 0, v3
	s_barrier
	buffer_gl0_inv
	v_cndmask_b32_e32 v3, v5, v6, vcc_lo
	v_cmp_eq_u32_e32 vcc_lo, 0, v0
	s_delay_alu instid0(VALU_DEP_2)
	v_cndmask_b32_e64 v0, v3, 0, vcc_lo
	v_mov_b32_e32 v7, 0
	ds_load_b32 v8, v7 offset:28
	s_waitcnt lgkmcnt(0)
	v_add_nc_u32_e32 v0, v8, v0
	global_store_b32 v[1:2], v0, off
	s_and_saveexec_b32 s0, vcc_lo
	s_cbranch_execz .LBB136_12
; %bb.11:
	s_mov_b32 s9, 0
	s_delay_alu instid0(SALU_CYCLE_1) | instskip(NEXT) | instid1(SALU_CYCLE_1)
	s_lshl_b64 s[0:1], s[8:9], 2
	s_add_u32 s0, s6, s0
	s_addc_u32 s1, s7, s1
	global_store_b32 v7, v4, s[0:1]
.LBB136_12:
	s_nop 0
	s_sendmsg sendmsg(MSG_DEALLOC_VGPRS)
	s_endpgm
	.section	.rodata,"a",@progbits
	.p2align	6, 0x0
	.amdhsa_kernel _Z37exclusive_scan_prefix_callback_kernelILj255ELN6hipcub18BlockScanAlgorithmE0EiEvPT1_S3_S2_
		.amdhsa_group_segment_fixed_size 32
		.amdhsa_private_segment_fixed_size 0
		.amdhsa_kernarg_size 20
		.amdhsa_user_sgpr_count 15
		.amdhsa_user_sgpr_dispatch_ptr 0
		.amdhsa_user_sgpr_queue_ptr 0
		.amdhsa_user_sgpr_kernarg_segment_ptr 1
		.amdhsa_user_sgpr_dispatch_id 0
		.amdhsa_user_sgpr_private_segment_size 0
		.amdhsa_wavefront_size32 1
		.amdhsa_uses_dynamic_stack 0
		.amdhsa_enable_private_segment 0
		.amdhsa_system_sgpr_workgroup_id_x 1
		.amdhsa_system_sgpr_workgroup_id_y 0
		.amdhsa_system_sgpr_workgroup_id_z 0
		.amdhsa_system_sgpr_workgroup_info 0
		.amdhsa_system_vgpr_workitem_id 0
		.amdhsa_next_free_vgpr 10
		.amdhsa_next_free_sgpr 16
		.amdhsa_reserve_vcc 1
		.amdhsa_float_round_mode_32 0
		.amdhsa_float_round_mode_16_64 0
		.amdhsa_float_denorm_mode_32 3
		.amdhsa_float_denorm_mode_16_64 3
		.amdhsa_dx10_clamp 1
		.amdhsa_ieee_mode 1
		.amdhsa_fp16_overflow 0
		.amdhsa_workgroup_processor_mode 1
		.amdhsa_memory_ordered 1
		.amdhsa_forward_progress 0
		.amdhsa_shared_vgpr_count 0
		.amdhsa_exception_fp_ieee_invalid_op 0
		.amdhsa_exception_fp_denorm_src 0
		.amdhsa_exception_fp_ieee_div_zero 0
		.amdhsa_exception_fp_ieee_overflow 0
		.amdhsa_exception_fp_ieee_underflow 0
		.amdhsa_exception_fp_ieee_inexact 0
		.amdhsa_exception_int_div_zero 0
	.end_amdhsa_kernel
	.section	.text._Z37exclusive_scan_prefix_callback_kernelILj255ELN6hipcub18BlockScanAlgorithmE0EiEvPT1_S3_S2_,"axG",@progbits,_Z37exclusive_scan_prefix_callback_kernelILj255ELN6hipcub18BlockScanAlgorithmE0EiEvPT1_S3_S2_,comdat
.Lfunc_end136:
	.size	_Z37exclusive_scan_prefix_callback_kernelILj255ELN6hipcub18BlockScanAlgorithmE0EiEvPT1_S3_S2_, .Lfunc_end136-_Z37exclusive_scan_prefix_callback_kernelILj255ELN6hipcub18BlockScanAlgorithmE0EiEvPT1_S3_S2_
                                        ; -- End function
	.section	.AMDGPU.csdata,"",@progbits
; Kernel info:
; codeLenInByte = 712
; NumSgprs: 18
; NumVgprs: 10
; ScratchSize: 0
; MemoryBound: 0
; FloatMode: 240
; IeeeMode: 1
; LDSByteSize: 32 bytes/workgroup (compile time only)
; SGPRBlocks: 2
; VGPRBlocks: 1
; NumSGPRsForWavesPerEU: 18
; NumVGPRsForWavesPerEU: 10
; Occupancy: 16
; WaveLimiterHint : 0
; COMPUTE_PGM_RSRC2:SCRATCH_EN: 0
; COMPUTE_PGM_RSRC2:USER_SGPR: 15
; COMPUTE_PGM_RSRC2:TRAP_HANDLER: 0
; COMPUTE_PGM_RSRC2:TGID_X_EN: 1
; COMPUTE_PGM_RSRC2:TGID_Y_EN: 0
; COMPUTE_PGM_RSRC2:TGID_Z_EN: 0
; COMPUTE_PGM_RSRC2:TIDIG_COMP_CNT: 0
	.section	.text._Z37exclusive_scan_prefix_callback_kernelILj162ELN6hipcub18BlockScanAlgorithmE0EiEvPT1_S3_S2_,"axG",@progbits,_Z37exclusive_scan_prefix_callback_kernelILj162ELN6hipcub18BlockScanAlgorithmE0EiEvPT1_S3_S2_,comdat
	.protected	_Z37exclusive_scan_prefix_callback_kernelILj162ELN6hipcub18BlockScanAlgorithmE0EiEvPT1_S3_S2_ ; -- Begin function _Z37exclusive_scan_prefix_callback_kernelILj162ELN6hipcub18BlockScanAlgorithmE0EiEvPT1_S3_S2_
	.globl	_Z37exclusive_scan_prefix_callback_kernelILj162ELN6hipcub18BlockScanAlgorithmE0EiEvPT1_S3_S2_
	.p2align	8
	.type	_Z37exclusive_scan_prefix_callback_kernelILj162ELN6hipcub18BlockScanAlgorithmE0EiEvPT1_S3_S2_,@function
_Z37exclusive_scan_prefix_callback_kernelILj162ELN6hipcub18BlockScanAlgorithmE0EiEvPT1_S3_S2_: ; @_Z37exclusive_scan_prefix_callback_kernelILj162ELN6hipcub18BlockScanAlgorithmE0EiEvPT1_S3_S2_
; %bb.0:
	s_load_b128 s[4:7], s[0:1], 0x0
	s_mov_b32 s8, s15
	v_mbcnt_lo_u32_b32 v3, -1, 0
	v_mad_u64_u32 v[1:2], null, 0xa2, s8, v[0:1]
	v_mov_b32_e32 v2, 0
	s_mov_b32 s2, exec_lo
	s_delay_alu instid0(VALU_DEP_3) | instskip(SKIP_1) | instid1(VALU_DEP_3)
	v_and_b32_e32 v5, 15, v3
	v_bfe_i32 v7, v3, 4, 1
	v_lshlrev_b64 v[1:2], 2, v[1:2]
	s_waitcnt lgkmcnt(0)
	s_delay_alu instid0(VALU_DEP_1) | instskip(NEXT) | instid1(VALU_DEP_2)
	v_add_co_u32 v1, vcc_lo, s4, v1
	v_add_co_ci_u32_e32 v2, vcc_lo, s5, v2, vcc_lo
	v_cmp_ne_u32_e32 vcc_lo, 0, v5
	global_load_b32 v4, v[1:2], off
	s_waitcnt vmcnt(0)
	v_mov_b32_dpp v6, v4 row_shr:1 row_mask:0xf bank_mask:0xf
	s_delay_alu instid0(VALU_DEP_1) | instskip(SKIP_1) | instid1(VALU_DEP_2)
	v_cndmask_b32_e32 v6, 0, v6, vcc_lo
	v_cmp_lt_u32_e32 vcc_lo, 1, v5
	v_add_nc_u32_e32 v4, v6, v4
	s_delay_alu instid0(VALU_DEP_1) | instskip(NEXT) | instid1(VALU_DEP_1)
	v_mov_b32_dpp v6, v4 row_shr:2 row_mask:0xf bank_mask:0xf
	v_cndmask_b32_e32 v6, 0, v6, vcc_lo
	v_cmp_lt_u32_e32 vcc_lo, 3, v5
	s_delay_alu instid0(VALU_DEP_2) | instskip(NEXT) | instid1(VALU_DEP_1)
	v_add_nc_u32_e32 v4, v4, v6
	v_mov_b32_dpp v6, v4 row_shr:4 row_mask:0xf bank_mask:0xf
	s_delay_alu instid0(VALU_DEP_1) | instskip(SKIP_1) | instid1(VALU_DEP_2)
	v_cndmask_b32_e32 v6, 0, v6, vcc_lo
	v_cmp_lt_u32_e32 vcc_lo, 7, v5
	v_add_nc_u32_e32 v4, v4, v6
	s_delay_alu instid0(VALU_DEP_1) | instskip(NEXT) | instid1(VALU_DEP_1)
	v_mov_b32_dpp v6, v4 row_shr:8 row_mask:0xf bank_mask:0xf
	v_dual_cndmask_b32 v5, 0, v6 :: v_dual_and_b32 v6, 0xe0, v0
	s_delay_alu instid0(VALU_DEP_1) | instskip(NEXT) | instid1(VALU_DEP_2)
	v_add_nc_u32_e32 v4, v4, v5
	v_min_u32_e32 v6, 0x82, v6
	ds_swizzle_b32 v5, v4 offset:swizzle(BROADCAST,32,15)
	v_add_nc_u32_e32 v6, 31, v6
	s_waitcnt lgkmcnt(0)
	v_and_b32_e32 v7, v7, v5
	v_lshrrev_b32_e32 v5, 5, v0
	s_delay_alu instid0(VALU_DEP_2)
	v_add_nc_u32_e32 v4, v4, v7
	v_cmpx_eq_u32_e64 v6, v0
	s_cbranch_execz .LBB137_2
; %bb.1:
	s_delay_alu instid0(VALU_DEP_3)
	v_lshlrev_b32_e32 v6, 2, v5
	ds_store_b32 v6, v4
.LBB137_2:
	s_or_b32 exec_lo, exec_lo, s2
	s_delay_alu instid0(SALU_CYCLE_1)
	s_mov_b32 s2, exec_lo
	s_waitcnt lgkmcnt(0)
	s_barrier
	buffer_gl0_inv
	v_cmpx_gt_u32_e32 6, v0
	s_cbranch_execz .LBB137_4
; %bb.3:
	v_and_b32_e32 v8, 7, v3
	s_delay_alu instid0(VALU_DEP_1) | instskip(SKIP_4) | instid1(VALU_DEP_1)
	v_cmp_ne_u32_e32 vcc_lo, 0, v8
	v_lshlrev_b32_e32 v6, 2, v0
	ds_load_b32 v7, v6
	s_waitcnt lgkmcnt(0)
	v_mov_b32_dpp v9, v7 row_shr:1 row_mask:0xf bank_mask:0xf
	v_cndmask_b32_e32 v9, 0, v9, vcc_lo
	v_cmp_lt_u32_e32 vcc_lo, 1, v8
	s_delay_alu instid0(VALU_DEP_2) | instskip(NEXT) | instid1(VALU_DEP_1)
	v_add_nc_u32_e32 v7, v9, v7
	v_mov_b32_dpp v9, v7 row_shr:2 row_mask:0xf bank_mask:0xf
	s_delay_alu instid0(VALU_DEP_1) | instskip(SKIP_1) | instid1(VALU_DEP_2)
	v_cndmask_b32_e32 v9, 0, v9, vcc_lo
	v_cmp_lt_u32_e32 vcc_lo, 3, v8
	v_add_nc_u32_e32 v7, v7, v9
	s_delay_alu instid0(VALU_DEP_1) | instskip(NEXT) | instid1(VALU_DEP_1)
	v_mov_b32_dpp v9, v7 row_shr:4 row_mask:0xf bank_mask:0xf
	v_cndmask_b32_e32 v8, 0, v9, vcc_lo
	s_delay_alu instid0(VALU_DEP_1)
	v_add_nc_u32_e32 v7, v7, v8
	ds_store_b32 v6, v7
.LBB137_4:
	s_or_b32 exec_lo, exec_lo, s2
	v_cmp_gt_u32_e32 vcc_lo, 32, v0
	s_mov_b32 s3, exec_lo
	s_waitcnt lgkmcnt(0)
	s_barrier
	buffer_gl0_inv
                                        ; implicit-def: $vgpr6
	v_cmpx_lt_u32_e32 31, v0
	s_cbranch_execz .LBB137_6
; %bb.5:
	v_lshl_add_u32 v5, v5, 2, -4
	ds_load_b32 v6, v5
	s_waitcnt lgkmcnt(0)
	v_add_nc_u32_e32 v4, v6, v4
.LBB137_6:
	s_or_b32 exec_lo, exec_lo, s3
	s_load_b32 s0, s[0:1], 0x10
	v_add_nc_u32_e32 v5, -1, v3
	s_delay_alu instid0(VALU_DEP_1) | instskip(NEXT) | instid1(VALU_DEP_1)
	v_cmp_gt_i32_e64 s2, 0, v5
	v_cndmask_b32_e64 v5, v5, v3, s2
	s_delay_alu instid0(VALU_DEP_1)
	v_lshlrev_b32_e32 v5, 2, v5
	ds_bpermute_b32 v5, v5, v4
	s_waitcnt lgkmcnt(0)
	v_mov_b32_e32 v4, s0
	s_and_saveexec_b32 s1, vcc_lo
	s_cbranch_execz .LBB137_10
; %bb.7:
	v_mov_b32_e32 v7, 0
	s_mov_b32 s2, exec_lo
	ds_load_b32 v4, v7 offset:20
	v_cmpx_eq_u32_e32 0, v0
	s_cbranch_execz .LBB137_9
; %bb.8:
	v_mov_b32_e32 v8, s0
	ds_store_b32 v7, v8 offset:20
.LBB137_9:
	s_or_b32 exec_lo, exec_lo, s2
	s_waitcnt lgkmcnt(0)
	v_add_nc_u32_e32 v4, s0, v4
.LBB137_10:
	s_or_b32 exec_lo, exec_lo, s1
	v_cmp_eq_u32_e32 vcc_lo, 0, v3
	s_barrier
	buffer_gl0_inv
	v_cndmask_b32_e32 v3, v5, v6, vcc_lo
	v_cmp_eq_u32_e32 vcc_lo, 0, v0
	s_delay_alu instid0(VALU_DEP_2)
	v_cndmask_b32_e64 v0, v3, 0, vcc_lo
	v_mov_b32_e32 v7, 0
	ds_load_b32 v8, v7 offset:20
	s_waitcnt lgkmcnt(0)
	v_add_nc_u32_e32 v0, v8, v0
	global_store_b32 v[1:2], v0, off
	s_and_saveexec_b32 s0, vcc_lo
	s_cbranch_execz .LBB137_12
; %bb.11:
	s_mov_b32 s9, 0
	s_delay_alu instid0(SALU_CYCLE_1) | instskip(NEXT) | instid1(SALU_CYCLE_1)
	s_lshl_b64 s[0:1], s[8:9], 2
	s_add_u32 s0, s6, s0
	s_addc_u32 s1, s7, s1
	global_store_b32 v7, v4, s[0:1]
.LBB137_12:
	s_nop 0
	s_sendmsg sendmsg(MSG_DEALLOC_VGPRS)
	s_endpgm
	.section	.rodata,"a",@progbits
	.p2align	6, 0x0
	.amdhsa_kernel _Z37exclusive_scan_prefix_callback_kernelILj162ELN6hipcub18BlockScanAlgorithmE0EiEvPT1_S3_S2_
		.amdhsa_group_segment_fixed_size 24
		.amdhsa_private_segment_fixed_size 0
		.amdhsa_kernarg_size 20
		.amdhsa_user_sgpr_count 15
		.amdhsa_user_sgpr_dispatch_ptr 0
		.amdhsa_user_sgpr_queue_ptr 0
		.amdhsa_user_sgpr_kernarg_segment_ptr 1
		.amdhsa_user_sgpr_dispatch_id 0
		.amdhsa_user_sgpr_private_segment_size 0
		.amdhsa_wavefront_size32 1
		.amdhsa_uses_dynamic_stack 0
		.amdhsa_enable_private_segment 0
		.amdhsa_system_sgpr_workgroup_id_x 1
		.amdhsa_system_sgpr_workgroup_id_y 0
		.amdhsa_system_sgpr_workgroup_id_z 0
		.amdhsa_system_sgpr_workgroup_info 0
		.amdhsa_system_vgpr_workitem_id 0
		.amdhsa_next_free_vgpr 10
		.amdhsa_next_free_sgpr 16
		.amdhsa_reserve_vcc 1
		.amdhsa_float_round_mode_32 0
		.amdhsa_float_round_mode_16_64 0
		.amdhsa_float_denorm_mode_32 3
		.amdhsa_float_denorm_mode_16_64 3
		.amdhsa_dx10_clamp 1
		.amdhsa_ieee_mode 1
		.amdhsa_fp16_overflow 0
		.amdhsa_workgroup_processor_mode 1
		.amdhsa_memory_ordered 1
		.amdhsa_forward_progress 0
		.amdhsa_shared_vgpr_count 0
		.amdhsa_exception_fp_ieee_invalid_op 0
		.amdhsa_exception_fp_denorm_src 0
		.amdhsa_exception_fp_ieee_div_zero 0
		.amdhsa_exception_fp_ieee_overflow 0
		.amdhsa_exception_fp_ieee_underflow 0
		.amdhsa_exception_fp_ieee_inexact 0
		.amdhsa_exception_int_div_zero 0
	.end_amdhsa_kernel
	.section	.text._Z37exclusive_scan_prefix_callback_kernelILj162ELN6hipcub18BlockScanAlgorithmE0EiEvPT1_S3_S2_,"axG",@progbits,_Z37exclusive_scan_prefix_callback_kernelILj162ELN6hipcub18BlockScanAlgorithmE0EiEvPT1_S3_S2_,comdat
.Lfunc_end137:
	.size	_Z37exclusive_scan_prefix_callback_kernelILj162ELN6hipcub18BlockScanAlgorithmE0EiEvPT1_S3_S2_, .Lfunc_end137-_Z37exclusive_scan_prefix_callback_kernelILj162ELN6hipcub18BlockScanAlgorithmE0EiEvPT1_S3_S2_
                                        ; -- End function
	.section	.AMDGPU.csdata,"",@progbits
; Kernel info:
; codeLenInByte = 712
; NumSgprs: 18
; NumVgprs: 10
; ScratchSize: 0
; MemoryBound: 0
; FloatMode: 240
; IeeeMode: 1
; LDSByteSize: 24 bytes/workgroup (compile time only)
; SGPRBlocks: 2
; VGPRBlocks: 1
; NumSGPRsForWavesPerEU: 18
; NumVGPRsForWavesPerEU: 10
; Occupancy: 15
; WaveLimiterHint : 0
; COMPUTE_PGM_RSRC2:SCRATCH_EN: 0
; COMPUTE_PGM_RSRC2:USER_SGPR: 15
; COMPUTE_PGM_RSRC2:TRAP_HANDLER: 0
; COMPUTE_PGM_RSRC2:TGID_X_EN: 1
; COMPUTE_PGM_RSRC2:TGID_Y_EN: 0
; COMPUTE_PGM_RSRC2:TGID_Z_EN: 0
; COMPUTE_PGM_RSRC2:TIDIG_COMP_CNT: 0
	.section	.text._Z37exclusive_scan_prefix_callback_kernelILj37ELN6hipcub18BlockScanAlgorithmE0EiEvPT1_S3_S2_,"axG",@progbits,_Z37exclusive_scan_prefix_callback_kernelILj37ELN6hipcub18BlockScanAlgorithmE0EiEvPT1_S3_S2_,comdat
	.protected	_Z37exclusive_scan_prefix_callback_kernelILj37ELN6hipcub18BlockScanAlgorithmE0EiEvPT1_S3_S2_ ; -- Begin function _Z37exclusive_scan_prefix_callback_kernelILj37ELN6hipcub18BlockScanAlgorithmE0EiEvPT1_S3_S2_
	.globl	_Z37exclusive_scan_prefix_callback_kernelILj37ELN6hipcub18BlockScanAlgorithmE0EiEvPT1_S3_S2_
	.p2align	8
	.type	_Z37exclusive_scan_prefix_callback_kernelILj37ELN6hipcub18BlockScanAlgorithmE0EiEvPT1_S3_S2_,@function
_Z37exclusive_scan_prefix_callback_kernelILj37ELN6hipcub18BlockScanAlgorithmE0EiEvPT1_S3_S2_: ; @_Z37exclusive_scan_prefix_callback_kernelILj37ELN6hipcub18BlockScanAlgorithmE0EiEvPT1_S3_S2_
; %bb.0:
	s_load_b128 s[4:7], s[0:1], 0x0
	s_mov_b32 s8, s15
	v_mbcnt_lo_u32_b32 v3, -1, 0
	v_mad_u64_u32 v[1:2], null, s8, 37, v[0:1]
	v_mov_b32_e32 v2, 0
	s_mov_b32 s2, exec_lo
	s_delay_alu instid0(VALU_DEP_3) | instskip(SKIP_1) | instid1(VALU_DEP_3)
	v_and_b32_e32 v5, 15, v3
	v_bfe_i32 v7, v3, 4, 1
	v_lshlrev_b64 v[1:2], 2, v[1:2]
	s_waitcnt lgkmcnt(0)
	s_delay_alu instid0(VALU_DEP_1) | instskip(NEXT) | instid1(VALU_DEP_2)
	v_add_co_u32 v1, vcc_lo, s4, v1
	v_add_co_ci_u32_e32 v2, vcc_lo, s5, v2, vcc_lo
	v_cmp_ne_u32_e32 vcc_lo, 0, v5
	global_load_b32 v4, v[1:2], off
	s_waitcnt vmcnt(0)
	v_mov_b32_dpp v6, v4 row_shr:1 row_mask:0xf bank_mask:0xf
	s_delay_alu instid0(VALU_DEP_1) | instskip(SKIP_1) | instid1(VALU_DEP_2)
	v_cndmask_b32_e32 v6, 0, v6, vcc_lo
	v_cmp_lt_u32_e32 vcc_lo, 1, v5
	v_add_nc_u32_e32 v4, v6, v4
	s_delay_alu instid0(VALU_DEP_1) | instskip(NEXT) | instid1(VALU_DEP_1)
	v_mov_b32_dpp v6, v4 row_shr:2 row_mask:0xf bank_mask:0xf
	v_cndmask_b32_e32 v6, 0, v6, vcc_lo
	v_cmp_lt_u32_e32 vcc_lo, 3, v5
	s_delay_alu instid0(VALU_DEP_2) | instskip(NEXT) | instid1(VALU_DEP_1)
	v_add_nc_u32_e32 v4, v4, v6
	v_mov_b32_dpp v6, v4 row_shr:4 row_mask:0xf bank_mask:0xf
	s_delay_alu instid0(VALU_DEP_1) | instskip(SKIP_1) | instid1(VALU_DEP_2)
	v_cndmask_b32_e32 v6, 0, v6, vcc_lo
	v_cmp_lt_u32_e32 vcc_lo, 7, v5
	v_add_nc_u32_e32 v4, v4, v6
	s_delay_alu instid0(VALU_DEP_1) | instskip(NEXT) | instid1(VALU_DEP_1)
	v_mov_b32_dpp v6, v4 row_shr:8 row_mask:0xf bank_mask:0xf
	v_dual_cndmask_b32 v5, 0, v6 :: v_dual_and_b32 v6, 32, v0
	s_delay_alu instid0(VALU_DEP_1) | instskip(NEXT) | instid1(VALU_DEP_2)
	v_add_nc_u32_e32 v4, v4, v5
	v_min_u32_e32 v6, 5, v6
	ds_swizzle_b32 v5, v4 offset:swizzle(BROADCAST,32,15)
	s_waitcnt lgkmcnt(0)
	v_and_b32_e32 v5, v7, v5
	v_add_nc_u32_e32 v7, 31, v6
	v_lshrrev_b32_e32 v6, 5, v0
	s_delay_alu instid0(VALU_DEP_3) | instskip(NEXT) | instid1(VALU_DEP_3)
	v_add_nc_u32_e32 v4, v4, v5
	v_cmpx_eq_u32_e64 v7, v0
	s_cbranch_execz .LBB138_2
; %bb.1:
	s_delay_alu instid0(VALU_DEP_3)
	v_lshlrev_b32_e32 v5, 2, v6
	ds_store_b32 v5, v4
.LBB138_2:
	s_or_b32 exec_lo, exec_lo, s2
	s_delay_alu instid0(SALU_CYCLE_1)
	s_mov_b32 s2, exec_lo
	s_waitcnt lgkmcnt(0)
	s_barrier
	buffer_gl0_inv
	v_cmpx_gt_u32_e32 2, v0
	s_cbranch_execz .LBB138_4
; %bb.3:
	v_lshlrev_b32_e32 v5, 2, v0
	v_bfe_i32 v8, v3, 0, 1
	ds_load_b32 v7, v5
	s_waitcnt lgkmcnt(0)
	v_mov_b32_dpp v9, v7 row_shr:1 row_mask:0xf bank_mask:0xf
	s_delay_alu instid0(VALU_DEP_1) | instskip(NEXT) | instid1(VALU_DEP_1)
	v_and_b32_e32 v8, v8, v9
	v_add_nc_u32_e32 v7, v8, v7
	ds_store_b32 v5, v7
.LBB138_4:
	s_or_b32 exec_lo, exec_lo, s2
	v_cmp_gt_u32_e32 vcc_lo, 32, v0
	s_mov_b32 s3, exec_lo
	s_waitcnt lgkmcnt(0)
	s_barrier
	buffer_gl0_inv
                                        ; implicit-def: $vgpr5
	v_cmpx_lt_u32_e32 31, v0
	s_cbranch_execz .LBB138_6
; %bb.5:
	v_lshl_add_u32 v5, v6, 2, -4
	ds_load_b32 v5, v5
	s_waitcnt lgkmcnt(0)
	v_add_nc_u32_e32 v4, v5, v4
.LBB138_6:
	s_or_b32 exec_lo, exec_lo, s3
	v_add_nc_u32_e32 v6, -1, v3
	s_load_b32 s0, s[0:1], 0x10
	s_delay_alu instid0(VALU_DEP_1) | instskip(NEXT) | instid1(VALU_DEP_1)
	v_cmp_gt_i32_e64 s2, 0, v6
	v_cndmask_b32_e64 v6, v6, v3, s2
	s_delay_alu instid0(VALU_DEP_1)
	v_lshlrev_b32_e32 v6, 2, v6
	ds_bpermute_b32 v6, v6, v4
	s_waitcnt lgkmcnt(0)
	v_mov_b32_e32 v4, s0
	s_and_saveexec_b32 s1, vcc_lo
	s_cbranch_execz .LBB138_10
; %bb.7:
	v_mov_b32_e32 v7, 0
	s_mov_b32 s2, exec_lo
	ds_load_b32 v4, v7 offset:4
	v_cmpx_eq_u32_e32 0, v0
	s_cbranch_execz .LBB138_9
; %bb.8:
	v_mov_b32_e32 v8, s0
	ds_store_b32 v7, v8 offset:4
.LBB138_9:
	s_or_b32 exec_lo, exec_lo, s2
	s_waitcnt lgkmcnt(0)
	v_add_nc_u32_e32 v4, s0, v4
.LBB138_10:
	s_or_b32 exec_lo, exec_lo, s1
	v_cmp_eq_u32_e32 vcc_lo, 0, v3
	s_barrier
	buffer_gl0_inv
	v_cndmask_b32_e32 v3, v6, v5, vcc_lo
	v_cmp_eq_u32_e32 vcc_lo, 0, v0
	s_delay_alu instid0(VALU_DEP_2)
	v_cndmask_b32_e64 v0, v3, 0, vcc_lo
	v_mov_b32_e32 v7, 0
	ds_load_b32 v8, v7 offset:4
	s_waitcnt lgkmcnt(0)
	v_add_nc_u32_e32 v0, v8, v0
	global_store_b32 v[1:2], v0, off
	s_and_saveexec_b32 s0, vcc_lo
	s_cbranch_execz .LBB138_12
; %bb.11:
	s_mov_b32 s9, 0
	s_delay_alu instid0(SALU_CYCLE_1) | instskip(NEXT) | instid1(SALU_CYCLE_1)
	s_lshl_b64 s[0:1], s[8:9], 2
	s_add_u32 s0, s6, s0
	s_addc_u32 s1, s7, s1
	global_store_b32 v7, v4, s[0:1]
.LBB138_12:
	s_nop 0
	s_sendmsg sendmsg(MSG_DEALLOC_VGPRS)
	s_endpgm
	.section	.rodata,"a",@progbits
	.p2align	6, 0x0
	.amdhsa_kernel _Z37exclusive_scan_prefix_callback_kernelILj37ELN6hipcub18BlockScanAlgorithmE0EiEvPT1_S3_S2_
		.amdhsa_group_segment_fixed_size 8
		.amdhsa_private_segment_fixed_size 0
		.amdhsa_kernarg_size 20
		.amdhsa_user_sgpr_count 15
		.amdhsa_user_sgpr_dispatch_ptr 0
		.amdhsa_user_sgpr_queue_ptr 0
		.amdhsa_user_sgpr_kernarg_segment_ptr 1
		.amdhsa_user_sgpr_dispatch_id 0
		.amdhsa_user_sgpr_private_segment_size 0
		.amdhsa_wavefront_size32 1
		.amdhsa_uses_dynamic_stack 0
		.amdhsa_enable_private_segment 0
		.amdhsa_system_sgpr_workgroup_id_x 1
		.amdhsa_system_sgpr_workgroup_id_y 0
		.amdhsa_system_sgpr_workgroup_id_z 0
		.amdhsa_system_sgpr_workgroup_info 0
		.amdhsa_system_vgpr_workitem_id 0
		.amdhsa_next_free_vgpr 10
		.amdhsa_next_free_sgpr 16
		.amdhsa_reserve_vcc 1
		.amdhsa_float_round_mode_32 0
		.amdhsa_float_round_mode_16_64 0
		.amdhsa_float_denorm_mode_32 3
		.amdhsa_float_denorm_mode_16_64 3
		.amdhsa_dx10_clamp 1
		.amdhsa_ieee_mode 1
		.amdhsa_fp16_overflow 0
		.amdhsa_workgroup_processor_mode 1
		.amdhsa_memory_ordered 1
		.amdhsa_forward_progress 0
		.amdhsa_shared_vgpr_count 0
		.amdhsa_exception_fp_ieee_invalid_op 0
		.amdhsa_exception_fp_denorm_src 0
		.amdhsa_exception_fp_ieee_div_zero 0
		.amdhsa_exception_fp_ieee_overflow 0
		.amdhsa_exception_fp_ieee_underflow 0
		.amdhsa_exception_fp_ieee_inexact 0
		.amdhsa_exception_int_div_zero 0
	.end_amdhsa_kernel
	.section	.text._Z37exclusive_scan_prefix_callback_kernelILj37ELN6hipcub18BlockScanAlgorithmE0EiEvPT1_S3_S2_,"axG",@progbits,_Z37exclusive_scan_prefix_callback_kernelILj37ELN6hipcub18BlockScanAlgorithmE0EiEvPT1_S3_S2_,comdat
.Lfunc_end138:
	.size	_Z37exclusive_scan_prefix_callback_kernelILj37ELN6hipcub18BlockScanAlgorithmE0EiEvPT1_S3_S2_, .Lfunc_end138-_Z37exclusive_scan_prefix_callback_kernelILj37ELN6hipcub18BlockScanAlgorithmE0EiEvPT1_S3_S2_
                                        ; -- End function
	.section	.AMDGPU.csdata,"",@progbits
; Kernel info:
; codeLenInByte = 644
; NumSgprs: 18
; NumVgprs: 10
; ScratchSize: 0
; MemoryBound: 0
; FloatMode: 240
; IeeeMode: 1
; LDSByteSize: 8 bytes/workgroup (compile time only)
; SGPRBlocks: 2
; VGPRBlocks: 1
; NumSGPRsForWavesPerEU: 18
; NumVGPRsForWavesPerEU: 10
; Occupancy: 16
; WaveLimiterHint : 0
; COMPUTE_PGM_RSRC2:SCRATCH_EN: 0
; COMPUTE_PGM_RSRC2:USER_SGPR: 15
; COMPUTE_PGM_RSRC2:TRAP_HANDLER: 0
; COMPUTE_PGM_RSRC2:TGID_X_EN: 1
; COMPUTE_PGM_RSRC2:TGID_Y_EN: 0
; COMPUTE_PGM_RSRC2:TGID_Z_EN: 0
; COMPUTE_PGM_RSRC2:TIDIG_COMP_CNT: 0
	.section	.text._Z37exclusive_scan_prefix_callback_kernelILj65ELN6hipcub18BlockScanAlgorithmE0EiEvPT1_S3_S2_,"axG",@progbits,_Z37exclusive_scan_prefix_callback_kernelILj65ELN6hipcub18BlockScanAlgorithmE0EiEvPT1_S3_S2_,comdat
	.protected	_Z37exclusive_scan_prefix_callback_kernelILj65ELN6hipcub18BlockScanAlgorithmE0EiEvPT1_S3_S2_ ; -- Begin function _Z37exclusive_scan_prefix_callback_kernelILj65ELN6hipcub18BlockScanAlgorithmE0EiEvPT1_S3_S2_
	.globl	_Z37exclusive_scan_prefix_callback_kernelILj65ELN6hipcub18BlockScanAlgorithmE0EiEvPT1_S3_S2_
	.p2align	8
	.type	_Z37exclusive_scan_prefix_callback_kernelILj65ELN6hipcub18BlockScanAlgorithmE0EiEvPT1_S3_S2_,@function
_Z37exclusive_scan_prefix_callback_kernelILj65ELN6hipcub18BlockScanAlgorithmE0EiEvPT1_S3_S2_: ; @_Z37exclusive_scan_prefix_callback_kernelILj65ELN6hipcub18BlockScanAlgorithmE0EiEvPT1_S3_S2_
; %bb.0:
	s_load_b128 s[4:7], s[0:1], 0x0
	s_mov_b32 s8, s15
	v_mbcnt_lo_u32_b32 v3, -1, 0
	v_mad_u64_u32 v[1:2], null, 0x41, s8, v[0:1]
	v_mov_b32_e32 v2, 0
	s_mov_b32 s2, exec_lo
	s_delay_alu instid0(VALU_DEP_3) | instskip(SKIP_1) | instid1(VALU_DEP_3)
	v_and_b32_e32 v5, 15, v3
	v_bfe_i32 v7, v3, 4, 1
	v_lshlrev_b64 v[1:2], 2, v[1:2]
	s_waitcnt lgkmcnt(0)
	s_delay_alu instid0(VALU_DEP_1) | instskip(NEXT) | instid1(VALU_DEP_2)
	v_add_co_u32 v1, vcc_lo, s4, v1
	v_add_co_ci_u32_e32 v2, vcc_lo, s5, v2, vcc_lo
	v_cmp_ne_u32_e32 vcc_lo, 0, v5
	global_load_b32 v4, v[1:2], off
	s_waitcnt vmcnt(0)
	v_mov_b32_dpp v6, v4 row_shr:1 row_mask:0xf bank_mask:0xf
	s_delay_alu instid0(VALU_DEP_1) | instskip(SKIP_1) | instid1(VALU_DEP_2)
	v_cndmask_b32_e32 v6, 0, v6, vcc_lo
	v_cmp_lt_u32_e32 vcc_lo, 1, v5
	v_add_nc_u32_e32 v4, v6, v4
	s_delay_alu instid0(VALU_DEP_1) | instskip(NEXT) | instid1(VALU_DEP_1)
	v_mov_b32_dpp v6, v4 row_shr:2 row_mask:0xf bank_mask:0xf
	v_cndmask_b32_e32 v6, 0, v6, vcc_lo
	v_cmp_lt_u32_e32 vcc_lo, 3, v5
	s_delay_alu instid0(VALU_DEP_2) | instskip(NEXT) | instid1(VALU_DEP_1)
	v_add_nc_u32_e32 v4, v4, v6
	v_mov_b32_dpp v6, v4 row_shr:4 row_mask:0xf bank_mask:0xf
	s_delay_alu instid0(VALU_DEP_1) | instskip(SKIP_1) | instid1(VALU_DEP_2)
	v_cndmask_b32_e32 v6, 0, v6, vcc_lo
	v_cmp_lt_u32_e32 vcc_lo, 7, v5
	v_add_nc_u32_e32 v4, v4, v6
	s_delay_alu instid0(VALU_DEP_1) | instskip(NEXT) | instid1(VALU_DEP_1)
	v_mov_b32_dpp v6, v4 row_shr:8 row_mask:0xf bank_mask:0xf
	v_dual_cndmask_b32 v5, 0, v6 :: v_dual_and_b32 v6, 0x60, v0
	s_delay_alu instid0(VALU_DEP_1) | instskip(NEXT) | instid1(VALU_DEP_2)
	v_add_nc_u32_e32 v4, v4, v5
	v_min_u32_e32 v6, 33, v6
	ds_swizzle_b32 v5, v4 offset:swizzle(BROADCAST,32,15)
	s_waitcnt lgkmcnt(0)
	v_and_b32_e32 v5, v7, v5
	v_add_nc_u32_e32 v7, 31, v6
	v_lshrrev_b32_e32 v6, 5, v0
	s_delay_alu instid0(VALU_DEP_3) | instskip(NEXT) | instid1(VALU_DEP_3)
	v_add_nc_u32_e32 v4, v4, v5
	v_cmpx_eq_u32_e64 v7, v0
	s_cbranch_execz .LBB139_2
; %bb.1:
	s_delay_alu instid0(VALU_DEP_3)
	v_lshlrev_b32_e32 v5, 2, v6
	ds_store_b32 v5, v4
.LBB139_2:
	s_or_b32 exec_lo, exec_lo, s2
	s_delay_alu instid0(SALU_CYCLE_1)
	s_mov_b32 s2, exec_lo
	s_waitcnt lgkmcnt(0)
	s_barrier
	buffer_gl0_inv
	v_cmpx_gt_u32_e32 3, v0
	s_cbranch_execz .LBB139_4
; %bb.3:
	v_lshlrev_b32_e32 v5, 2, v0
	ds_load_b32 v7, v5
	s_waitcnt lgkmcnt(0)
	v_mov_b32_dpp v9, v7 row_shr:1 row_mask:0xf bank_mask:0xf
	v_and_b32_e32 v8, 3, v3
	s_delay_alu instid0(VALU_DEP_1) | instskip(NEXT) | instid1(VALU_DEP_3)
	v_cmp_ne_u32_e32 vcc_lo, 0, v8
	v_cndmask_b32_e32 v9, 0, v9, vcc_lo
	v_cmp_lt_u32_e32 vcc_lo, 1, v8
	s_delay_alu instid0(VALU_DEP_2) | instskip(NEXT) | instid1(VALU_DEP_1)
	v_add_nc_u32_e32 v7, v9, v7
	v_mov_b32_dpp v9, v7 row_shr:2 row_mask:0xf bank_mask:0xf
	s_delay_alu instid0(VALU_DEP_1) | instskip(NEXT) | instid1(VALU_DEP_1)
	v_cndmask_b32_e32 v8, 0, v9, vcc_lo
	v_add_nc_u32_e32 v7, v7, v8
	ds_store_b32 v5, v7
.LBB139_4:
	s_or_b32 exec_lo, exec_lo, s2
	v_cmp_gt_u32_e32 vcc_lo, 32, v0
	s_mov_b32 s3, exec_lo
	s_waitcnt lgkmcnt(0)
	s_barrier
	buffer_gl0_inv
                                        ; implicit-def: $vgpr5
	v_cmpx_lt_u32_e32 31, v0
	s_cbranch_execz .LBB139_6
; %bb.5:
	v_lshl_add_u32 v5, v6, 2, -4
	ds_load_b32 v5, v5
	s_waitcnt lgkmcnt(0)
	v_add_nc_u32_e32 v4, v5, v4
.LBB139_6:
	s_or_b32 exec_lo, exec_lo, s3
	v_add_nc_u32_e32 v6, -1, v3
	s_load_b32 s0, s[0:1], 0x10
	s_delay_alu instid0(VALU_DEP_1) | instskip(NEXT) | instid1(VALU_DEP_1)
	v_cmp_gt_i32_e64 s2, 0, v6
	v_cndmask_b32_e64 v6, v6, v3, s2
	s_delay_alu instid0(VALU_DEP_1)
	v_lshlrev_b32_e32 v6, 2, v6
	ds_bpermute_b32 v6, v6, v4
	s_waitcnt lgkmcnt(0)
	v_mov_b32_e32 v4, s0
	s_and_saveexec_b32 s1, vcc_lo
	s_cbranch_execz .LBB139_10
; %bb.7:
	v_mov_b32_e32 v7, 0
	s_mov_b32 s2, exec_lo
	ds_load_b32 v4, v7 offset:8
	v_cmpx_eq_u32_e32 0, v0
	s_cbranch_execz .LBB139_9
; %bb.8:
	v_mov_b32_e32 v8, s0
	ds_store_b32 v7, v8 offset:8
.LBB139_9:
	s_or_b32 exec_lo, exec_lo, s2
	s_waitcnt lgkmcnt(0)
	v_add_nc_u32_e32 v4, s0, v4
.LBB139_10:
	s_or_b32 exec_lo, exec_lo, s1
	v_cmp_eq_u32_e32 vcc_lo, 0, v3
	s_barrier
	buffer_gl0_inv
	v_cndmask_b32_e32 v3, v6, v5, vcc_lo
	v_cmp_eq_u32_e32 vcc_lo, 0, v0
	s_delay_alu instid0(VALU_DEP_2)
	v_cndmask_b32_e64 v0, v3, 0, vcc_lo
	v_mov_b32_e32 v7, 0
	ds_load_b32 v8, v7 offset:8
	s_waitcnt lgkmcnt(0)
	v_add_nc_u32_e32 v0, v8, v0
	global_store_b32 v[1:2], v0, off
	s_and_saveexec_b32 s0, vcc_lo
	s_cbranch_execz .LBB139_12
; %bb.11:
	s_mov_b32 s9, 0
	s_delay_alu instid0(SALU_CYCLE_1) | instskip(NEXT) | instid1(SALU_CYCLE_1)
	s_lshl_b64 s[0:1], s[8:9], 2
	s_add_u32 s0, s6, s0
	s_addc_u32 s1, s7, s1
	global_store_b32 v7, v4, s[0:1]
.LBB139_12:
	s_nop 0
	s_sendmsg sendmsg(MSG_DEALLOC_VGPRS)
	s_endpgm
	.section	.rodata,"a",@progbits
	.p2align	6, 0x0
	.amdhsa_kernel _Z37exclusive_scan_prefix_callback_kernelILj65ELN6hipcub18BlockScanAlgorithmE0EiEvPT1_S3_S2_
		.amdhsa_group_segment_fixed_size 12
		.amdhsa_private_segment_fixed_size 0
		.amdhsa_kernarg_size 20
		.amdhsa_user_sgpr_count 15
		.amdhsa_user_sgpr_dispatch_ptr 0
		.amdhsa_user_sgpr_queue_ptr 0
		.amdhsa_user_sgpr_kernarg_segment_ptr 1
		.amdhsa_user_sgpr_dispatch_id 0
		.amdhsa_user_sgpr_private_segment_size 0
		.amdhsa_wavefront_size32 1
		.amdhsa_uses_dynamic_stack 0
		.amdhsa_enable_private_segment 0
		.amdhsa_system_sgpr_workgroup_id_x 1
		.amdhsa_system_sgpr_workgroup_id_y 0
		.amdhsa_system_sgpr_workgroup_id_z 0
		.amdhsa_system_sgpr_workgroup_info 0
		.amdhsa_system_vgpr_workitem_id 0
		.amdhsa_next_free_vgpr 10
		.amdhsa_next_free_sgpr 16
		.amdhsa_reserve_vcc 1
		.amdhsa_float_round_mode_32 0
		.amdhsa_float_round_mode_16_64 0
		.amdhsa_float_denorm_mode_32 3
		.amdhsa_float_denorm_mode_16_64 3
		.amdhsa_dx10_clamp 1
		.amdhsa_ieee_mode 1
		.amdhsa_fp16_overflow 0
		.amdhsa_workgroup_processor_mode 1
		.amdhsa_memory_ordered 1
		.amdhsa_forward_progress 0
		.amdhsa_shared_vgpr_count 0
		.amdhsa_exception_fp_ieee_invalid_op 0
		.amdhsa_exception_fp_denorm_src 0
		.amdhsa_exception_fp_ieee_div_zero 0
		.amdhsa_exception_fp_ieee_overflow 0
		.amdhsa_exception_fp_ieee_underflow 0
		.amdhsa_exception_fp_ieee_inexact 0
		.amdhsa_exception_int_div_zero 0
	.end_amdhsa_kernel
	.section	.text._Z37exclusive_scan_prefix_callback_kernelILj65ELN6hipcub18BlockScanAlgorithmE0EiEvPT1_S3_S2_,"axG",@progbits,_Z37exclusive_scan_prefix_callback_kernelILj65ELN6hipcub18BlockScanAlgorithmE0EiEvPT1_S3_S2_,comdat
.Lfunc_end139:
	.size	_Z37exclusive_scan_prefix_callback_kernelILj65ELN6hipcub18BlockScanAlgorithmE0EiEvPT1_S3_S2_, .Lfunc_end139-_Z37exclusive_scan_prefix_callback_kernelILj65ELN6hipcub18BlockScanAlgorithmE0EiEvPT1_S3_S2_
                                        ; -- End function
	.section	.AMDGPU.csdata,"",@progbits
; Kernel info:
; codeLenInByte = 680
; NumSgprs: 18
; NumVgprs: 10
; ScratchSize: 0
; MemoryBound: 0
; FloatMode: 240
; IeeeMode: 1
; LDSByteSize: 12 bytes/workgroup (compile time only)
; SGPRBlocks: 2
; VGPRBlocks: 1
; NumSGPRsForWavesPerEU: 18
; NumVGPRsForWavesPerEU: 10
; Occupancy: 16
; WaveLimiterHint : 0
; COMPUTE_PGM_RSRC2:SCRATCH_EN: 0
; COMPUTE_PGM_RSRC2:USER_SGPR: 15
; COMPUTE_PGM_RSRC2:TRAP_HANDLER: 0
; COMPUTE_PGM_RSRC2:TGID_X_EN: 1
; COMPUTE_PGM_RSRC2:TGID_Y_EN: 0
; COMPUTE_PGM_RSRC2:TGID_Z_EN: 0
; COMPUTE_PGM_RSRC2:TIDIG_COMP_CNT: 0
	.section	.text._Z37exclusive_scan_prefix_callback_kernelILj512ELN6hipcub18BlockScanAlgorithmE0EiEvPT1_S3_S2_,"axG",@progbits,_Z37exclusive_scan_prefix_callback_kernelILj512ELN6hipcub18BlockScanAlgorithmE0EiEvPT1_S3_S2_,comdat
	.protected	_Z37exclusive_scan_prefix_callback_kernelILj512ELN6hipcub18BlockScanAlgorithmE0EiEvPT1_S3_S2_ ; -- Begin function _Z37exclusive_scan_prefix_callback_kernelILj512ELN6hipcub18BlockScanAlgorithmE0EiEvPT1_S3_S2_
	.globl	_Z37exclusive_scan_prefix_callback_kernelILj512ELN6hipcub18BlockScanAlgorithmE0EiEvPT1_S3_S2_
	.p2align	8
	.type	_Z37exclusive_scan_prefix_callback_kernelILj512ELN6hipcub18BlockScanAlgorithmE0EiEvPT1_S3_S2_,@function
_Z37exclusive_scan_prefix_callback_kernelILj512ELN6hipcub18BlockScanAlgorithmE0EiEvPT1_S3_S2_: ; @_Z37exclusive_scan_prefix_callback_kernelILj512ELN6hipcub18BlockScanAlgorithmE0EiEvPT1_S3_S2_
; %bb.0:
	s_load_b128 s[4:7], s[0:1], 0x0
	s_mov_b32 s8, s15
	v_mbcnt_lo_u32_b32 v3, -1, 0
	v_mov_b32_e32 v2, 0
	v_lshl_or_b32 v1, s8, 9, v0
	v_or_b32_e32 v7, 31, v0
	s_mov_b32 s9, exec_lo
	v_and_b32_e32 v5, 15, v3
	s_delay_alu instid0(VALU_DEP_3) | instskip(NEXT) | instid1(VALU_DEP_2)
	v_lshlrev_b64 v[1:2], 2, v[1:2]
	v_cmp_lt_u32_e64 s2, 1, v5
	v_cmp_lt_u32_e64 s3, 3, v5
	s_waitcnt lgkmcnt(0)
	s_delay_alu instid0(VALU_DEP_3) | instskip(NEXT) | instid1(VALU_DEP_4)
	v_add_co_u32 v1, vcc_lo, s4, v1
	v_add_co_ci_u32_e32 v2, vcc_lo, s5, v2, vcc_lo
	v_cmp_eq_u32_e32 vcc_lo, 0, v5
	v_cmp_lt_u32_e64 s4, 7, v5
	global_load_b32 v4, v[1:2], off
	s_waitcnt vmcnt(0)
	v_mov_b32_dpp v6, v4 row_shr:1 row_mask:0xf bank_mask:0xf
	s_delay_alu instid0(VALU_DEP_1) | instskip(NEXT) | instid1(VALU_DEP_1)
	v_cndmask_b32_e64 v6, v6, 0, vcc_lo
	v_add_nc_u32_e32 v4, v6, v4
	s_delay_alu instid0(VALU_DEP_1) | instskip(NEXT) | instid1(VALU_DEP_1)
	v_mov_b32_dpp v6, v4 row_shr:2 row_mask:0xf bank_mask:0xf
	v_cndmask_b32_e64 v6, 0, v6, s2
	s_delay_alu instid0(VALU_DEP_1) | instskip(NEXT) | instid1(VALU_DEP_1)
	v_add_nc_u32_e32 v4, v4, v6
	v_mov_b32_dpp v6, v4 row_shr:4 row_mask:0xf bank_mask:0xf
	s_delay_alu instid0(VALU_DEP_1) | instskip(NEXT) | instid1(VALU_DEP_1)
	v_cndmask_b32_e64 v6, 0, v6, s3
	v_add_nc_u32_e32 v4, v4, v6
	s_delay_alu instid0(VALU_DEP_1) | instskip(NEXT) | instid1(VALU_DEP_1)
	v_mov_b32_dpp v6, v4 row_shr:8 row_mask:0xf bank_mask:0xf
	v_cndmask_b32_e64 v5, 0, v6, s4
	v_bfe_i32 v6, v3, 4, 1
	s_delay_alu instid0(VALU_DEP_2) | instskip(SKIP_4) | instid1(VALU_DEP_2)
	v_add_nc_u32_e32 v4, v4, v5
	ds_swizzle_b32 v5, v4 offset:swizzle(BROADCAST,32,15)
	s_waitcnt lgkmcnt(0)
	v_and_b32_e32 v6, v6, v5
	v_lshrrev_b32_e32 v5, 5, v0
	v_add_nc_u32_e32 v4, v4, v6
	v_cmpx_eq_u32_e64 v7, v0
	s_cbranch_execz .LBB140_2
; %bb.1:
	s_delay_alu instid0(VALU_DEP_3)
	v_lshlrev_b32_e32 v6, 2, v5
	ds_store_b32 v6, v4
.LBB140_2:
	s_or_b32 exec_lo, exec_lo, s9
	s_delay_alu instid0(SALU_CYCLE_1)
	s_mov_b32 s9, exec_lo
	s_waitcnt lgkmcnt(0)
	s_barrier
	buffer_gl0_inv
	v_cmpx_gt_u32_e32 16, v0
	s_cbranch_execz .LBB140_4
; %bb.3:
	v_lshlrev_b32_e32 v6, 2, v0
	ds_load_b32 v7, v6
	s_waitcnt lgkmcnt(0)
	v_mov_b32_dpp v8, v7 row_shr:1 row_mask:0xf bank_mask:0xf
	s_delay_alu instid0(VALU_DEP_1) | instskip(NEXT) | instid1(VALU_DEP_1)
	v_cndmask_b32_e64 v8, v8, 0, vcc_lo
	v_add_nc_u32_e32 v7, v8, v7
	s_delay_alu instid0(VALU_DEP_1) | instskip(NEXT) | instid1(VALU_DEP_1)
	v_mov_b32_dpp v8, v7 row_shr:2 row_mask:0xf bank_mask:0xf
	v_cndmask_b32_e64 v8, 0, v8, s2
	s_delay_alu instid0(VALU_DEP_1) | instskip(NEXT) | instid1(VALU_DEP_1)
	v_add_nc_u32_e32 v7, v7, v8
	v_mov_b32_dpp v8, v7 row_shr:4 row_mask:0xf bank_mask:0xf
	s_delay_alu instid0(VALU_DEP_1) | instskip(NEXT) | instid1(VALU_DEP_1)
	v_cndmask_b32_e64 v8, 0, v8, s3
	v_add_nc_u32_e32 v7, v7, v8
	s_delay_alu instid0(VALU_DEP_1) | instskip(NEXT) | instid1(VALU_DEP_1)
	v_mov_b32_dpp v8, v7 row_shr:8 row_mask:0xf bank_mask:0xf
	v_cndmask_b32_e64 v8, 0, v8, s4
	s_delay_alu instid0(VALU_DEP_1)
	v_add_nc_u32_e32 v7, v7, v8
	ds_store_b32 v6, v7
.LBB140_4:
	s_or_b32 exec_lo, exec_lo, s9
	v_cmp_gt_u32_e32 vcc_lo, 32, v0
	s_mov_b32 s3, exec_lo
	s_waitcnt lgkmcnt(0)
	s_barrier
	buffer_gl0_inv
                                        ; implicit-def: $vgpr6
	v_cmpx_lt_u32_e32 31, v0
	s_cbranch_execz .LBB140_6
; %bb.5:
	v_lshl_add_u32 v5, v5, 2, -4
	ds_load_b32 v6, v5
	s_waitcnt lgkmcnt(0)
	v_add_nc_u32_e32 v4, v6, v4
.LBB140_6:
	s_or_b32 exec_lo, exec_lo, s3
	s_load_b32 s0, s[0:1], 0x10
	v_add_nc_u32_e32 v5, -1, v3
	s_delay_alu instid0(VALU_DEP_1) | instskip(NEXT) | instid1(VALU_DEP_1)
	v_cmp_gt_i32_e64 s2, 0, v5
	v_cndmask_b32_e64 v5, v5, v3, s2
	s_delay_alu instid0(VALU_DEP_1)
	v_lshlrev_b32_e32 v5, 2, v5
	ds_bpermute_b32 v5, v5, v4
	s_waitcnt lgkmcnt(0)
	v_mov_b32_e32 v4, s0
	s_and_saveexec_b32 s1, vcc_lo
	s_cbranch_execz .LBB140_10
; %bb.7:
	v_mov_b32_e32 v7, 0
	s_mov_b32 s2, exec_lo
	ds_load_b32 v4, v7 offset:60
	v_cmpx_eq_u32_e32 0, v0
	s_cbranch_execz .LBB140_9
; %bb.8:
	v_mov_b32_e32 v8, s0
	ds_store_b32 v7, v8 offset:60
.LBB140_9:
	s_or_b32 exec_lo, exec_lo, s2
	s_waitcnt lgkmcnt(0)
	v_add_nc_u32_e32 v4, s0, v4
.LBB140_10:
	s_or_b32 exec_lo, exec_lo, s1
	v_cmp_eq_u32_e32 vcc_lo, 0, v3
	s_barrier
	buffer_gl0_inv
	v_cndmask_b32_e32 v3, v5, v6, vcc_lo
	v_cmp_eq_u32_e32 vcc_lo, 0, v0
	s_delay_alu instid0(VALU_DEP_2)
	v_cndmask_b32_e64 v0, v3, 0, vcc_lo
	v_mov_b32_e32 v7, 0
	ds_load_b32 v8, v7 offset:60
	s_waitcnt lgkmcnt(0)
	v_add_nc_u32_e32 v0, v8, v0
	global_store_b32 v[1:2], v0, off
	s_and_saveexec_b32 s0, vcc_lo
	s_cbranch_execz .LBB140_12
; %bb.11:
	s_mov_b32 s9, 0
	s_delay_alu instid0(SALU_CYCLE_1) | instskip(NEXT) | instid1(SALU_CYCLE_1)
	s_lshl_b64 s[0:1], s[8:9], 2
	s_add_u32 s0, s6, s0
	s_addc_u32 s1, s7, s1
	global_store_b32 v7, v4, s[0:1]
.LBB140_12:
	s_nop 0
	s_sendmsg sendmsg(MSG_DEALLOC_VGPRS)
	s_endpgm
	.section	.rodata,"a",@progbits
	.p2align	6, 0x0
	.amdhsa_kernel _Z37exclusive_scan_prefix_callback_kernelILj512ELN6hipcub18BlockScanAlgorithmE0EiEvPT1_S3_S2_
		.amdhsa_group_segment_fixed_size 64
		.amdhsa_private_segment_fixed_size 0
		.amdhsa_kernarg_size 20
		.amdhsa_user_sgpr_count 15
		.amdhsa_user_sgpr_dispatch_ptr 0
		.amdhsa_user_sgpr_queue_ptr 0
		.amdhsa_user_sgpr_kernarg_segment_ptr 1
		.amdhsa_user_sgpr_dispatch_id 0
		.amdhsa_user_sgpr_private_segment_size 0
		.amdhsa_wavefront_size32 1
		.amdhsa_uses_dynamic_stack 0
		.amdhsa_enable_private_segment 0
		.amdhsa_system_sgpr_workgroup_id_x 1
		.amdhsa_system_sgpr_workgroup_id_y 0
		.amdhsa_system_sgpr_workgroup_id_z 0
		.amdhsa_system_sgpr_workgroup_info 0
		.amdhsa_system_vgpr_workitem_id 0
		.amdhsa_next_free_vgpr 9
		.amdhsa_next_free_sgpr 16
		.amdhsa_reserve_vcc 1
		.amdhsa_float_round_mode_32 0
		.amdhsa_float_round_mode_16_64 0
		.amdhsa_float_denorm_mode_32 3
		.amdhsa_float_denorm_mode_16_64 3
		.amdhsa_dx10_clamp 1
		.amdhsa_ieee_mode 1
		.amdhsa_fp16_overflow 0
		.amdhsa_workgroup_processor_mode 1
		.amdhsa_memory_ordered 1
		.amdhsa_forward_progress 0
		.amdhsa_shared_vgpr_count 0
		.amdhsa_exception_fp_ieee_invalid_op 0
		.amdhsa_exception_fp_denorm_src 0
		.amdhsa_exception_fp_ieee_div_zero 0
		.amdhsa_exception_fp_ieee_overflow 0
		.amdhsa_exception_fp_ieee_underflow 0
		.amdhsa_exception_fp_ieee_inexact 0
		.amdhsa_exception_int_div_zero 0
	.end_amdhsa_kernel
	.section	.text._Z37exclusive_scan_prefix_callback_kernelILj512ELN6hipcub18BlockScanAlgorithmE0EiEvPT1_S3_S2_,"axG",@progbits,_Z37exclusive_scan_prefix_callback_kernelILj512ELN6hipcub18BlockScanAlgorithmE0EiEvPT1_S3_S2_,comdat
.Lfunc_end140:
	.size	_Z37exclusive_scan_prefix_callback_kernelILj512ELN6hipcub18BlockScanAlgorithmE0EiEvPT1_S3_S2_, .Lfunc_end140-_Z37exclusive_scan_prefix_callback_kernelILj512ELN6hipcub18BlockScanAlgorithmE0EiEvPT1_S3_S2_
                                        ; -- End function
	.section	.AMDGPU.csdata,"",@progbits
; Kernel info:
; codeLenInByte = 736
; NumSgprs: 18
; NumVgprs: 9
; ScratchSize: 0
; MemoryBound: 0
; FloatMode: 240
; IeeeMode: 1
; LDSByteSize: 64 bytes/workgroup (compile time only)
; SGPRBlocks: 2
; VGPRBlocks: 1
; NumSGPRsForWavesPerEU: 18
; NumVGPRsForWavesPerEU: 9
; Occupancy: 16
; WaveLimiterHint : 0
; COMPUTE_PGM_RSRC2:SCRATCH_EN: 0
; COMPUTE_PGM_RSRC2:USER_SGPR: 15
; COMPUTE_PGM_RSRC2:TRAP_HANDLER: 0
; COMPUTE_PGM_RSRC2:TGID_X_EN: 1
; COMPUTE_PGM_RSRC2:TGID_Y_EN: 0
; COMPUTE_PGM_RSRC2:TGID_Z_EN: 0
; COMPUTE_PGM_RSRC2:TIDIG_COMP_CNT: 0
	.section	.text._Z37exclusive_scan_prefix_callback_kernelILj256ELN6hipcub18BlockScanAlgorithmE0EiEvPT1_S3_S2_,"axG",@progbits,_Z37exclusive_scan_prefix_callback_kernelILj256ELN6hipcub18BlockScanAlgorithmE0EiEvPT1_S3_S2_,comdat
	.protected	_Z37exclusive_scan_prefix_callback_kernelILj256ELN6hipcub18BlockScanAlgorithmE0EiEvPT1_S3_S2_ ; -- Begin function _Z37exclusive_scan_prefix_callback_kernelILj256ELN6hipcub18BlockScanAlgorithmE0EiEvPT1_S3_S2_
	.globl	_Z37exclusive_scan_prefix_callback_kernelILj256ELN6hipcub18BlockScanAlgorithmE0EiEvPT1_S3_S2_
	.p2align	8
	.type	_Z37exclusive_scan_prefix_callback_kernelILj256ELN6hipcub18BlockScanAlgorithmE0EiEvPT1_S3_S2_,@function
_Z37exclusive_scan_prefix_callback_kernelILj256ELN6hipcub18BlockScanAlgorithmE0EiEvPT1_S3_S2_: ; @_Z37exclusive_scan_prefix_callback_kernelILj256ELN6hipcub18BlockScanAlgorithmE0EiEvPT1_S3_S2_
; %bb.0:
	s_load_b128 s[4:7], s[0:1], 0x0
	s_mov_b32 s8, s15
	v_mbcnt_lo_u32_b32 v3, -1, 0
	v_mov_b32_e32 v2, 0
	v_lshl_or_b32 v1, s8, 8, v0
	v_or_b32_e32 v7, 31, v0
	s_mov_b32 s2, exec_lo
	v_and_b32_e32 v5, 15, v3
	s_delay_alu instid0(VALU_DEP_3) | instskip(SKIP_1) | instid1(VALU_DEP_1)
	v_lshlrev_b64 v[1:2], 2, v[1:2]
	s_waitcnt lgkmcnt(0)
	v_add_co_u32 v1, vcc_lo, s4, v1
	s_delay_alu instid0(VALU_DEP_2) | instskip(SKIP_4) | instid1(VALU_DEP_1)
	v_add_co_ci_u32_e32 v2, vcc_lo, s5, v2, vcc_lo
	v_cmp_ne_u32_e32 vcc_lo, 0, v5
	global_load_b32 v4, v[1:2], off
	s_waitcnt vmcnt(0)
	v_mov_b32_dpp v6, v4 row_shr:1 row_mask:0xf bank_mask:0xf
	v_cndmask_b32_e32 v6, 0, v6, vcc_lo
	v_cmp_lt_u32_e32 vcc_lo, 1, v5
	s_delay_alu instid0(VALU_DEP_2) | instskip(NEXT) | instid1(VALU_DEP_1)
	v_add_nc_u32_e32 v4, v6, v4
	v_mov_b32_dpp v6, v4 row_shr:2 row_mask:0xf bank_mask:0xf
	s_delay_alu instid0(VALU_DEP_1) | instskip(SKIP_1) | instid1(VALU_DEP_2)
	v_cndmask_b32_e32 v6, 0, v6, vcc_lo
	v_cmp_lt_u32_e32 vcc_lo, 3, v5
	v_add_nc_u32_e32 v4, v4, v6
	s_delay_alu instid0(VALU_DEP_1) | instskip(NEXT) | instid1(VALU_DEP_1)
	v_mov_b32_dpp v6, v4 row_shr:4 row_mask:0xf bank_mask:0xf
	v_cndmask_b32_e32 v6, 0, v6, vcc_lo
	v_cmp_lt_u32_e32 vcc_lo, 7, v5
	s_delay_alu instid0(VALU_DEP_2) | instskip(NEXT) | instid1(VALU_DEP_1)
	v_add_nc_u32_e32 v4, v4, v6
	v_mov_b32_dpp v6, v4 row_shr:8 row_mask:0xf bank_mask:0xf
	s_delay_alu instid0(VALU_DEP_1) | instskip(SKIP_1) | instid1(VALU_DEP_2)
	v_cndmask_b32_e32 v5, 0, v6, vcc_lo
	v_bfe_i32 v6, v3, 4, 1
	v_add_nc_u32_e32 v4, v4, v5
	ds_swizzle_b32 v5, v4 offset:swizzle(BROADCAST,32,15)
	s_waitcnt lgkmcnt(0)
	v_and_b32_e32 v6, v6, v5
	v_lshrrev_b32_e32 v5, 5, v0
	s_delay_alu instid0(VALU_DEP_2)
	v_add_nc_u32_e32 v4, v4, v6
	v_cmpx_eq_u32_e64 v7, v0
	s_cbranch_execz .LBB141_2
; %bb.1:
	s_delay_alu instid0(VALU_DEP_3)
	v_lshlrev_b32_e32 v6, 2, v5
	ds_store_b32 v6, v4
.LBB141_2:
	s_or_b32 exec_lo, exec_lo, s2
	s_delay_alu instid0(SALU_CYCLE_1)
	s_mov_b32 s2, exec_lo
	s_waitcnt lgkmcnt(0)
	s_barrier
	buffer_gl0_inv
	v_cmpx_gt_u32_e32 8, v0
	s_cbranch_execz .LBB141_4
; %bb.3:
	v_and_b32_e32 v8, 7, v3
	s_delay_alu instid0(VALU_DEP_1) | instskip(SKIP_4) | instid1(VALU_DEP_1)
	v_cmp_ne_u32_e32 vcc_lo, 0, v8
	v_lshlrev_b32_e32 v6, 2, v0
	ds_load_b32 v7, v6
	s_waitcnt lgkmcnt(0)
	v_mov_b32_dpp v9, v7 row_shr:1 row_mask:0xf bank_mask:0xf
	v_cndmask_b32_e32 v9, 0, v9, vcc_lo
	v_cmp_lt_u32_e32 vcc_lo, 1, v8
	s_delay_alu instid0(VALU_DEP_2) | instskip(NEXT) | instid1(VALU_DEP_1)
	v_add_nc_u32_e32 v7, v9, v7
	v_mov_b32_dpp v9, v7 row_shr:2 row_mask:0xf bank_mask:0xf
	s_delay_alu instid0(VALU_DEP_1) | instskip(SKIP_1) | instid1(VALU_DEP_2)
	v_cndmask_b32_e32 v9, 0, v9, vcc_lo
	v_cmp_lt_u32_e32 vcc_lo, 3, v8
	v_add_nc_u32_e32 v7, v7, v9
	s_delay_alu instid0(VALU_DEP_1) | instskip(NEXT) | instid1(VALU_DEP_1)
	v_mov_b32_dpp v9, v7 row_shr:4 row_mask:0xf bank_mask:0xf
	v_cndmask_b32_e32 v8, 0, v9, vcc_lo
	s_delay_alu instid0(VALU_DEP_1)
	v_add_nc_u32_e32 v7, v7, v8
	ds_store_b32 v6, v7
.LBB141_4:
	s_or_b32 exec_lo, exec_lo, s2
	v_cmp_gt_u32_e32 vcc_lo, 32, v0
	s_mov_b32 s3, exec_lo
	s_waitcnt lgkmcnt(0)
	s_barrier
	buffer_gl0_inv
                                        ; implicit-def: $vgpr6
	v_cmpx_lt_u32_e32 31, v0
	s_cbranch_execz .LBB141_6
; %bb.5:
	v_lshl_add_u32 v5, v5, 2, -4
	ds_load_b32 v6, v5
	s_waitcnt lgkmcnt(0)
	v_add_nc_u32_e32 v4, v6, v4
.LBB141_6:
	s_or_b32 exec_lo, exec_lo, s3
	s_load_b32 s0, s[0:1], 0x10
	v_add_nc_u32_e32 v5, -1, v3
	s_delay_alu instid0(VALU_DEP_1) | instskip(NEXT) | instid1(VALU_DEP_1)
	v_cmp_gt_i32_e64 s2, 0, v5
	v_cndmask_b32_e64 v5, v5, v3, s2
	s_delay_alu instid0(VALU_DEP_1)
	v_lshlrev_b32_e32 v5, 2, v5
	ds_bpermute_b32 v5, v5, v4
	s_waitcnt lgkmcnt(0)
	v_mov_b32_e32 v4, s0
	s_and_saveexec_b32 s1, vcc_lo
	s_cbranch_execz .LBB141_10
; %bb.7:
	v_mov_b32_e32 v7, 0
	s_mov_b32 s2, exec_lo
	ds_load_b32 v4, v7 offset:28
	v_cmpx_eq_u32_e32 0, v0
	s_cbranch_execz .LBB141_9
; %bb.8:
	v_mov_b32_e32 v8, s0
	ds_store_b32 v7, v8 offset:28
.LBB141_9:
	s_or_b32 exec_lo, exec_lo, s2
	s_waitcnt lgkmcnt(0)
	v_add_nc_u32_e32 v4, s0, v4
.LBB141_10:
	s_or_b32 exec_lo, exec_lo, s1
	v_cmp_eq_u32_e32 vcc_lo, 0, v3
	s_barrier
	buffer_gl0_inv
	v_cndmask_b32_e32 v3, v5, v6, vcc_lo
	v_cmp_eq_u32_e32 vcc_lo, 0, v0
	s_delay_alu instid0(VALU_DEP_2)
	v_cndmask_b32_e64 v0, v3, 0, vcc_lo
	v_mov_b32_e32 v7, 0
	ds_load_b32 v8, v7 offset:28
	s_waitcnt lgkmcnt(0)
	v_add_nc_u32_e32 v0, v8, v0
	global_store_b32 v[1:2], v0, off
	s_and_saveexec_b32 s0, vcc_lo
	s_cbranch_execz .LBB141_12
; %bb.11:
	s_mov_b32 s9, 0
	s_delay_alu instid0(SALU_CYCLE_1) | instskip(NEXT) | instid1(SALU_CYCLE_1)
	s_lshl_b64 s[0:1], s[8:9], 2
	s_add_u32 s0, s6, s0
	s_addc_u32 s1, s7, s1
	global_store_b32 v7, v4, s[0:1]
.LBB141_12:
	s_nop 0
	s_sendmsg sendmsg(MSG_DEALLOC_VGPRS)
	s_endpgm
	.section	.rodata,"a",@progbits
	.p2align	6, 0x0
	.amdhsa_kernel _Z37exclusive_scan_prefix_callback_kernelILj256ELN6hipcub18BlockScanAlgorithmE0EiEvPT1_S3_S2_
		.amdhsa_group_segment_fixed_size 32
		.amdhsa_private_segment_fixed_size 0
		.amdhsa_kernarg_size 20
		.amdhsa_user_sgpr_count 15
		.amdhsa_user_sgpr_dispatch_ptr 0
		.amdhsa_user_sgpr_queue_ptr 0
		.amdhsa_user_sgpr_kernarg_segment_ptr 1
		.amdhsa_user_sgpr_dispatch_id 0
		.amdhsa_user_sgpr_private_segment_size 0
		.amdhsa_wavefront_size32 1
		.amdhsa_uses_dynamic_stack 0
		.amdhsa_enable_private_segment 0
		.amdhsa_system_sgpr_workgroup_id_x 1
		.amdhsa_system_sgpr_workgroup_id_y 0
		.amdhsa_system_sgpr_workgroup_id_z 0
		.amdhsa_system_sgpr_workgroup_info 0
		.amdhsa_system_vgpr_workitem_id 0
		.amdhsa_next_free_vgpr 10
		.amdhsa_next_free_sgpr 16
		.amdhsa_reserve_vcc 1
		.amdhsa_float_round_mode_32 0
		.amdhsa_float_round_mode_16_64 0
		.amdhsa_float_denorm_mode_32 3
		.amdhsa_float_denorm_mode_16_64 3
		.amdhsa_dx10_clamp 1
		.amdhsa_ieee_mode 1
		.amdhsa_fp16_overflow 0
		.amdhsa_workgroup_processor_mode 1
		.amdhsa_memory_ordered 1
		.amdhsa_forward_progress 0
		.amdhsa_shared_vgpr_count 0
		.amdhsa_exception_fp_ieee_invalid_op 0
		.amdhsa_exception_fp_denorm_src 0
		.amdhsa_exception_fp_ieee_div_zero 0
		.amdhsa_exception_fp_ieee_overflow 0
		.amdhsa_exception_fp_ieee_underflow 0
		.amdhsa_exception_fp_ieee_inexact 0
		.amdhsa_exception_int_div_zero 0
	.end_amdhsa_kernel
	.section	.text._Z37exclusive_scan_prefix_callback_kernelILj256ELN6hipcub18BlockScanAlgorithmE0EiEvPT1_S3_S2_,"axG",@progbits,_Z37exclusive_scan_prefix_callback_kernelILj256ELN6hipcub18BlockScanAlgorithmE0EiEvPT1_S3_S2_,comdat
.Lfunc_end141:
	.size	_Z37exclusive_scan_prefix_callback_kernelILj256ELN6hipcub18BlockScanAlgorithmE0EiEvPT1_S3_S2_, .Lfunc_end141-_Z37exclusive_scan_prefix_callback_kernelILj256ELN6hipcub18BlockScanAlgorithmE0EiEvPT1_S3_S2_
                                        ; -- End function
	.section	.AMDGPU.csdata,"",@progbits
; Kernel info:
; codeLenInByte = 688
; NumSgprs: 18
; NumVgprs: 10
; ScratchSize: 0
; MemoryBound: 0
; FloatMode: 240
; IeeeMode: 1
; LDSByteSize: 32 bytes/workgroup (compile time only)
; SGPRBlocks: 2
; VGPRBlocks: 1
; NumSGPRsForWavesPerEU: 18
; NumVGPRsForWavesPerEU: 10
; Occupancy: 16
; WaveLimiterHint : 0
; COMPUTE_PGM_RSRC2:SCRATCH_EN: 0
; COMPUTE_PGM_RSRC2:USER_SGPR: 15
; COMPUTE_PGM_RSRC2:TRAP_HANDLER: 0
; COMPUTE_PGM_RSRC2:TGID_X_EN: 1
; COMPUTE_PGM_RSRC2:TGID_Y_EN: 0
; COMPUTE_PGM_RSRC2:TGID_Z_EN: 0
; COMPUTE_PGM_RSRC2:TIDIG_COMP_CNT: 0
	.section	.text._Z37exclusive_scan_prefix_callback_kernelILj128ELN6hipcub18BlockScanAlgorithmE0EiEvPT1_S3_S2_,"axG",@progbits,_Z37exclusive_scan_prefix_callback_kernelILj128ELN6hipcub18BlockScanAlgorithmE0EiEvPT1_S3_S2_,comdat
	.protected	_Z37exclusive_scan_prefix_callback_kernelILj128ELN6hipcub18BlockScanAlgorithmE0EiEvPT1_S3_S2_ ; -- Begin function _Z37exclusive_scan_prefix_callback_kernelILj128ELN6hipcub18BlockScanAlgorithmE0EiEvPT1_S3_S2_
	.globl	_Z37exclusive_scan_prefix_callback_kernelILj128ELN6hipcub18BlockScanAlgorithmE0EiEvPT1_S3_S2_
	.p2align	8
	.type	_Z37exclusive_scan_prefix_callback_kernelILj128ELN6hipcub18BlockScanAlgorithmE0EiEvPT1_S3_S2_,@function
_Z37exclusive_scan_prefix_callback_kernelILj128ELN6hipcub18BlockScanAlgorithmE0EiEvPT1_S3_S2_: ; @_Z37exclusive_scan_prefix_callback_kernelILj128ELN6hipcub18BlockScanAlgorithmE0EiEvPT1_S3_S2_
; %bb.0:
	s_load_b128 s[4:7], s[0:1], 0x0
	s_mov_b32 s8, s15
	v_mbcnt_lo_u32_b32 v3, -1, 0
	v_mov_b32_e32 v2, 0
	v_lshl_or_b32 v1, s8, 7, v0
	v_or_b32_e32 v7, 31, v0
	s_mov_b32 s2, exec_lo
	v_and_b32_e32 v5, 15, v3
	s_delay_alu instid0(VALU_DEP_3) | instskip(SKIP_1) | instid1(VALU_DEP_1)
	v_lshlrev_b64 v[1:2], 2, v[1:2]
	s_waitcnt lgkmcnt(0)
	v_add_co_u32 v1, vcc_lo, s4, v1
	s_delay_alu instid0(VALU_DEP_2) | instskip(SKIP_4) | instid1(VALU_DEP_1)
	v_add_co_ci_u32_e32 v2, vcc_lo, s5, v2, vcc_lo
	v_cmp_ne_u32_e32 vcc_lo, 0, v5
	global_load_b32 v4, v[1:2], off
	s_waitcnt vmcnt(0)
	v_mov_b32_dpp v6, v4 row_shr:1 row_mask:0xf bank_mask:0xf
	v_cndmask_b32_e32 v6, 0, v6, vcc_lo
	v_cmp_lt_u32_e32 vcc_lo, 1, v5
	s_delay_alu instid0(VALU_DEP_2) | instskip(NEXT) | instid1(VALU_DEP_1)
	v_add_nc_u32_e32 v4, v6, v4
	v_mov_b32_dpp v6, v4 row_shr:2 row_mask:0xf bank_mask:0xf
	s_delay_alu instid0(VALU_DEP_1) | instskip(SKIP_1) | instid1(VALU_DEP_2)
	v_cndmask_b32_e32 v6, 0, v6, vcc_lo
	v_cmp_lt_u32_e32 vcc_lo, 3, v5
	v_add_nc_u32_e32 v4, v4, v6
	s_delay_alu instid0(VALU_DEP_1) | instskip(NEXT) | instid1(VALU_DEP_1)
	v_mov_b32_dpp v6, v4 row_shr:4 row_mask:0xf bank_mask:0xf
	v_cndmask_b32_e32 v6, 0, v6, vcc_lo
	v_cmp_lt_u32_e32 vcc_lo, 7, v5
	s_delay_alu instid0(VALU_DEP_2) | instskip(NEXT) | instid1(VALU_DEP_1)
	v_add_nc_u32_e32 v4, v4, v6
	v_mov_b32_dpp v6, v4 row_shr:8 row_mask:0xf bank_mask:0xf
	s_delay_alu instid0(VALU_DEP_1) | instskip(SKIP_1) | instid1(VALU_DEP_2)
	v_cndmask_b32_e32 v5, 0, v6, vcc_lo
	v_bfe_i32 v6, v3, 4, 1
	v_add_nc_u32_e32 v4, v4, v5
	ds_swizzle_b32 v5, v4 offset:swizzle(BROADCAST,32,15)
	s_waitcnt lgkmcnt(0)
	v_and_b32_e32 v5, v6, v5
	v_lshrrev_b32_e32 v6, 5, v0
	s_delay_alu instid0(VALU_DEP_2)
	v_add_nc_u32_e32 v4, v4, v5
	v_cmpx_eq_u32_e64 v7, v0
	s_cbranch_execz .LBB142_2
; %bb.1:
	s_delay_alu instid0(VALU_DEP_3)
	v_lshlrev_b32_e32 v5, 2, v6
	ds_store_b32 v5, v4
.LBB142_2:
	s_or_b32 exec_lo, exec_lo, s2
	s_delay_alu instid0(SALU_CYCLE_1)
	s_mov_b32 s2, exec_lo
	s_waitcnt lgkmcnt(0)
	s_barrier
	buffer_gl0_inv
	v_cmpx_gt_u32_e32 4, v0
	s_cbranch_execz .LBB142_4
; %bb.3:
	v_lshlrev_b32_e32 v5, 2, v0
	ds_load_b32 v7, v5
	s_waitcnt lgkmcnt(0)
	v_mov_b32_dpp v9, v7 row_shr:1 row_mask:0xf bank_mask:0xf
	v_and_b32_e32 v8, 3, v3
	s_delay_alu instid0(VALU_DEP_1) | instskip(NEXT) | instid1(VALU_DEP_3)
	v_cmp_ne_u32_e32 vcc_lo, 0, v8
	v_cndmask_b32_e32 v9, 0, v9, vcc_lo
	v_cmp_lt_u32_e32 vcc_lo, 1, v8
	s_delay_alu instid0(VALU_DEP_2) | instskip(NEXT) | instid1(VALU_DEP_1)
	v_add_nc_u32_e32 v7, v9, v7
	v_mov_b32_dpp v9, v7 row_shr:2 row_mask:0xf bank_mask:0xf
	s_delay_alu instid0(VALU_DEP_1) | instskip(NEXT) | instid1(VALU_DEP_1)
	v_cndmask_b32_e32 v8, 0, v9, vcc_lo
	v_add_nc_u32_e32 v7, v7, v8
	ds_store_b32 v5, v7
.LBB142_4:
	s_or_b32 exec_lo, exec_lo, s2
	v_cmp_gt_u32_e32 vcc_lo, 32, v0
	s_mov_b32 s3, exec_lo
	s_waitcnt lgkmcnt(0)
	s_barrier
	buffer_gl0_inv
                                        ; implicit-def: $vgpr5
	v_cmpx_lt_u32_e32 31, v0
	s_cbranch_execz .LBB142_6
; %bb.5:
	v_lshl_add_u32 v5, v6, 2, -4
	ds_load_b32 v5, v5
	s_waitcnt lgkmcnt(0)
	v_add_nc_u32_e32 v4, v5, v4
.LBB142_6:
	s_or_b32 exec_lo, exec_lo, s3
	v_add_nc_u32_e32 v6, -1, v3
	s_load_b32 s0, s[0:1], 0x10
	s_delay_alu instid0(VALU_DEP_1) | instskip(NEXT) | instid1(VALU_DEP_1)
	v_cmp_gt_i32_e64 s2, 0, v6
	v_cndmask_b32_e64 v6, v6, v3, s2
	s_delay_alu instid0(VALU_DEP_1)
	v_lshlrev_b32_e32 v6, 2, v6
	ds_bpermute_b32 v6, v6, v4
	s_waitcnt lgkmcnt(0)
	v_mov_b32_e32 v4, s0
	s_and_saveexec_b32 s1, vcc_lo
	s_cbranch_execz .LBB142_10
; %bb.7:
	v_mov_b32_e32 v7, 0
	s_mov_b32 s2, exec_lo
	ds_load_b32 v4, v7 offset:12
	v_cmpx_eq_u32_e32 0, v0
	s_cbranch_execz .LBB142_9
; %bb.8:
	v_mov_b32_e32 v8, s0
	ds_store_b32 v7, v8 offset:12
.LBB142_9:
	s_or_b32 exec_lo, exec_lo, s2
	s_waitcnt lgkmcnt(0)
	v_add_nc_u32_e32 v4, s0, v4
.LBB142_10:
	s_or_b32 exec_lo, exec_lo, s1
	v_cmp_eq_u32_e32 vcc_lo, 0, v3
	s_barrier
	buffer_gl0_inv
	v_cndmask_b32_e32 v3, v6, v5, vcc_lo
	v_cmp_eq_u32_e32 vcc_lo, 0, v0
	s_delay_alu instid0(VALU_DEP_2)
	v_cndmask_b32_e64 v0, v3, 0, vcc_lo
	v_mov_b32_e32 v7, 0
	ds_load_b32 v8, v7 offset:12
	s_waitcnt lgkmcnt(0)
	v_add_nc_u32_e32 v0, v8, v0
	global_store_b32 v[1:2], v0, off
	s_and_saveexec_b32 s0, vcc_lo
	s_cbranch_execz .LBB142_12
; %bb.11:
	s_mov_b32 s9, 0
	s_delay_alu instid0(SALU_CYCLE_1) | instskip(NEXT) | instid1(SALU_CYCLE_1)
	s_lshl_b64 s[0:1], s[8:9], 2
	s_add_u32 s0, s6, s0
	s_addc_u32 s1, s7, s1
	global_store_b32 v7, v4, s[0:1]
.LBB142_12:
	s_nop 0
	s_sendmsg sendmsg(MSG_DEALLOC_VGPRS)
	s_endpgm
	.section	.rodata,"a",@progbits
	.p2align	6, 0x0
	.amdhsa_kernel _Z37exclusive_scan_prefix_callback_kernelILj128ELN6hipcub18BlockScanAlgorithmE0EiEvPT1_S3_S2_
		.amdhsa_group_segment_fixed_size 16
		.amdhsa_private_segment_fixed_size 0
		.amdhsa_kernarg_size 20
		.amdhsa_user_sgpr_count 15
		.amdhsa_user_sgpr_dispatch_ptr 0
		.amdhsa_user_sgpr_queue_ptr 0
		.amdhsa_user_sgpr_kernarg_segment_ptr 1
		.amdhsa_user_sgpr_dispatch_id 0
		.amdhsa_user_sgpr_private_segment_size 0
		.amdhsa_wavefront_size32 1
		.amdhsa_uses_dynamic_stack 0
		.amdhsa_enable_private_segment 0
		.amdhsa_system_sgpr_workgroup_id_x 1
		.amdhsa_system_sgpr_workgroup_id_y 0
		.amdhsa_system_sgpr_workgroup_id_z 0
		.amdhsa_system_sgpr_workgroup_info 0
		.amdhsa_system_vgpr_workitem_id 0
		.amdhsa_next_free_vgpr 10
		.amdhsa_next_free_sgpr 16
		.amdhsa_reserve_vcc 1
		.amdhsa_float_round_mode_32 0
		.amdhsa_float_round_mode_16_64 0
		.amdhsa_float_denorm_mode_32 3
		.amdhsa_float_denorm_mode_16_64 3
		.amdhsa_dx10_clamp 1
		.amdhsa_ieee_mode 1
		.amdhsa_fp16_overflow 0
		.amdhsa_workgroup_processor_mode 1
		.amdhsa_memory_ordered 1
		.amdhsa_forward_progress 0
		.amdhsa_shared_vgpr_count 0
		.amdhsa_exception_fp_ieee_invalid_op 0
		.amdhsa_exception_fp_denorm_src 0
		.amdhsa_exception_fp_ieee_div_zero 0
		.amdhsa_exception_fp_ieee_overflow 0
		.amdhsa_exception_fp_ieee_underflow 0
		.amdhsa_exception_fp_ieee_inexact 0
		.amdhsa_exception_int_div_zero 0
	.end_amdhsa_kernel
	.section	.text._Z37exclusive_scan_prefix_callback_kernelILj128ELN6hipcub18BlockScanAlgorithmE0EiEvPT1_S3_S2_,"axG",@progbits,_Z37exclusive_scan_prefix_callback_kernelILj128ELN6hipcub18BlockScanAlgorithmE0EiEvPT1_S3_S2_,comdat
.Lfunc_end142:
	.size	_Z37exclusive_scan_prefix_callback_kernelILj128ELN6hipcub18BlockScanAlgorithmE0EiEvPT1_S3_S2_, .Lfunc_end142-_Z37exclusive_scan_prefix_callback_kernelILj128ELN6hipcub18BlockScanAlgorithmE0EiEvPT1_S3_S2_
                                        ; -- End function
	.section	.AMDGPU.csdata,"",@progbits
; Kernel info:
; codeLenInByte = 660
; NumSgprs: 18
; NumVgprs: 10
; ScratchSize: 0
; MemoryBound: 0
; FloatMode: 240
; IeeeMode: 1
; LDSByteSize: 16 bytes/workgroup (compile time only)
; SGPRBlocks: 2
; VGPRBlocks: 1
; NumSGPRsForWavesPerEU: 18
; NumVGPRsForWavesPerEU: 10
; Occupancy: 16
; WaveLimiterHint : 0
; COMPUTE_PGM_RSRC2:SCRATCH_EN: 0
; COMPUTE_PGM_RSRC2:USER_SGPR: 15
; COMPUTE_PGM_RSRC2:TRAP_HANDLER: 0
; COMPUTE_PGM_RSRC2:TGID_X_EN: 1
; COMPUTE_PGM_RSRC2:TGID_Y_EN: 0
; COMPUTE_PGM_RSRC2:TGID_Z_EN: 0
; COMPUTE_PGM_RSRC2:TIDIG_COMP_CNT: 0
	.section	.text._Z37exclusive_scan_prefix_callback_kernelILj64ELN6hipcub18BlockScanAlgorithmE0EiEvPT1_S3_S2_,"axG",@progbits,_Z37exclusive_scan_prefix_callback_kernelILj64ELN6hipcub18BlockScanAlgorithmE0EiEvPT1_S3_S2_,comdat
	.protected	_Z37exclusive_scan_prefix_callback_kernelILj64ELN6hipcub18BlockScanAlgorithmE0EiEvPT1_S3_S2_ ; -- Begin function _Z37exclusive_scan_prefix_callback_kernelILj64ELN6hipcub18BlockScanAlgorithmE0EiEvPT1_S3_S2_
	.globl	_Z37exclusive_scan_prefix_callback_kernelILj64ELN6hipcub18BlockScanAlgorithmE0EiEvPT1_S3_S2_
	.p2align	8
	.type	_Z37exclusive_scan_prefix_callback_kernelILj64ELN6hipcub18BlockScanAlgorithmE0EiEvPT1_S3_S2_,@function
_Z37exclusive_scan_prefix_callback_kernelILj64ELN6hipcub18BlockScanAlgorithmE0EiEvPT1_S3_S2_: ; @_Z37exclusive_scan_prefix_callback_kernelILj64ELN6hipcub18BlockScanAlgorithmE0EiEvPT1_S3_S2_
; %bb.0:
	s_load_b128 s[4:7], s[0:1], 0x0
	s_mov_b32 s8, s15
	v_mbcnt_lo_u32_b32 v3, -1, 0
	v_mov_b32_e32 v2, 0
	v_lshl_or_b32 v1, s8, 6, v0
	v_or_b32_e32 v7, 31, v0
	s_mov_b32 s2, exec_lo
	v_and_b32_e32 v5, 15, v3
	s_delay_alu instid0(VALU_DEP_3) | instskip(SKIP_1) | instid1(VALU_DEP_1)
	v_lshlrev_b64 v[1:2], 2, v[1:2]
	s_waitcnt lgkmcnt(0)
	v_add_co_u32 v1, vcc_lo, s4, v1
	s_delay_alu instid0(VALU_DEP_2) | instskip(SKIP_4) | instid1(VALU_DEP_1)
	v_add_co_ci_u32_e32 v2, vcc_lo, s5, v2, vcc_lo
	v_cmp_ne_u32_e32 vcc_lo, 0, v5
	global_load_b32 v4, v[1:2], off
	s_waitcnt vmcnt(0)
	v_mov_b32_dpp v6, v4 row_shr:1 row_mask:0xf bank_mask:0xf
	v_cndmask_b32_e32 v6, 0, v6, vcc_lo
	v_cmp_lt_u32_e32 vcc_lo, 1, v5
	s_delay_alu instid0(VALU_DEP_2) | instskip(NEXT) | instid1(VALU_DEP_1)
	v_add_nc_u32_e32 v4, v6, v4
	v_mov_b32_dpp v6, v4 row_shr:2 row_mask:0xf bank_mask:0xf
	s_delay_alu instid0(VALU_DEP_1) | instskip(SKIP_1) | instid1(VALU_DEP_2)
	v_cndmask_b32_e32 v6, 0, v6, vcc_lo
	v_cmp_lt_u32_e32 vcc_lo, 3, v5
	v_add_nc_u32_e32 v4, v4, v6
	s_delay_alu instid0(VALU_DEP_1) | instskip(NEXT) | instid1(VALU_DEP_1)
	v_mov_b32_dpp v6, v4 row_shr:4 row_mask:0xf bank_mask:0xf
	v_cndmask_b32_e32 v6, 0, v6, vcc_lo
	v_cmp_lt_u32_e32 vcc_lo, 7, v5
	s_delay_alu instid0(VALU_DEP_2) | instskip(NEXT) | instid1(VALU_DEP_1)
	v_add_nc_u32_e32 v4, v4, v6
	v_mov_b32_dpp v6, v4 row_shr:8 row_mask:0xf bank_mask:0xf
	s_delay_alu instid0(VALU_DEP_1) | instskip(SKIP_1) | instid1(VALU_DEP_2)
	v_cndmask_b32_e32 v5, 0, v6, vcc_lo
	v_bfe_i32 v6, v3, 4, 1
	v_add_nc_u32_e32 v4, v4, v5
	ds_swizzle_b32 v5, v4 offset:swizzle(BROADCAST,32,15)
	s_waitcnt lgkmcnt(0)
	v_and_b32_e32 v5, v6, v5
	v_lshrrev_b32_e32 v6, 5, v0
	s_delay_alu instid0(VALU_DEP_2)
	v_add_nc_u32_e32 v4, v4, v5
	v_cmpx_eq_u32_e64 v7, v0
	s_cbranch_execz .LBB143_2
; %bb.1:
	s_delay_alu instid0(VALU_DEP_3)
	v_lshlrev_b32_e32 v5, 2, v6
	ds_store_b32 v5, v4
.LBB143_2:
	s_or_b32 exec_lo, exec_lo, s2
	s_delay_alu instid0(SALU_CYCLE_1)
	s_mov_b32 s2, exec_lo
	s_waitcnt lgkmcnt(0)
	s_barrier
	buffer_gl0_inv
	v_cmpx_gt_u32_e32 2, v0
	s_cbranch_execz .LBB143_4
; %bb.3:
	v_lshlrev_b32_e32 v5, 2, v0
	v_bfe_i32 v8, v3, 0, 1
	ds_load_b32 v7, v5
	s_waitcnt lgkmcnt(0)
	v_mov_b32_dpp v9, v7 row_shr:1 row_mask:0xf bank_mask:0xf
	s_delay_alu instid0(VALU_DEP_1) | instskip(NEXT) | instid1(VALU_DEP_1)
	v_and_b32_e32 v8, v8, v9
	v_add_nc_u32_e32 v7, v8, v7
	ds_store_b32 v5, v7
.LBB143_4:
	s_or_b32 exec_lo, exec_lo, s2
	v_cmp_gt_u32_e32 vcc_lo, 32, v0
	s_mov_b32 s3, exec_lo
	s_waitcnt lgkmcnt(0)
	s_barrier
	buffer_gl0_inv
                                        ; implicit-def: $vgpr5
	v_cmpx_lt_u32_e32 31, v0
	s_cbranch_execz .LBB143_6
; %bb.5:
	v_lshl_add_u32 v5, v6, 2, -4
	ds_load_b32 v5, v5
	s_waitcnt lgkmcnt(0)
	v_add_nc_u32_e32 v4, v5, v4
.LBB143_6:
	s_or_b32 exec_lo, exec_lo, s3
	v_add_nc_u32_e32 v6, -1, v3
	s_load_b32 s0, s[0:1], 0x10
	s_delay_alu instid0(VALU_DEP_1) | instskip(NEXT) | instid1(VALU_DEP_1)
	v_cmp_gt_i32_e64 s2, 0, v6
	v_cndmask_b32_e64 v6, v6, v3, s2
	s_delay_alu instid0(VALU_DEP_1)
	v_lshlrev_b32_e32 v6, 2, v6
	ds_bpermute_b32 v6, v6, v4
	s_waitcnt lgkmcnt(0)
	v_mov_b32_e32 v4, s0
	s_and_saveexec_b32 s1, vcc_lo
	s_cbranch_execz .LBB143_10
; %bb.7:
	v_mov_b32_e32 v7, 0
	s_mov_b32 s2, exec_lo
	ds_load_b32 v4, v7 offset:4
	v_cmpx_eq_u32_e32 0, v0
	s_cbranch_execz .LBB143_9
; %bb.8:
	v_mov_b32_e32 v8, s0
	ds_store_b32 v7, v8 offset:4
.LBB143_9:
	s_or_b32 exec_lo, exec_lo, s2
	s_waitcnt lgkmcnt(0)
	v_add_nc_u32_e32 v4, s0, v4
.LBB143_10:
	s_or_b32 exec_lo, exec_lo, s1
	v_cmp_eq_u32_e32 vcc_lo, 0, v3
	s_barrier
	buffer_gl0_inv
	v_cndmask_b32_e32 v3, v6, v5, vcc_lo
	v_cmp_eq_u32_e32 vcc_lo, 0, v0
	s_delay_alu instid0(VALU_DEP_2)
	v_cndmask_b32_e64 v0, v3, 0, vcc_lo
	v_mov_b32_e32 v7, 0
	ds_load_b32 v8, v7 offset:4
	s_waitcnt lgkmcnt(0)
	v_add_nc_u32_e32 v0, v8, v0
	global_store_b32 v[1:2], v0, off
	s_and_saveexec_b32 s0, vcc_lo
	s_cbranch_execz .LBB143_12
; %bb.11:
	s_mov_b32 s9, 0
	s_delay_alu instid0(SALU_CYCLE_1) | instskip(NEXT) | instid1(SALU_CYCLE_1)
	s_lshl_b64 s[0:1], s[8:9], 2
	s_add_u32 s0, s6, s0
	s_addc_u32 s1, s7, s1
	global_store_b32 v7, v4, s[0:1]
.LBB143_12:
	s_nop 0
	s_sendmsg sendmsg(MSG_DEALLOC_VGPRS)
	s_endpgm
	.section	.rodata,"a",@progbits
	.p2align	6, 0x0
	.amdhsa_kernel _Z37exclusive_scan_prefix_callback_kernelILj64ELN6hipcub18BlockScanAlgorithmE0EiEvPT1_S3_S2_
		.amdhsa_group_segment_fixed_size 8
		.amdhsa_private_segment_fixed_size 0
		.amdhsa_kernarg_size 20
		.amdhsa_user_sgpr_count 15
		.amdhsa_user_sgpr_dispatch_ptr 0
		.amdhsa_user_sgpr_queue_ptr 0
		.amdhsa_user_sgpr_kernarg_segment_ptr 1
		.amdhsa_user_sgpr_dispatch_id 0
		.amdhsa_user_sgpr_private_segment_size 0
		.amdhsa_wavefront_size32 1
		.amdhsa_uses_dynamic_stack 0
		.amdhsa_enable_private_segment 0
		.amdhsa_system_sgpr_workgroup_id_x 1
		.amdhsa_system_sgpr_workgroup_id_y 0
		.amdhsa_system_sgpr_workgroup_id_z 0
		.amdhsa_system_sgpr_workgroup_info 0
		.amdhsa_system_vgpr_workitem_id 0
		.amdhsa_next_free_vgpr 10
		.amdhsa_next_free_sgpr 16
		.amdhsa_reserve_vcc 1
		.amdhsa_float_round_mode_32 0
		.amdhsa_float_round_mode_16_64 0
		.amdhsa_float_denorm_mode_32 3
		.amdhsa_float_denorm_mode_16_64 3
		.amdhsa_dx10_clamp 1
		.amdhsa_ieee_mode 1
		.amdhsa_fp16_overflow 0
		.amdhsa_workgroup_processor_mode 1
		.amdhsa_memory_ordered 1
		.amdhsa_forward_progress 0
		.amdhsa_shared_vgpr_count 0
		.amdhsa_exception_fp_ieee_invalid_op 0
		.amdhsa_exception_fp_denorm_src 0
		.amdhsa_exception_fp_ieee_div_zero 0
		.amdhsa_exception_fp_ieee_overflow 0
		.amdhsa_exception_fp_ieee_underflow 0
		.amdhsa_exception_fp_ieee_inexact 0
		.amdhsa_exception_int_div_zero 0
	.end_amdhsa_kernel
	.section	.text._Z37exclusive_scan_prefix_callback_kernelILj64ELN6hipcub18BlockScanAlgorithmE0EiEvPT1_S3_S2_,"axG",@progbits,_Z37exclusive_scan_prefix_callback_kernelILj64ELN6hipcub18BlockScanAlgorithmE0EiEvPT1_S3_S2_,comdat
.Lfunc_end143:
	.size	_Z37exclusive_scan_prefix_callback_kernelILj64ELN6hipcub18BlockScanAlgorithmE0EiEvPT1_S3_S2_, .Lfunc_end143-_Z37exclusive_scan_prefix_callback_kernelILj64ELN6hipcub18BlockScanAlgorithmE0EiEvPT1_S3_S2_
                                        ; -- End function
	.section	.AMDGPU.csdata,"",@progbits
; Kernel info:
; codeLenInByte = 632
; NumSgprs: 18
; NumVgprs: 10
; ScratchSize: 0
; MemoryBound: 0
; FloatMode: 240
; IeeeMode: 1
; LDSByteSize: 8 bytes/workgroup (compile time only)
; SGPRBlocks: 2
; VGPRBlocks: 1
; NumSGPRsForWavesPerEU: 18
; NumVGPRsForWavesPerEU: 10
; Occupancy: 16
; WaveLimiterHint : 0
; COMPUTE_PGM_RSRC2:SCRATCH_EN: 0
; COMPUTE_PGM_RSRC2:USER_SGPR: 15
; COMPUTE_PGM_RSRC2:TRAP_HANDLER: 0
; COMPUTE_PGM_RSRC2:TGID_X_EN: 1
; COMPUTE_PGM_RSRC2:TGID_Y_EN: 0
; COMPUTE_PGM_RSRC2:TGID_Z_EN: 0
; COMPUTE_PGM_RSRC2:TIDIG_COMP_CNT: 0
	.section	.text._Z21inclusive_scan_kernelILj377ELN6hipcub18BlockScanAlgorithmE1EN10test_utils16custom_test_typeIhEEEvPT1_,"axG",@progbits,_Z21inclusive_scan_kernelILj377ELN6hipcub18BlockScanAlgorithmE1EN10test_utils16custom_test_typeIhEEEvPT1_,comdat
	.protected	_Z21inclusive_scan_kernelILj377ELN6hipcub18BlockScanAlgorithmE1EN10test_utils16custom_test_typeIhEEEvPT1_ ; -- Begin function _Z21inclusive_scan_kernelILj377ELN6hipcub18BlockScanAlgorithmE1EN10test_utils16custom_test_typeIhEEEvPT1_
	.globl	_Z21inclusive_scan_kernelILj377ELN6hipcub18BlockScanAlgorithmE1EN10test_utils16custom_test_typeIhEEEvPT1_
	.p2align	8
	.type	_Z21inclusive_scan_kernelILj377ELN6hipcub18BlockScanAlgorithmE1EN10test_utils16custom_test_typeIhEEEvPT1_,@function
_Z21inclusive_scan_kernelILj377ELN6hipcub18BlockScanAlgorithmE1EN10test_utils16custom_test_typeIhEEEvPT1_: ; @_Z21inclusive_scan_kernelILj377ELN6hipcub18BlockScanAlgorithmE1EN10test_utils16custom_test_typeIhEEEvPT1_
; %bb.0:
	s_load_b64 s[0:1], s[0:1], 0x0
	v_mad_u64_u32 v[1:2], null, 0x179, s15, v[0:1]
	v_dual_mov_b32 v2, 0 :: v_dual_lshlrev_b32 v3, 1, v0
	s_delay_alu instid0(VALU_DEP_1) | instskip(SKIP_1) | instid1(VALU_DEP_1)
	v_lshlrev_b64 v[1:2], 1, v[1:2]
	s_waitcnt lgkmcnt(0)
	v_add_co_u32 v1, vcc_lo, s0, v1
	s_delay_alu instid0(VALU_DEP_2)
	v_add_co_ci_u32_e32 v2, vcc_lo, s1, v2, vcc_lo
	s_mov_b32 s1, exec_lo
	global_load_u16 v4, v[1:2], off
	s_waitcnt vmcnt(0)
	v_lshrrev_b16 v5, 8, v4
	ds_store_b8 v3, v4
	ds_store_b8 v3, v5 offset:1
	s_waitcnt lgkmcnt(0)
	s_barrier
	buffer_gl0_inv
	v_cmpx_gt_u32_e32 32, v0
	s_cbranch_execz .LBB144_2
; %bb.1:
	v_mbcnt_lo_u32_b32 v35, -1, 0
	v_mul_u32_u24_e32 v6, 12, v0
	s_delay_alu instid0(VALU_DEP_2) | instskip(NEXT) | instid1(VALU_DEP_1)
	v_and_b32_e32 v37, 15, v35
	v_cmp_eq_u32_e32 vcc_lo, 0, v37
	s_delay_alu instid0(VALU_DEP_3)
	v_lshlrev_b32_e32 v12, 1, v6
	ds_load_u16 v10, v12
	ds_load_b128 v[6:9], v12
	s_waitcnt lgkmcnt(1)
	v_lshrrev_b16 v11, 8, v10
	s_waitcnt lgkmcnt(0)
	v_lshrrev_b32_e32 v13, 24, v6
	v_lshrrev_b32_e32 v14, 16, v6
	;; [unrolled: 1-line block ×5, first 2 shown]
	v_add_nc_u16 v11, v13, v11
	v_add_nc_u16 v17, v14, v10
	v_lshrrev_b32_e32 v20, 8, v8
	v_lshrrev_b32_e32 v21, 24, v8
	;; [unrolled: 1-line block ×3, first 2 shown]
	v_add_nc_u16 v18, v11, v15
	ds_load_b64 v[10:11], v12 offset:16
	v_add_nc_u16 v17, v17, v7
	v_lshrrev_b32_e32 v23, 8, v9
	v_lshrrev_b32_e32 v24, 24, v9
	v_add_nc_u16 v18, v18, v16
	v_lshrrev_b32_e32 v25, 16, v9
	v_add_nc_u16 v17, v17, v19
	s_delay_alu instid0(VALU_DEP_3) | instskip(NEXT) | instid1(VALU_DEP_2)
	v_add_nc_u16 v18, v18, v20
	v_add_nc_u16 v17, v17, v8
	s_delay_alu instid0(VALU_DEP_2) | instskip(NEXT) | instid1(VALU_DEP_2)
	v_add_nc_u16 v18, v18, v21
	v_add_nc_u16 v17, v17, v22
	s_delay_alu instid0(VALU_DEP_2) | instskip(SKIP_2) | instid1(VALU_DEP_3)
	v_add_nc_u16 v18, v18, v23
	s_waitcnt lgkmcnt(0)
	v_lshrrev_b32_e32 v26, 8, v10
	v_add_nc_u16 v17, v17, v9
	v_lshrrev_b32_e32 v27, 24, v10
	v_lshrrev_b32_e32 v28, 16, v10
	v_add_nc_u16 v18, v18, v24
	v_lshrrev_b32_e32 v29, 8, v11
	v_add_nc_u16 v17, v17, v25
	v_lshrrev_b32_e32 v30, 24, v11
	v_lshrrev_b32_e32 v31, 16, v11
	v_add_nc_u16 v18, v18, v26
	s_delay_alu instid0(VALU_DEP_4) | instskip(NEXT) | instid1(VALU_DEP_2)
	v_add_nc_u16 v17, v17, v10
	v_add_nc_u16 v18, v18, v27
	s_delay_alu instid0(VALU_DEP_2) | instskip(NEXT) | instid1(VALU_DEP_2)
	v_add_nc_u16 v17, v17, v28
	v_add_nc_u16 v18, v18, v29
	s_delay_alu instid0(VALU_DEP_2) | instskip(NEXT) | instid1(VALU_DEP_2)
	;; [unrolled: 3-line block ×3, first 2 shown]
	v_add_nc_u16 v17, v17, v31
	v_and_b32_e32 v32, 0xff, v18
	s_delay_alu instid0(VALU_DEP_1) | instskip(NEXT) | instid1(VALU_DEP_1)
	v_perm_b32 v32, v32, v17, 0x6050400
	v_mov_b32_dpp v33, v32 row_shr:1 row_mask:0xf bank_mask:0xf
	s_delay_alu instid0(VALU_DEP_1) | instskip(SKIP_1) | instid1(VALU_DEP_2)
	v_lshrrev_b32_e32 v34, 8, v33
	v_add_nc_u16 v33, v17, v33
	v_add_nc_u16 v34, v18, v34
	s_delay_alu instid0(VALU_DEP_1) | instskip(SKIP_1) | instid1(VALU_DEP_2)
	v_dual_cndmask_b32 v17, v33, v17 :: v_dual_and_b32 v36, 0xff, v34
	v_cndmask_b32_e32 v18, v34, v18, vcc_lo
	v_perm_b32 v36, v36, v33, 0x6050400
	s_delay_alu instid0(VALU_DEP_1) | instskip(SKIP_1) | instid1(VALU_DEP_2)
	v_cndmask_b32_e32 v32, v36, v32, vcc_lo
	v_cmp_lt_u32_e32 vcc_lo, 1, v37
	v_mov_b32_dpp v33, v32 row_shr:2 row_mask:0xf bank_mask:0xf
	s_delay_alu instid0(VALU_DEP_1) | instskip(SKIP_1) | instid1(VALU_DEP_2)
	v_lshrrev_b32_e32 v34, 8, v33
	v_add_nc_u16 v33, v17, v33
	v_add_nc_u16 v34, v18, v34
	s_delay_alu instid0(VALU_DEP_1) | instskip(SKIP_1) | instid1(VALU_DEP_2)
	v_dual_cndmask_b32 v17, v17, v33 :: v_dual_and_b32 v36, 0xff, v34
	v_cndmask_b32_e32 v18, v18, v34, vcc_lo
	v_perm_b32 v36, v36, v33, 0x6050400
	s_delay_alu instid0(VALU_DEP_1) | instskip(SKIP_1) | instid1(VALU_DEP_2)
	v_cndmask_b32_e32 v32, v32, v36, vcc_lo
	v_cmp_lt_u32_e32 vcc_lo, 3, v37
	v_mov_b32_dpp v36, v32 row_shr:4 row_mask:0xf bank_mask:0xf
	s_delay_alu instid0(VALU_DEP_1) | instskip(NEXT) | instid1(VALU_DEP_1)
	v_lshrrev_b32_e32 v34, 8, v36
	v_add_nc_u16 v33, v18, v34
	v_add_nc_u16 v34, v17, v36
	s_delay_alu instid0(VALU_DEP_1) | instskip(SKIP_1) | instid1(VALU_DEP_1)
	v_dual_cndmask_b32 v18, v18, v33 :: v_dual_cndmask_b32 v17, v17, v34
	v_and_b32_e32 v36, 0xff, v33
	v_perm_b32 v36, v36, v34, 0x6050400
	s_delay_alu instid0(VALU_DEP_1) | instskip(SKIP_1) | instid1(VALU_DEP_2)
	v_cndmask_b32_e32 v32, v32, v36, vcc_lo
	v_cmp_lt_u32_e32 vcc_lo, 7, v37
	v_mov_b32_dpp v36, v32 row_shr:8 row_mask:0xf bank_mask:0xf
	s_delay_alu instid0(VALU_DEP_1) | instskip(SKIP_1) | instid1(VALU_DEP_2)
	v_lshrrev_b32_e32 v33, 8, v36
	v_add_nc_u16 v34, v17, v36
	v_add_nc_u16 v33, v18, v33
	s_delay_alu instid0(VALU_DEP_1) | instskip(SKIP_1) | instid1(VALU_DEP_2)
	v_dual_cndmask_b32 v17, v17, v34 :: v_dual_and_b32 v36, 0xff, v33
	v_cndmask_b32_e32 v18, v18, v33, vcc_lo
	v_perm_b32 v36, v36, v34, 0x6050400
	s_delay_alu instid0(VALU_DEP_1) | instskip(SKIP_4) | instid1(VALU_DEP_1)
	v_cndmask_b32_e32 v32, v32, v36, vcc_lo
	v_and_b32_e32 v36, 16, v35
	ds_swizzle_b32 v32, v32 offset:swizzle(BROADCAST,32,15)
	v_cmp_eq_u32_e64 s0, 0, v36
	v_add_nc_u32_e32 v36, -1, v35
	v_cmp_gt_i32_e32 vcc_lo, 0, v36
	s_waitcnt lgkmcnt(0)
	v_lshrrev_b32_e32 v37, 8, v32
	v_cndmask_b32_e64 v32, v32, 0, s0
	s_delay_alu instid0(VALU_DEP_2) | instskip(NEXT) | instid1(VALU_DEP_2)
	v_cndmask_b32_e64 v33, v37, 0, s0
	v_add_nc_u16 v17, v17, v32
	s_delay_alu instid0(VALU_DEP_2) | instskip(SKIP_2) | instid1(VALU_DEP_3)
	v_add_nc_u16 v18, v18, v33
	v_cndmask_b32_e32 v33, v36, v35, vcc_lo
	v_cmp_eq_u32_e32 vcc_lo, 0, v0
	v_and_b32_e32 v18, 0xff, v18
	s_delay_alu instid0(VALU_DEP_3) | instskip(NEXT) | instid1(VALU_DEP_2)
	v_lshlrev_b32_e32 v32, 2, v33
	v_perm_b32 v17, v18, v17, 0x6050400
	v_lshrrev_b32_e32 v18, 8, v6
	ds_bpermute_b32 v17, v32, v17
	s_waitcnt lgkmcnt(0)
	v_lshrrev_b32_e32 v32, 8, v17
	v_add_nc_u16 v6, v6, v17
	s_delay_alu instid0(VALU_DEP_2) | instskip(NEXT) | instid1(VALU_DEP_2)
	v_add_nc_u16 v17, v18, v32
	v_cndmask_b32_e32 v0, v6, v4, vcc_lo
	s_delay_alu instid0(VALU_DEP_2) | instskip(NEXT) | instid1(VALU_DEP_2)
	v_cndmask_b32_e32 v4, v17, v5, vcc_lo
	v_add_nc_u16 v5, v0, v14
	v_and_b32_e32 v0, 0xff, v0
	s_delay_alu instid0(VALU_DEP_3) | instskip(NEXT) | instid1(VALU_DEP_3)
	v_add_nc_u16 v6, v4, v13
	v_add_nc_u16 v7, v5, v7
	v_lshlrev_b16 v4, 8, v4
	v_and_b32_e32 v5, 0xff, v5
	s_delay_alu instid0(VALU_DEP_4) | instskip(NEXT) | instid1(VALU_DEP_4)
	v_add_nc_u16 v13, v6, v15
	v_add_nc_u16 v14, v7, v19
	s_delay_alu instid0(VALU_DEP_4)
	v_or_b32_e32 v0, v0, v4
	v_lshlrev_b16 v4, 8, v6
	v_and_b32_e32 v6, 0xff, v7
	v_add_nc_u16 v7, v13, v16
	v_add_nc_u16 v8, v14, v8
	v_and_b32_e32 v0, 0xffff, v0
	v_or_b32_e32 v4, v5, v4
	v_lshlrev_b16 v5, 8, v13
	v_and_b32_e32 v13, 0xff, v14
	v_add_nc_u16 v14, v7, v20
	v_add_nc_u16 v15, v8, v22
	v_lshlrev_b32_e32 v4, 16, v4
	v_or_b32_e32 v5, v6, v5
	v_lshlrev_b16 v6, 8, v7
	v_and_b32_e32 v7, 0xff, v8
	v_add_nc_u16 v8, v14, v21
	v_add_nc_u16 v9, v15, v9
	v_or_b32_e32 v4, v0, v4
	v_and_b32_e32 v0, 0xffff, v5
	v_lshlrev_b16 v5, 8, v14
	v_or_b32_e32 v6, v13, v6
	v_add_nc_u16 v13, v8, v23
	v_and_b32_e32 v14, 0xff, v15
	v_add_nc_u16 v15, v9, v25
	v_or_b32_e32 v5, v7, v5
	v_lshlrev_b16 v8, 8, v8
	v_add_nc_u16 v7, v13, v24
	v_and_b32_e32 v9, 0xff, v9
	v_lshlrev_b16 v13, 8, v13
	v_and_b32_e32 v16, 0xffff, v5
	v_add_nc_u16 v5, v15, v10
	v_add_nc_u16 v10, v7, v26
	v_or_b32_e32 v8, v14, v8
	v_and_b32_e32 v14, 0xff, v15
	v_or_b32_e32 v9, v9, v13
	v_add_nc_u16 v15, v5, v28
	v_add_nc_u16 v17, v10, v27
	v_lshlrev_b16 v7, 8, v7
	v_and_b32_e32 v5, 0xff, v5
	v_lshlrev_b16 v10, 8, v10
	v_add_nc_u16 v11, v15, v11
	v_add_nc_u16 v13, v17, v29
	v_and_b32_e32 v15, 0xff, v15
	v_lshlrev_b16 v17, 8, v17
	v_or_b32_e32 v7, v14, v7
	v_add_nc_u16 v18, v11, v31
	v_and_b32_e32 v11, 0xff, v11
	v_add_nc_u16 v19, v13, v30
	v_lshlrev_b16 v13, 8, v13
	v_or_b32_e32 v5, v5, v10
	v_and_b32_e32 v18, 0xff, v18
	v_or_b32_e32 v10, v15, v17
	v_lshlrev_b16 v19, 8, v19
	v_or_b32_e32 v11, v11, v13
	v_lshlrev_b32_e32 v6, 16, v6
	v_lshlrev_b32_e32 v8, 16, v8
	v_and_b32_e32 v9, 0xffff, v9
	v_or_b32_e32 v13, v18, v19
	v_lshlrev_b32_e32 v7, 16, v7
	v_and_b32_e32 v14, 0xffff, v5
	v_lshlrev_b32_e32 v10, 16, v10
	v_and_b32_e32 v11, 0xffff, v11
	v_lshlrev_b32_e32 v13, 16, v13
	v_or_b32_e32 v5, v0, v6
	v_or_b32_e32 v6, v16, v8
	;; [unrolled: 1-line block ×5, first 2 shown]
	ds_store_b128 v12, v[4:7]
	ds_store_b64 v12, v[8:9] offset:16
.LBB144_2:
	s_or_b32 exec_lo, exec_lo, s1
	s_waitcnt lgkmcnt(0)
	s_barrier
	buffer_gl0_inv
	ds_load_u8 v0, v3 offset:1
	ds_load_u8 v3, v3
	s_waitcnt lgkmcnt(1)
	v_lshlrev_b16 v0, 8, v0
	s_waitcnt lgkmcnt(0)
	s_delay_alu instid0(VALU_DEP_1)
	v_or_b32_e32 v0, v3, v0
	global_store_b16 v[1:2], v0, off
	s_nop 0
	s_sendmsg sendmsg(MSG_DEALLOC_VGPRS)
	s_endpgm
	.section	.rodata,"a",@progbits
	.p2align	6, 0x0
	.amdhsa_kernel _Z21inclusive_scan_kernelILj377ELN6hipcub18BlockScanAlgorithmE1EN10test_utils16custom_test_typeIhEEEvPT1_
		.amdhsa_group_segment_fixed_size 768
		.amdhsa_private_segment_fixed_size 0
		.amdhsa_kernarg_size 8
		.amdhsa_user_sgpr_count 15
		.amdhsa_user_sgpr_dispatch_ptr 0
		.amdhsa_user_sgpr_queue_ptr 0
		.amdhsa_user_sgpr_kernarg_segment_ptr 1
		.amdhsa_user_sgpr_dispatch_id 0
		.amdhsa_user_sgpr_private_segment_size 0
		.amdhsa_wavefront_size32 1
		.amdhsa_uses_dynamic_stack 0
		.amdhsa_enable_private_segment 0
		.amdhsa_system_sgpr_workgroup_id_x 1
		.amdhsa_system_sgpr_workgroup_id_y 0
		.amdhsa_system_sgpr_workgroup_id_z 0
		.amdhsa_system_sgpr_workgroup_info 0
		.amdhsa_system_vgpr_workitem_id 0
		.amdhsa_next_free_vgpr 38
		.amdhsa_next_free_sgpr 16
		.amdhsa_reserve_vcc 1
		.amdhsa_float_round_mode_32 0
		.amdhsa_float_round_mode_16_64 0
		.amdhsa_float_denorm_mode_32 3
		.amdhsa_float_denorm_mode_16_64 3
		.amdhsa_dx10_clamp 1
		.amdhsa_ieee_mode 1
		.amdhsa_fp16_overflow 0
		.amdhsa_workgroup_processor_mode 1
		.amdhsa_memory_ordered 1
		.amdhsa_forward_progress 0
		.amdhsa_shared_vgpr_count 0
		.amdhsa_exception_fp_ieee_invalid_op 0
		.amdhsa_exception_fp_denorm_src 0
		.amdhsa_exception_fp_ieee_div_zero 0
		.amdhsa_exception_fp_ieee_overflow 0
		.amdhsa_exception_fp_ieee_underflow 0
		.amdhsa_exception_fp_ieee_inexact 0
		.amdhsa_exception_int_div_zero 0
	.end_amdhsa_kernel
	.section	.text._Z21inclusive_scan_kernelILj377ELN6hipcub18BlockScanAlgorithmE1EN10test_utils16custom_test_typeIhEEEvPT1_,"axG",@progbits,_Z21inclusive_scan_kernelILj377ELN6hipcub18BlockScanAlgorithmE1EN10test_utils16custom_test_typeIhEEEvPT1_,comdat
.Lfunc_end144:
	.size	_Z21inclusive_scan_kernelILj377ELN6hipcub18BlockScanAlgorithmE1EN10test_utils16custom_test_typeIhEEEvPT1_, .Lfunc_end144-_Z21inclusive_scan_kernelILj377ELN6hipcub18BlockScanAlgorithmE1EN10test_utils16custom_test_typeIhEEEvPT1_
                                        ; -- End function
	.section	.AMDGPU.csdata,"",@progbits
; Kernel info:
; codeLenInByte = 1580
; NumSgprs: 18
; NumVgprs: 38
; ScratchSize: 0
; MemoryBound: 0
; FloatMode: 240
; IeeeMode: 1
; LDSByteSize: 768 bytes/workgroup (compile time only)
; SGPRBlocks: 2
; VGPRBlocks: 4
; NumSGPRsForWavesPerEU: 18
; NumVGPRsForWavesPerEU: 38
; Occupancy: 15
; WaveLimiterHint : 0
; COMPUTE_PGM_RSRC2:SCRATCH_EN: 0
; COMPUTE_PGM_RSRC2:USER_SGPR: 15
; COMPUTE_PGM_RSRC2:TRAP_HANDLER: 0
; COMPUTE_PGM_RSRC2:TGID_X_EN: 1
; COMPUTE_PGM_RSRC2:TGID_Y_EN: 0
; COMPUTE_PGM_RSRC2:TGID_Z_EN: 0
; COMPUTE_PGM_RSRC2:TIDIG_COMP_CNT: 0
	.section	.text._Z21inclusive_scan_kernelILj377ELN6hipcub18BlockScanAlgorithmE1EN10test_utils16custom_test_typeIiEEEvPT1_,"axG",@progbits,_Z21inclusive_scan_kernelILj377ELN6hipcub18BlockScanAlgorithmE1EN10test_utils16custom_test_typeIiEEEvPT1_,comdat
	.protected	_Z21inclusive_scan_kernelILj377ELN6hipcub18BlockScanAlgorithmE1EN10test_utils16custom_test_typeIiEEEvPT1_ ; -- Begin function _Z21inclusive_scan_kernelILj377ELN6hipcub18BlockScanAlgorithmE1EN10test_utils16custom_test_typeIiEEEvPT1_
	.globl	_Z21inclusive_scan_kernelILj377ELN6hipcub18BlockScanAlgorithmE1EN10test_utils16custom_test_typeIiEEEvPT1_
	.p2align	8
	.type	_Z21inclusive_scan_kernelILj377ELN6hipcub18BlockScanAlgorithmE1EN10test_utils16custom_test_typeIiEEEvPT1_,@function
_Z21inclusive_scan_kernelILj377ELN6hipcub18BlockScanAlgorithmE1EN10test_utils16custom_test_typeIiEEEvPT1_: ; @_Z21inclusive_scan_kernelILj377ELN6hipcub18BlockScanAlgorithmE1EN10test_utils16custom_test_typeIiEEEvPT1_
; %bb.0:
	s_load_b64 s[0:1], s[0:1], 0x0
	v_mad_u64_u32 v[1:2], null, 0x179, s15, v[0:1]
	v_dual_mov_b32 v2, 0 :: v_dual_lshlrev_b32 v5, 3, v0
	s_delay_alu instid0(VALU_DEP_1) | instskip(SKIP_1) | instid1(VALU_DEP_1)
	v_lshlrev_b64 v[1:2], 3, v[1:2]
	s_waitcnt lgkmcnt(0)
	v_add_co_u32 v1, vcc_lo, s0, v1
	s_delay_alu instid0(VALU_DEP_2)
	v_add_co_ci_u32_e32 v2, vcc_lo, s1, v2, vcc_lo
	s_mov_b32 s0, exec_lo
	global_load_b64 v[3:4], v[1:2], off
	s_waitcnt vmcnt(0)
	ds_store_2addr_b32 v5, v3, v4 offset1:1
	s_waitcnt lgkmcnt(0)
	s_barrier
	buffer_gl0_inv
	v_cmpx_gt_u32_e32 32, v0
	s_cbranch_execz .LBB145_2
; %bb.1:
	v_mul_u32_u24_e32 v6, 12, v0
	v_mbcnt_lo_u32_b32 v33, -1, 0
	s_delay_alu instid0(VALU_DEP_2) | instskip(NEXT) | instid1(VALU_DEP_2)
	v_lshlrev_b32_e32 v30, 3, v6
	v_and_b32_e32 v34, 15, v33
	v_bfe_i32 v37, v33, 4, 1
	ds_load_2addr_b32 v[6:7], v30 offset0:4 offset1:5
	ds_load_2addr_b32 v[8:9], v30 offset0:6 offset1:7
	;; [unrolled: 1-line block ×3, first 2 shown]
	ds_load_2addr_b32 v[12:13], v30 offset1:1
	ds_load_2addr_b32 v[14:15], v30 offset0:8 offset1:9
	ds_load_2addr_b32 v[16:17], v30 offset0:10 offset1:11
	;; [unrolled: 1-line block ×8, first 2 shown]
	v_cmp_eq_u32_e32 vcc_lo, 0, v34
	s_waitcnt lgkmcnt(8)
	v_add_nc_u32_e32 v32, v11, v13
	v_add_nc_u32_e32 v31, v10, v12
	s_delay_alu instid0(VALU_DEP_2) | instskip(NEXT) | instid1(VALU_DEP_2)
	v_add3_u32 v32, v32, v7, v9
	v_add3_u32 v31, v31, v6, v8
	s_waitcnt lgkmcnt(6)
	s_delay_alu instid0(VALU_DEP_2) | instskip(NEXT) | instid1(VALU_DEP_2)
	v_add3_u32 v32, v32, v15, v17
	v_add3_u32 v31, v31, v14, v16
	s_waitcnt lgkmcnt(4)
	;; [unrolled: 4-line block ×4, first 2 shown]
	s_delay_alu instid0(VALU_DEP_2) | instskip(NEXT) | instid1(VALU_DEP_2)
	v_add3_u32 v32, v32, v27, v29
	v_add3_u32 v31, v31, v26, v28
	s_delay_alu instid0(VALU_DEP_2) | instskip(NEXT) | instid1(VALU_DEP_2)
	v_mov_b32_dpp v36, v32 row_shr:1 row_mask:0xf bank_mask:0xf
	v_mov_b32_dpp v35, v31 row_shr:1 row_mask:0xf bank_mask:0xf
	s_delay_alu instid0(VALU_DEP_2) | instskip(NEXT) | instid1(VALU_DEP_2)
	v_cndmask_b32_e64 v36, v36, 0, vcc_lo
	v_cndmask_b32_e64 v35, v35, 0, vcc_lo
	v_cmp_lt_u32_e32 vcc_lo, 1, v34
	s_delay_alu instid0(VALU_DEP_3) | instskip(NEXT) | instid1(VALU_DEP_1)
	v_add_nc_u32_e32 v32, v36, v32
	v_mov_b32_dpp v36, v32 row_shr:2 row_mask:0xf bank_mask:0xf
	s_delay_alu instid0(VALU_DEP_1) | instskip(NEXT) | instid1(VALU_DEP_1)
	v_dual_cndmask_b32 v36, 0, v36 :: v_dual_add_nc_u32 v31, v35, v31
	v_mov_b32_dpp v35, v31 row_shr:2 row_mask:0xf bank_mask:0xf
	s_delay_alu instid0(VALU_DEP_1) | instskip(SKIP_1) | instid1(VALU_DEP_2)
	v_dual_cndmask_b32 v35, 0, v35 :: v_dual_add_nc_u32 v32, v36, v32
	v_cmp_lt_u32_e32 vcc_lo, 3, v34
	v_mov_b32_dpp v36, v32 row_shr:4 row_mask:0xf bank_mask:0xf
	s_delay_alu instid0(VALU_DEP_1) | instskip(NEXT) | instid1(VALU_DEP_1)
	v_dual_cndmask_b32 v36, 0, v36 :: v_dual_add_nc_u32 v31, v31, v35
	v_mov_b32_dpp v35, v31 row_shr:4 row_mask:0xf bank_mask:0xf
	s_delay_alu instid0(VALU_DEP_1) | instskip(SKIP_1) | instid1(VALU_DEP_2)
	v_dual_cndmask_b32 v35, 0, v35 :: v_dual_add_nc_u32 v32, v36, v32
	v_cmp_lt_u32_e32 vcc_lo, 7, v34
	v_mov_b32_dpp v36, v32 row_shr:8 row_mask:0xf bank_mask:0xf
	s_delay_alu instid0(VALU_DEP_1) | instskip(NEXT) | instid1(VALU_DEP_1)
	v_dual_cndmask_b32 v34, 0, v36 :: v_dual_add_nc_u32 v31, v35, v31
	v_mov_b32_dpp v35, v31 row_shr:8 row_mask:0xf bank_mask:0xf
	s_delay_alu instid0(VALU_DEP_1) | instskip(NEXT) | instid1(VALU_DEP_1)
	v_dual_cndmask_b32 v35, 0, v35 :: v_dual_add_nc_u32 v36, -1, v33
	v_cmp_gt_i32_e32 vcc_lo, 0, v36
	s_delay_alu instid0(VALU_DEP_4) | instskip(NEXT) | instid1(VALU_DEP_3)
	v_add_nc_u32_e32 v32, v34, v32
	v_add_nc_u32_e32 v31, v35, v31
	v_cndmask_b32_e32 v33, v36, v33, vcc_lo
	ds_swizzle_b32 v35, v32 offset:swizzle(BROADCAST,32,15)
	v_cmp_eq_u32_e32 vcc_lo, 0, v0
	ds_swizzle_b32 v34, v31 offset:swizzle(BROADCAST,32,15)
	v_lshlrev_b32_e32 v33, 2, v33
	s_waitcnt lgkmcnt(1)
	v_and_b32_e32 v35, v37, v35
	s_waitcnt lgkmcnt(0)
	v_and_b32_e32 v34, v37, v34
	s_delay_alu instid0(VALU_DEP_2) | instskip(NEXT) | instid1(VALU_DEP_2)
	v_add_nc_u32_e32 v32, v35, v32
	v_add_nc_u32_e32 v31, v34, v31
	ds_bpermute_b32 v32, v33, v32
	ds_bpermute_b32 v31, v33, v31
	s_waitcnt lgkmcnt(1)
	v_add_nc_u32_e32 v13, v13, v32
	s_waitcnt lgkmcnt(0)
	v_add_nc_u32_e32 v12, v12, v31
	s_delay_alu instid0(VALU_DEP_1) | instskip(NEXT) | instid1(VALU_DEP_1)
	v_dual_cndmask_b32 v0, v12, v3 :: v_dual_cndmask_b32 v3, v13, v4
	v_add_nc_u32_e32 v4, v0, v10
	s_delay_alu instid0(VALU_DEP_2) | instskip(NEXT) | instid1(VALU_DEP_2)
	v_add_nc_u32_e32 v10, v3, v11
	v_add_nc_u32_e32 v6, v4, v6
	s_delay_alu instid0(VALU_DEP_2) | instskip(NEXT) | instid1(VALU_DEP_2)
	v_add_nc_u32_e32 v7, v10, v7
	v_add_nc_u32_e32 v8, v6, v8
	s_delay_alu instid0(VALU_DEP_2)
	v_add_nc_u32_e32 v9, v7, v9
	ds_store_2addr_b32 v30, v0, v3 offset1:1
	ds_store_2addr_b32 v30, v4, v10 offset0:2 offset1:3
	ds_store_2addr_b32 v30, v6, v7 offset0:4 offset1:5
	;; [unrolled: 1-line block ×3, first 2 shown]
	v_add_nc_u32_e32 v11, v8, v14
	v_add_nc_u32_e32 v12, v9, v15
	s_delay_alu instid0(VALU_DEP_2) | instskip(NEXT) | instid1(VALU_DEP_2)
	v_add_nc_u32_e32 v13, v11, v16
	v_add_nc_u32_e32 v14, v12, v17
	s_delay_alu instid0(VALU_DEP_2) | instskip(NEXT) | instid1(VALU_DEP_2)
	;; [unrolled: 3-line block ×7, first 2 shown]
	v_add_nc_u32_e32 v0, v23, v28
	v_add_nc_u32_e32 v3, v24, v29
	ds_store_2addr_b32 v30, v11, v12 offset0:8 offset1:9
	ds_store_2addr_b32 v30, v13, v14 offset0:10 offset1:11
	;; [unrolled: 1-line block ×8, first 2 shown]
.LBB145_2:
	s_or_b32 exec_lo, exec_lo, s0
	s_waitcnt lgkmcnt(0)
	s_barrier
	buffer_gl0_inv
	ds_load_2addr_b32 v[3:4], v5 offset1:1
	s_waitcnt lgkmcnt(0)
	global_store_b64 v[1:2], v[3:4], off
	s_nop 0
	s_sendmsg sendmsg(MSG_DEALLOC_VGPRS)
	s_endpgm
	.section	.rodata,"a",@progbits
	.p2align	6, 0x0
	.amdhsa_kernel _Z21inclusive_scan_kernelILj377ELN6hipcub18BlockScanAlgorithmE1EN10test_utils16custom_test_typeIiEEEvPT1_
		.amdhsa_group_segment_fixed_size 3072
		.amdhsa_private_segment_fixed_size 0
		.amdhsa_kernarg_size 8
		.amdhsa_user_sgpr_count 15
		.amdhsa_user_sgpr_dispatch_ptr 0
		.amdhsa_user_sgpr_queue_ptr 0
		.amdhsa_user_sgpr_kernarg_segment_ptr 1
		.amdhsa_user_sgpr_dispatch_id 0
		.amdhsa_user_sgpr_private_segment_size 0
		.amdhsa_wavefront_size32 1
		.amdhsa_uses_dynamic_stack 0
		.amdhsa_enable_private_segment 0
		.amdhsa_system_sgpr_workgroup_id_x 1
		.amdhsa_system_sgpr_workgroup_id_y 0
		.amdhsa_system_sgpr_workgroup_id_z 0
		.amdhsa_system_sgpr_workgroup_info 0
		.amdhsa_system_vgpr_workitem_id 0
		.amdhsa_next_free_vgpr 38
		.amdhsa_next_free_sgpr 16
		.amdhsa_reserve_vcc 1
		.amdhsa_float_round_mode_32 0
		.amdhsa_float_round_mode_16_64 0
		.amdhsa_float_denorm_mode_32 3
		.amdhsa_float_denorm_mode_16_64 3
		.amdhsa_dx10_clamp 1
		.amdhsa_ieee_mode 1
		.amdhsa_fp16_overflow 0
		.amdhsa_workgroup_processor_mode 1
		.amdhsa_memory_ordered 1
		.amdhsa_forward_progress 0
		.amdhsa_shared_vgpr_count 0
		.amdhsa_exception_fp_ieee_invalid_op 0
		.amdhsa_exception_fp_denorm_src 0
		.amdhsa_exception_fp_ieee_div_zero 0
		.amdhsa_exception_fp_ieee_overflow 0
		.amdhsa_exception_fp_ieee_underflow 0
		.amdhsa_exception_fp_ieee_inexact 0
		.amdhsa_exception_int_div_zero 0
	.end_amdhsa_kernel
	.section	.text._Z21inclusive_scan_kernelILj377ELN6hipcub18BlockScanAlgorithmE1EN10test_utils16custom_test_typeIiEEEvPT1_,"axG",@progbits,_Z21inclusive_scan_kernelILj377ELN6hipcub18BlockScanAlgorithmE1EN10test_utils16custom_test_typeIiEEEvPT1_,comdat
.Lfunc_end145:
	.size	_Z21inclusive_scan_kernelILj377ELN6hipcub18BlockScanAlgorithmE1EN10test_utils16custom_test_typeIiEEEvPT1_, .Lfunc_end145-_Z21inclusive_scan_kernelILj377ELN6hipcub18BlockScanAlgorithmE1EN10test_utils16custom_test_typeIiEEEvPT1_
                                        ; -- End function
	.section	.AMDGPU.csdata,"",@progbits
; Kernel info:
; codeLenInByte = 940
; NumSgprs: 18
; NumVgprs: 38
; ScratchSize: 0
; MemoryBound: 0
; FloatMode: 240
; IeeeMode: 1
; LDSByteSize: 3072 bytes/workgroup (compile time only)
; SGPRBlocks: 2
; VGPRBlocks: 4
; NumSGPRsForWavesPerEU: 18
; NumVGPRsForWavesPerEU: 38
; Occupancy: 15
; WaveLimiterHint : 0
; COMPUTE_PGM_RSRC2:SCRATCH_EN: 0
; COMPUTE_PGM_RSRC2:USER_SGPR: 15
; COMPUTE_PGM_RSRC2:TRAP_HANDLER: 0
; COMPUTE_PGM_RSRC2:TGID_X_EN: 1
; COMPUTE_PGM_RSRC2:TGID_Y_EN: 0
; COMPUTE_PGM_RSRC2:TGID_Z_EN: 0
; COMPUTE_PGM_RSRC2:TIDIG_COMP_CNT: 0
	.section	.text._Z21inclusive_scan_kernelILj255ELN6hipcub18BlockScanAlgorithmE1EN10test_utils16custom_test_typeIjEEEvPT1_,"axG",@progbits,_Z21inclusive_scan_kernelILj255ELN6hipcub18BlockScanAlgorithmE1EN10test_utils16custom_test_typeIjEEEvPT1_,comdat
	.protected	_Z21inclusive_scan_kernelILj255ELN6hipcub18BlockScanAlgorithmE1EN10test_utils16custom_test_typeIjEEEvPT1_ ; -- Begin function _Z21inclusive_scan_kernelILj255ELN6hipcub18BlockScanAlgorithmE1EN10test_utils16custom_test_typeIjEEEvPT1_
	.globl	_Z21inclusive_scan_kernelILj255ELN6hipcub18BlockScanAlgorithmE1EN10test_utils16custom_test_typeIjEEEvPT1_
	.p2align	8
	.type	_Z21inclusive_scan_kernelILj255ELN6hipcub18BlockScanAlgorithmE1EN10test_utils16custom_test_typeIjEEEvPT1_,@function
_Z21inclusive_scan_kernelILj255ELN6hipcub18BlockScanAlgorithmE1EN10test_utils16custom_test_typeIjEEEvPT1_: ; @_Z21inclusive_scan_kernelILj255ELN6hipcub18BlockScanAlgorithmE1EN10test_utils16custom_test_typeIjEEEvPT1_
; %bb.0:
	s_load_b64 s[0:1], s[0:1], 0x0
	v_mad_u64_u32 v[1:2], null, 0xff, s15, v[0:1]
	v_mov_b32_e32 v2, 0
	v_lshrrev_b32_e32 v5, 5, v0
	s_delay_alu instid0(VALU_DEP_1) | instskip(NEXT) | instid1(VALU_DEP_3)
	v_add_lshl_u32 v5, v5, v0, 3
	v_lshlrev_b64 v[1:2], 3, v[1:2]
	s_waitcnt lgkmcnt(0)
	s_delay_alu instid0(VALU_DEP_1) | instskip(NEXT) | instid1(VALU_DEP_2)
	v_add_co_u32 v1, vcc_lo, s0, v1
	v_add_co_ci_u32_e32 v2, vcc_lo, s1, v2, vcc_lo
	s_mov_b32 s0, exec_lo
	global_load_b64 v[3:4], v[1:2], off
	s_waitcnt vmcnt(0)
	ds_store_2addr_b32 v5, v3, v4 offset1:1
	s_waitcnt lgkmcnt(0)
	s_barrier
	buffer_gl0_inv
	v_cmpx_gt_u32_e32 32, v0
	s_cbranch_execz .LBB146_2
; %bb.1:
	v_lshlrev_b32_e32 v6, 1, v0
	v_mbcnt_lo_u32_b32 v25, -1, 0
	s_delay_alu instid0(VALU_DEP_2) | instskip(NEXT) | instid1(VALU_DEP_2)
	v_and_b32_e32 v6, 0x1f8, v6
	v_and_b32_e32 v26, 15, v25
	v_bfe_i32 v29, v25, 4, 1
	s_delay_alu instid0(VALU_DEP_3) | instskip(NEXT) | instid1(VALU_DEP_3)
	v_lshl_or_b32 v22, v0, 6, v6
	v_cmp_eq_u32_e32 vcc_lo, 0, v26
	ds_load_2addr_b32 v[6:7], v22 offset1:1
	ds_load_2addr_b32 v[8:9], v22 offset0:2 offset1:3
	ds_load_2addr_b32 v[10:11], v22 offset0:4 offset1:5
	;; [unrolled: 1-line block ×7, first 2 shown]
	s_waitcnt lgkmcnt(6)
	v_add_nc_u32_e32 v24, v9, v7
	s_waitcnt lgkmcnt(4)
	s_delay_alu instid0(VALU_DEP_1) | instskip(SKIP_1) | instid1(VALU_DEP_1)
	v_add3_u32 v24, v24, v11, v13
	s_waitcnt lgkmcnt(2)
	v_add3_u32 v24, v24, v15, v17
	s_waitcnt lgkmcnt(0)
	s_delay_alu instid0(VALU_DEP_1) | instskip(NEXT) | instid1(VALU_DEP_1)
	v_add3_u32 v24, v24, v19, v21
	v_mov_b32_dpp v28, v24 row_shr:1 row_mask:0xf bank_mask:0xf
	s_delay_alu instid0(VALU_DEP_1) | instskip(NEXT) | instid1(VALU_DEP_1)
	v_cndmask_b32_e64 v28, v28, 0, vcc_lo
	v_add_nc_u32_e32 v24, v28, v24
	s_delay_alu instid0(VALU_DEP_1) | instskip(SKIP_1) | instid1(VALU_DEP_1)
	v_mov_b32_dpp v28, v24 row_shr:2 row_mask:0xf bank_mask:0xf
	v_add_nc_u32_e32 v23, v8, v6
	v_add3_u32 v23, v23, v10, v12
	s_delay_alu instid0(VALU_DEP_1) | instskip(NEXT) | instid1(VALU_DEP_1)
	v_add3_u32 v23, v23, v14, v16
	v_add3_u32 v23, v23, v18, v20
	s_delay_alu instid0(VALU_DEP_1) | instskip(NEXT) | instid1(VALU_DEP_1)
	v_mov_b32_dpp v27, v23 row_shr:1 row_mask:0xf bank_mask:0xf
	v_cndmask_b32_e64 v27, v27, 0, vcc_lo
	v_cmp_lt_u32_e32 vcc_lo, 1, v26
	v_cndmask_b32_e32 v28, 0, v28, vcc_lo
	s_delay_alu instid0(VALU_DEP_1) | instskip(NEXT) | instid1(VALU_DEP_1)
	v_add_nc_u32_e32 v24, v28, v24
	v_mov_b32_dpp v28, v24 row_shr:4 row_mask:0xf bank_mask:0xf
	v_add_nc_u32_e32 v23, v27, v23
	s_delay_alu instid0(VALU_DEP_1) | instskip(NEXT) | instid1(VALU_DEP_1)
	v_mov_b32_dpp v27, v23 row_shr:2 row_mask:0xf bank_mask:0xf
	v_cndmask_b32_e32 v27, 0, v27, vcc_lo
	v_cmp_lt_u32_e32 vcc_lo, 3, v26
	v_cndmask_b32_e32 v28, 0, v28, vcc_lo
	s_delay_alu instid0(VALU_DEP_1) | instskip(NEXT) | instid1(VALU_DEP_1)
	v_add_nc_u32_e32 v24, v28, v24
	v_mov_b32_dpp v28, v24 row_shr:8 row_mask:0xf bank_mask:0xf
	v_add_nc_u32_e32 v23, v23, v27
	s_delay_alu instid0(VALU_DEP_1) | instskip(NEXT) | instid1(VALU_DEP_1)
	v_mov_b32_dpp v27, v23 row_shr:4 row_mask:0xf bank_mask:0xf
	v_cndmask_b32_e32 v27, 0, v27, vcc_lo
	v_cmp_lt_u32_e32 vcc_lo, 7, v26
	s_delay_alu instid0(VALU_DEP_2) | instskip(SKIP_1) | instid1(VALU_DEP_2)
	v_dual_cndmask_b32 v26, 0, v28 :: v_dual_add_nc_u32 v23, v27, v23
	v_add_nc_u32_e32 v28, -1, v25
	v_add_nc_u32_e32 v24, v26, v24
	s_delay_alu instid0(VALU_DEP_3) | instskip(NEXT) | instid1(VALU_DEP_1)
	v_mov_b32_dpp v27, v23 row_shr:8 row_mask:0xf bank_mask:0xf
	v_cndmask_b32_e32 v27, 0, v27, vcc_lo
	s_delay_alu instid0(VALU_DEP_4) | instskip(NEXT) | instid1(VALU_DEP_2)
	v_cmp_gt_i32_e32 vcc_lo, 0, v28
	v_add_nc_u32_e32 v23, v27, v23
	v_cndmask_b32_e32 v25, v28, v25, vcc_lo
	ds_swizzle_b32 v27, v24 offset:swizzle(BROADCAST,32,15)
	v_cmp_eq_u32_e32 vcc_lo, 0, v0
	ds_swizzle_b32 v26, v23 offset:swizzle(BROADCAST,32,15)
	v_lshlrev_b32_e32 v25, 2, v25
	s_waitcnt lgkmcnt(1)
	v_and_b32_e32 v27, v29, v27
	s_waitcnt lgkmcnt(0)
	v_and_b32_e32 v26, v29, v26
	s_delay_alu instid0(VALU_DEP_2) | instskip(NEXT) | instid1(VALU_DEP_2)
	v_add_nc_u32_e32 v24, v27, v24
	v_add_nc_u32_e32 v23, v26, v23
	ds_bpermute_b32 v23, v25, v23
	s_waitcnt lgkmcnt(0)
	v_add_nc_u32_e32 v6, v6, v23
	s_delay_alu instid0(VALU_DEP_1) | instskip(SKIP_3) | instid1(VALU_DEP_1)
	v_cndmask_b32_e32 v0, v6, v3, vcc_lo
	ds_bpermute_b32 v24, v25, v24
	s_waitcnt lgkmcnt(0)
	v_add_nc_u32_e32 v7, v7, v24
	v_cndmask_b32_e32 v3, v7, v4, vcc_lo
	v_add_nc_u32_e32 v4, v0, v8
	s_delay_alu instid0(VALU_DEP_2) | instskip(NEXT) | instid1(VALU_DEP_2)
	v_add_nc_u32_e32 v6, v3, v9
	v_add_nc_u32_e32 v7, v4, v10
	s_delay_alu instid0(VALU_DEP_2) | instskip(NEXT) | instid1(VALU_DEP_2)
	v_add_nc_u32_e32 v8, v6, v11
	;; [unrolled: 3-line block ×6, first 2 shown]
	v_add_nc_u32_e32 v17, v15, v20
	s_delay_alu instid0(VALU_DEP_2)
	v_add_nc_u32_e32 v18, v16, v21
	ds_store_2addr_b32 v22, v0, v3 offset1:1
	ds_store_2addr_b32 v22, v4, v6 offset0:2 offset1:3
	ds_store_2addr_b32 v22, v7, v8 offset0:4 offset1:5
	;; [unrolled: 1-line block ×7, first 2 shown]
.LBB146_2:
	s_or_b32 exec_lo, exec_lo, s0
	s_waitcnt lgkmcnt(0)
	s_barrier
	buffer_gl0_inv
	ds_load_2addr_b32 v[3:4], v5 offset1:1
	s_waitcnt lgkmcnt(0)
	global_store_b64 v[1:2], v[3:4], off
	s_nop 0
	s_sendmsg sendmsg(MSG_DEALLOC_VGPRS)
	s_endpgm
	.section	.rodata,"a",@progbits
	.p2align	6, 0x0
	.amdhsa_kernel _Z21inclusive_scan_kernelILj255ELN6hipcub18BlockScanAlgorithmE1EN10test_utils16custom_test_typeIjEEEvPT1_
		.amdhsa_group_segment_fixed_size 2112
		.amdhsa_private_segment_fixed_size 0
		.amdhsa_kernarg_size 8
		.amdhsa_user_sgpr_count 15
		.amdhsa_user_sgpr_dispatch_ptr 0
		.amdhsa_user_sgpr_queue_ptr 0
		.amdhsa_user_sgpr_kernarg_segment_ptr 1
		.amdhsa_user_sgpr_dispatch_id 0
		.amdhsa_user_sgpr_private_segment_size 0
		.amdhsa_wavefront_size32 1
		.amdhsa_uses_dynamic_stack 0
		.amdhsa_enable_private_segment 0
		.amdhsa_system_sgpr_workgroup_id_x 1
		.amdhsa_system_sgpr_workgroup_id_y 0
		.amdhsa_system_sgpr_workgroup_id_z 0
		.amdhsa_system_sgpr_workgroup_info 0
		.amdhsa_system_vgpr_workitem_id 0
		.amdhsa_next_free_vgpr 30
		.amdhsa_next_free_sgpr 16
		.amdhsa_reserve_vcc 1
		.amdhsa_float_round_mode_32 0
		.amdhsa_float_round_mode_16_64 0
		.amdhsa_float_denorm_mode_32 3
		.amdhsa_float_denorm_mode_16_64 3
		.amdhsa_dx10_clamp 1
		.amdhsa_ieee_mode 1
		.amdhsa_fp16_overflow 0
		.amdhsa_workgroup_processor_mode 1
		.amdhsa_memory_ordered 1
		.amdhsa_forward_progress 0
		.amdhsa_shared_vgpr_count 0
		.amdhsa_exception_fp_ieee_invalid_op 0
		.amdhsa_exception_fp_denorm_src 0
		.amdhsa_exception_fp_ieee_div_zero 0
		.amdhsa_exception_fp_ieee_overflow 0
		.amdhsa_exception_fp_ieee_underflow 0
		.amdhsa_exception_fp_ieee_inexact 0
		.amdhsa_exception_int_div_zero 0
	.end_amdhsa_kernel
	.section	.text._Z21inclusive_scan_kernelILj255ELN6hipcub18BlockScanAlgorithmE1EN10test_utils16custom_test_typeIjEEEvPT1_,"axG",@progbits,_Z21inclusive_scan_kernelILj255ELN6hipcub18BlockScanAlgorithmE1EN10test_utils16custom_test_typeIjEEEvPT1_,comdat
.Lfunc_end146:
	.size	_Z21inclusive_scan_kernelILj255ELN6hipcub18BlockScanAlgorithmE1EN10test_utils16custom_test_typeIjEEEvPT1_, .Lfunc_end146-_Z21inclusive_scan_kernelILj255ELN6hipcub18BlockScanAlgorithmE1EN10test_utils16custom_test_typeIjEEEvPT1_
                                        ; -- End function
	.section	.AMDGPU.csdata,"",@progbits
; Kernel info:
; codeLenInByte = 812
; NumSgprs: 18
; NumVgprs: 30
; ScratchSize: 0
; MemoryBound: 0
; FloatMode: 240
; IeeeMode: 1
; LDSByteSize: 2112 bytes/workgroup (compile time only)
; SGPRBlocks: 2
; VGPRBlocks: 3
; NumSGPRsForWavesPerEU: 18
; NumVGPRsForWavesPerEU: 30
; Occupancy: 16
; WaveLimiterHint : 0
; COMPUTE_PGM_RSRC2:SCRATCH_EN: 0
; COMPUTE_PGM_RSRC2:USER_SGPR: 15
; COMPUTE_PGM_RSRC2:TRAP_HANDLER: 0
; COMPUTE_PGM_RSRC2:TGID_X_EN: 1
; COMPUTE_PGM_RSRC2:TGID_Y_EN: 0
; COMPUTE_PGM_RSRC2:TGID_Z_EN: 0
; COMPUTE_PGM_RSRC2:TIDIG_COMP_CNT: 0
	.section	.text._Z21inclusive_scan_kernelILj162ELN6hipcub18BlockScanAlgorithmE1EN10test_utils16custom_test_typeIsEEEvPT1_,"axG",@progbits,_Z21inclusive_scan_kernelILj162ELN6hipcub18BlockScanAlgorithmE1EN10test_utils16custom_test_typeIsEEEvPT1_,comdat
	.protected	_Z21inclusive_scan_kernelILj162ELN6hipcub18BlockScanAlgorithmE1EN10test_utils16custom_test_typeIsEEEvPT1_ ; -- Begin function _Z21inclusive_scan_kernelILj162ELN6hipcub18BlockScanAlgorithmE1EN10test_utils16custom_test_typeIsEEEvPT1_
	.globl	_Z21inclusive_scan_kernelILj162ELN6hipcub18BlockScanAlgorithmE1EN10test_utils16custom_test_typeIsEEEvPT1_
	.p2align	8
	.type	_Z21inclusive_scan_kernelILj162ELN6hipcub18BlockScanAlgorithmE1EN10test_utils16custom_test_typeIsEEEvPT1_,@function
_Z21inclusive_scan_kernelILj162ELN6hipcub18BlockScanAlgorithmE1EN10test_utils16custom_test_typeIsEEEvPT1_: ; @_Z21inclusive_scan_kernelILj162ELN6hipcub18BlockScanAlgorithmE1EN10test_utils16custom_test_typeIsEEEvPT1_
; %bb.0:
	s_load_b64 s[0:1], s[0:1], 0x0
	v_mad_u64_u32 v[1:2], null, 0xa2, s15, v[0:1]
	v_dual_mov_b32 v2, 0 :: v_dual_lshlrev_b32 v7, 2, v0
	s_delay_alu instid0(VALU_DEP_1) | instskip(SKIP_1) | instid1(VALU_DEP_1)
	v_lshlrev_b64 v[1:2], 2, v[1:2]
	s_waitcnt lgkmcnt(0)
	v_add_co_u32 v5, vcc_lo, s0, v1
	s_delay_alu instid0(VALU_DEP_2)
	v_add_co_ci_u32_e32 v6, vcc_lo, s1, v2, vcc_lo
	s_mov_b32 s0, exec_lo
	global_load_b32 v9, v[5:6], off
	s_waitcnt vmcnt(0)
	ds_store_b32 v7, v9
	s_waitcnt lgkmcnt(0)
	s_barrier
	buffer_gl0_inv
	v_cmpx_gt_u32_e32 32, v0
	s_cbranch_execz .LBB147_12
; %bb.1:
	v_mul_u32_u24_e32 v1, 6, v0
	s_mov_b32 s1, exec_lo
	s_delay_alu instid0(VALU_DEP_1)
	v_lshlrev_b32_e32 v8, 2, v1
	ds_load_b32 v12, v8
	ds_load_u16 v11, v8 offset:4
	ds_load_b128 v[1:4], v8 offset:6
	ds_load_u16 v10, v8 offset:22
	s_waitcnt lgkmcnt(3)
	v_lshrrev_b32_e32 v13, 16, v12
	s_waitcnt lgkmcnt(2)
	v_add_nc_u16 v14, v11, v12
	s_waitcnt lgkmcnt(1)
	v_lshrrev_b32_e32 v15, 16, v1
	v_lshrrev_b32_e32 v16, 16, v2
	v_add_nc_u16 v13, v1, v13
	s_delay_alu instid0(VALU_DEP_3) | instskip(SKIP_1) | instid1(VALU_DEP_3)
	v_add_nc_u16 v14, v14, v15
	v_lshrrev_b32_e32 v15, 16, v3
	v_add_nc_u16 v13, v13, v2
	s_delay_alu instid0(VALU_DEP_3) | instskip(SKIP_1) | instid1(VALU_DEP_3)
	v_add_nc_u16 v14, v14, v16
	v_lshrrev_b32_e32 v16, 16, v4
	v_add_nc_u16 v13, v13, v3
	s_delay_alu instid0(VALU_DEP_3) | instskip(NEXT) | instid1(VALU_DEP_2)
	v_add_nc_u16 v14, v14, v15
	v_add_nc_u16 v13, v13, v4
	s_delay_alu instid0(VALU_DEP_2) | instskip(SKIP_1) | instid1(VALU_DEP_2)
	v_add_nc_u16 v15, v14, v16
	s_waitcnt lgkmcnt(0)
	v_add_nc_u16 v14, v13, v10
	s_delay_alu instid0(VALU_DEP_2) | instskip(NEXT) | instid1(VALU_DEP_2)
	v_and_b32_e32 v13, 0xffff, v15
	v_lshlrev_b32_e32 v16, 16, v14
	s_delay_alu instid0(VALU_DEP_1) | instskip(NEXT) | instid1(VALU_DEP_1)
	v_or_b32_e32 v16, v16, v13
	v_mov_b32_dpp v13, v16 row_shr:1 row_mask:0xf bank_mask:0xf
	s_delay_alu instid0(VALU_DEP_1) | instskip(SKIP_2) | instid1(VALU_DEP_3)
	v_lshrrev_b32_e32 v17, 16, v13
	v_add_nc_u16 v18, v15, v13
	v_mbcnt_lo_u32_b32 v13, -1, 0
	v_add_nc_u16 v19, v14, v17
	s_delay_alu instid0(VALU_DEP_3) | instskip(NEXT) | instid1(VALU_DEP_3)
	v_and_b32_e32 v20, 0xffff, v18
	v_and_b32_e32 v17, 15, v13
	s_delay_alu instid0(VALU_DEP_1) | instskip(NEXT) | instid1(VALU_DEP_4)
	v_cmp_eq_u32_e32 vcc_lo, 0, v17
	v_lshlrev_b32_e32 v21, 16, v19
	v_cndmask_b32_e32 v15, v18, v15, vcc_lo
	s_delay_alu instid0(VALU_DEP_2) | instskip(SKIP_1) | instid1(VALU_DEP_2)
	v_or_b32_e32 v20, v21, v20
	v_cndmask_b32_e32 v14, v19, v14, vcc_lo
	v_cndmask_b32_e32 v16, v20, v16, vcc_lo
	s_delay_alu instid0(VALU_DEP_1)
	v_mov_b32_dpp v19, v16 row_shr:2 row_mask:0xf bank_mask:0xf
	v_alignbit_b32 v15, v15, v16, 16
	v_cmpx_lt_u32_e32 1, v17
; %bb.2:
	s_delay_alu instid0(VALU_DEP_2) | instskip(NEXT) | instid1(VALU_DEP_1)
	v_perm_b32 v14, v18, v15, 0x5040100
	v_pk_add_u16 v14, v14, v19 op_sel:[0,1] op_sel_hi:[1,0]
	s_delay_alu instid0(VALU_DEP_1)
	v_perm_b32 v16, v14, v14, 0x5040706
	v_mov_b32_e32 v15, v14
; %bb.3:
	s_or_b32 exec_lo, exec_lo, s1
	s_delay_alu instid0(VALU_DEP_2)
	v_mov_b32_dpp v18, v16 row_shr:4 row_mask:0xf bank_mask:0xf
	s_mov_b32 s1, exec_lo
	v_cmpx_gt_u32_e32 4, v17
	s_xor_b32 s1, exec_lo, s1
; %bb.4:
                                        ; implicit-def: $vgpr18
; %bb.5:
	s_delay_alu instid0(SALU_CYCLE_1)
	s_and_not1_saveexec_b32 s1, s1
; %bb.6:
	v_pk_add_u16 v15, v15, v18 op_sel:[0,1] op_sel_hi:[1,0]
	s_delay_alu instid0(VALU_DEP_1)
	v_perm_b32 v16, v15, v15, 0x5040706
	v_mov_b32_e32 v14, v15
; %bb.7:
	s_or_b32 exec_lo, exec_lo, s1
	s_delay_alu instid0(VALU_DEP_2) | instskip(SKIP_2) | instid1(SALU_CYCLE_1)
	v_mov_b32_dpp v18, v16 row_shr:8 row_mask:0xf bank_mask:0xf
	v_cmp_gt_u32_e32 vcc_lo, 8, v17
                                        ; implicit-def: $vgpr17
	s_and_saveexec_b32 s1, vcc_lo
	s_xor_b32 s1, exec_lo, s1
; %bb.8:
	v_lshrrev_b32_e32 v17, 16, v15
                                        ; implicit-def: $vgpr18
; %bb.9:
	s_and_not1_saveexec_b32 s1, s1
; %bb.10:
	v_pk_add_u16 v14, v15, v18 op_sel:[0,1] op_sel_hi:[1,0]
	s_delay_alu instid0(VALU_DEP_1)
	v_lshrrev_b32_e32 v17, 16, v14
	v_perm_b32 v16, v14, v14, 0x5040706
	v_mov_b32_e32 v15, v14
; %bb.11:
	s_or_b32 exec_lo, exec_lo, s1
	ds_swizzle_b32 v16, v16 offset:swizzle(BROADCAST,32,15)
	v_and_b32_e32 v18, 16, v13
	s_delay_alu instid0(VALU_DEP_1) | instskip(SKIP_4) | instid1(VALU_DEP_2)
	v_cmp_eq_u32_e32 vcc_lo, 0, v18
	v_add_nc_u32_e32 v18, -1, v13
	s_waitcnt lgkmcnt(0)
	v_lshrrev_b32_e32 v19, 16, v16
	v_cndmask_b32_e64 v16, v16, 0, vcc_lo
	v_add_nc_u16 v15, v15, v19
	s_delay_alu instid0(VALU_DEP_2) | instskip(NEXT) | instid1(VALU_DEP_2)
	v_add_nc_u16 v16, v16, v17
	v_cndmask_b32_e32 v14, v15, v14, vcc_lo
	v_cmp_gt_i32_e32 vcc_lo, 0, v18
	v_cndmask_b32_e32 v13, v18, v13, vcc_lo
	v_cmp_eq_u32_e32 vcc_lo, 0, v0
	v_and_b32_e32 v15, 0xffff, v16
	v_lshlrev_b32_e32 v14, 16, v14
	s_delay_alu instid0(VALU_DEP_4) | instskip(NEXT) | instid1(VALU_DEP_2)
	v_lshlrev_b32_e32 v13, 2, v13
	v_or_b32_e32 v14, v14, v15
	ds_bpermute_b32 v13, v13, v14
	s_waitcnt lgkmcnt(0)
	v_pk_add_u16 v12, v13, v12
	v_lshrrev_b32_e32 v13, 16, v9
	s_delay_alu instid0(VALU_DEP_2) | instskip(SKIP_1) | instid1(VALU_DEP_2)
	v_cndmask_b32_e32 v9, v12, v9, vcc_lo
	v_lshrrev_b32_e32 v14, 16, v12
	v_add_nc_u16 v11, v9, v11
	s_delay_alu instid0(VALU_DEP_2) | instskip(NEXT) | instid1(VALU_DEP_1)
	v_cndmask_b32_e32 v0, v14, v13, vcc_lo
	v_perm_b32 v12, v11, v0, 0x5040100
	v_perm_b32 v0, v0, v9, 0x5040100
	s_delay_alu instid0(VALU_DEP_2) | instskip(NEXT) | instid1(VALU_DEP_1)
	v_pk_add_u16 v1, v12, v1
	v_pk_add_u16 v12, v1, v2
	s_delay_alu instid0(VALU_DEP_1) | instskip(SKIP_2) | instid1(VALU_DEP_3)
	v_pk_add_u16 v13, v12, v3
	v_alignbit_b32 v2, v12, v1, 16
	v_perm_b32 v1, v1, v11, 0x5040100
	v_pk_add_u16 v4, v13, v4
	v_alignbit_b32 v3, v13, v12, 16
	s_delay_alu instid0(VALU_DEP_2) | instskip(SKIP_1) | instid1(VALU_DEP_2)
	v_add_nc_u16 v10, v4, v10
	v_alignbit_b32 v9, v4, v13, 16
	v_alignbit_b32 v10, v10, v4, 16
	ds_store_b128 v8, v[0:3]
	ds_store_b64 v8, v[9:10] offset:16
.LBB147_12:
	s_or_b32 exec_lo, exec_lo, s0
	s_waitcnt lgkmcnt(0)
	s_barrier
	buffer_gl0_inv
	ds_load_b32 v0, v7
	s_waitcnt lgkmcnt(0)
	global_store_b32 v[5:6], v0, off
	s_nop 0
	s_sendmsg sendmsg(MSG_DEALLOC_VGPRS)
	s_endpgm
	.section	.rodata,"a",@progbits
	.p2align	6, 0x0
	.amdhsa_kernel _Z21inclusive_scan_kernelILj162ELN6hipcub18BlockScanAlgorithmE1EN10test_utils16custom_test_typeIsEEEvPT1_
		.amdhsa_group_segment_fixed_size 768
		.amdhsa_private_segment_fixed_size 0
		.amdhsa_kernarg_size 8
		.amdhsa_user_sgpr_count 15
		.amdhsa_user_sgpr_dispatch_ptr 0
		.amdhsa_user_sgpr_queue_ptr 0
		.amdhsa_user_sgpr_kernarg_segment_ptr 1
		.amdhsa_user_sgpr_dispatch_id 0
		.amdhsa_user_sgpr_private_segment_size 0
		.amdhsa_wavefront_size32 1
		.amdhsa_uses_dynamic_stack 0
		.amdhsa_enable_private_segment 0
		.amdhsa_system_sgpr_workgroup_id_x 1
		.amdhsa_system_sgpr_workgroup_id_y 0
		.amdhsa_system_sgpr_workgroup_id_z 0
		.amdhsa_system_sgpr_workgroup_info 0
		.amdhsa_system_vgpr_workitem_id 0
		.amdhsa_next_free_vgpr 22
		.amdhsa_next_free_sgpr 16
		.amdhsa_reserve_vcc 1
		.amdhsa_float_round_mode_32 0
		.amdhsa_float_round_mode_16_64 0
		.amdhsa_float_denorm_mode_32 3
		.amdhsa_float_denorm_mode_16_64 3
		.amdhsa_dx10_clamp 1
		.amdhsa_ieee_mode 1
		.amdhsa_fp16_overflow 0
		.amdhsa_workgroup_processor_mode 1
		.amdhsa_memory_ordered 1
		.amdhsa_forward_progress 0
		.amdhsa_shared_vgpr_count 0
		.amdhsa_exception_fp_ieee_invalid_op 0
		.amdhsa_exception_fp_denorm_src 0
		.amdhsa_exception_fp_ieee_div_zero 0
		.amdhsa_exception_fp_ieee_overflow 0
		.amdhsa_exception_fp_ieee_underflow 0
		.amdhsa_exception_fp_ieee_inexact 0
		.amdhsa_exception_int_div_zero 0
	.end_amdhsa_kernel
	.section	.text._Z21inclusive_scan_kernelILj162ELN6hipcub18BlockScanAlgorithmE1EN10test_utils16custom_test_typeIsEEEvPT1_,"axG",@progbits,_Z21inclusive_scan_kernelILj162ELN6hipcub18BlockScanAlgorithmE1EN10test_utils16custom_test_typeIsEEEvPT1_,comdat
.Lfunc_end147:
	.size	_Z21inclusive_scan_kernelILj162ELN6hipcub18BlockScanAlgorithmE1EN10test_utils16custom_test_typeIsEEEvPT1_, .Lfunc_end147-_Z21inclusive_scan_kernelILj162ELN6hipcub18BlockScanAlgorithmE1EN10test_utils16custom_test_typeIsEEEvPT1_
                                        ; -- End function
	.section	.AMDGPU.csdata,"",@progbits
; Kernel info:
; codeLenInByte = 944
; NumSgprs: 18
; NumVgprs: 22
; ScratchSize: 0
; MemoryBound: 0
; FloatMode: 240
; IeeeMode: 1
; LDSByteSize: 768 bytes/workgroup (compile time only)
; SGPRBlocks: 2
; VGPRBlocks: 2
; NumSGPRsForWavesPerEU: 18
; NumVGPRsForWavesPerEU: 22
; Occupancy: 15
; WaveLimiterHint : 0
; COMPUTE_PGM_RSRC2:SCRATCH_EN: 0
; COMPUTE_PGM_RSRC2:USER_SGPR: 15
; COMPUTE_PGM_RSRC2:TRAP_HANDLER: 0
; COMPUTE_PGM_RSRC2:TGID_X_EN: 1
; COMPUTE_PGM_RSRC2:TGID_Y_EN: 0
; COMPUTE_PGM_RSRC2:TGID_Z_EN: 0
; COMPUTE_PGM_RSRC2:TIDIG_COMP_CNT: 0
	.section	.text._Z21inclusive_scan_kernelILj37ELN6hipcub18BlockScanAlgorithmE1EN10test_utils16custom_test_typeIlEEEvPT1_,"axG",@progbits,_Z21inclusive_scan_kernelILj37ELN6hipcub18BlockScanAlgorithmE1EN10test_utils16custom_test_typeIlEEEvPT1_,comdat
	.protected	_Z21inclusive_scan_kernelILj37ELN6hipcub18BlockScanAlgorithmE1EN10test_utils16custom_test_typeIlEEEvPT1_ ; -- Begin function _Z21inclusive_scan_kernelILj37ELN6hipcub18BlockScanAlgorithmE1EN10test_utils16custom_test_typeIlEEEvPT1_
	.globl	_Z21inclusive_scan_kernelILj37ELN6hipcub18BlockScanAlgorithmE1EN10test_utils16custom_test_typeIlEEEvPT1_
	.p2align	8
	.type	_Z21inclusive_scan_kernelILj37ELN6hipcub18BlockScanAlgorithmE1EN10test_utils16custom_test_typeIlEEEvPT1_,@function
_Z21inclusive_scan_kernelILj37ELN6hipcub18BlockScanAlgorithmE1EN10test_utils16custom_test_typeIlEEEvPT1_: ; @_Z21inclusive_scan_kernelILj37ELN6hipcub18BlockScanAlgorithmE1EN10test_utils16custom_test_typeIlEEEvPT1_
; %bb.0:
	s_load_b64 s[0:1], s[0:1], 0x0
	v_mad_u64_u32 v[1:2], null, s15, 37, v[0:1]
	v_mov_b32_e32 v2, 0
	v_lshrrev_b32_e32 v5, 5, v0
	s_delay_alu instid0(VALU_DEP_1) | instskip(NEXT) | instid1(VALU_DEP_3)
	v_add_lshl_u32 v19, v5, v0, 4
	v_lshlrev_b64 v[1:2], 4, v[1:2]
	s_waitcnt lgkmcnt(0)
	s_delay_alu instid0(VALU_DEP_1) | instskip(NEXT) | instid1(VALU_DEP_2)
	v_add_co_u32 v13, vcc_lo, s0, v1
	v_add_co_ci_u32_e32 v14, vcc_lo, s1, v2, vcc_lo
	s_mov_b32 s1, exec_lo
	global_load_b128 v[1:4], v[13:14], off
	s_waitcnt vmcnt(0)
	ds_store_2addr_b64 v19, v[1:2], v[3:4] offset1:1
	s_waitcnt lgkmcnt(0)
	s_barrier
	buffer_gl0_inv
	v_cmpx_gt_u32_e32 32, v0
	s_cbranch_execz .LBB148_12
; %bb.1:
	v_and_b32_e32 v5, 48, v0
	v_mbcnt_lo_u32_b32 v21, -1, 0
	s_mov_b32 s0, exec_lo
	s_delay_alu instid0(VALU_DEP_2)
	v_lshl_or_b32 v20, v0, 5, v5
	ds_load_2addr_b64 v[9:12], v20 offset1:1
	ds_load_2addr_b64 v[5:8], v20 offset0:2 offset1:3
	s_waitcnt lgkmcnt(0)
	v_add_co_u32 v15, vcc_lo, v5, v9
	v_add_co_ci_u32_e32 v16, vcc_lo, v6, v10, vcc_lo
	v_add_co_u32 v23, vcc_lo, v7, v11
	v_add_co_ci_u32_e32 v22, vcc_lo, v8, v12, vcc_lo
	s_delay_alu instid0(VALU_DEP_3) | instskip(NEXT) | instid1(VALU_DEP_3)
	v_mov_b32_e32 v18, v16
	v_dual_mov_b32 v25, v23 :: v_dual_and_b32 v24, 15, v21
	v_mov_b32_dpp v28, v15 row_shr:1 row_mask:0xf bank_mask:0xf
	v_mov_b32_dpp v26, v16 row_shr:1 row_mask:0xf bank_mask:0xf
	;; [unrolled: 1-line block ×4, first 2 shown]
	v_mov_b32_e32 v17, v15
	v_cmpx_ne_u32_e32 0, v24
; %bb.2:
	v_add_co_u32 v15, vcc_lo, v15, v28
	v_add_co_ci_u32_e32 v16, vcc_lo, 0, v16, vcc_lo
	v_add_co_u32 v25, vcc_lo, v23, v29
	v_add_co_ci_u32_e32 v22, vcc_lo, 0, v22, vcc_lo
	s_delay_alu instid0(VALU_DEP_4) | instskip(NEXT) | instid1(VALU_DEP_4)
	v_add_co_u32 v17, vcc_lo, 0, v15
	v_add_co_ci_u32_e32 v18, vcc_lo, v26, v16, vcc_lo
	s_delay_alu instid0(VALU_DEP_4) | instskip(NEXT) | instid1(VALU_DEP_4)
	v_add_co_u32 v23, vcc_lo, 0, v25
	v_add_co_ci_u32_e32 v22, vcc_lo, v27, v22, vcc_lo
	s_delay_alu instid0(VALU_DEP_3)
	v_mov_b32_e32 v16, v18
; %bb.3:
	s_or_b32 exec_lo, exec_lo, s0
	v_mov_b32_dpp v28, v15 row_shr:2 row_mask:0xf bank_mask:0xf
	s_delay_alu instid0(VALU_DEP_2)
	v_mov_b32_dpp v26, v16 row_shr:2 row_mask:0xf bank_mask:0xf
	v_mov_b32_dpp v29, v25 row_shr:2 row_mask:0xf bank_mask:0xf
	v_mov_b32_dpp v27, v22 row_shr:2 row_mask:0xf bank_mask:0xf
	s_mov_b32 s0, exec_lo
	v_cmpx_lt_u32_e32 1, v24
; %bb.4:
	v_add_co_u32 v15, vcc_lo, v17, v28
	v_add_co_ci_u32_e32 v16, vcc_lo, 0, v18, vcc_lo
	v_add_co_u32 v25, vcc_lo, v23, v29
	v_add_co_ci_u32_e32 v22, vcc_lo, 0, v22, vcc_lo
	s_delay_alu instid0(VALU_DEP_4) | instskip(NEXT) | instid1(VALU_DEP_4)
	v_add_co_u32 v17, vcc_lo, 0, v15
	v_add_co_ci_u32_e32 v18, vcc_lo, v26, v16, vcc_lo
	s_delay_alu instid0(VALU_DEP_4) | instskip(NEXT) | instid1(VALU_DEP_4)
	v_add_co_u32 v23, vcc_lo, 0, v25
	v_add_co_ci_u32_e32 v22, vcc_lo, v27, v22, vcc_lo
	s_delay_alu instid0(VALU_DEP_3)
	v_mov_b32_e32 v16, v18
; %bb.5:
	s_or_b32 exec_lo, exec_lo, s0
	v_mov_b32_dpp v28, v15 row_shr:4 row_mask:0xf bank_mask:0xf
	s_delay_alu instid0(VALU_DEP_2)
	v_mov_b32_dpp v26, v16 row_shr:4 row_mask:0xf bank_mask:0xf
	v_mov_b32_dpp v29, v25 row_shr:4 row_mask:0xf bank_mask:0xf
	v_mov_b32_dpp v27, v22 row_shr:4 row_mask:0xf bank_mask:0xf
	s_mov_b32 s0, exec_lo
	v_cmpx_lt_u32_e32 3, v24
	;; [unrolled: 22-line block ×3, first 2 shown]
; %bb.8:
	v_add_co_u32 v15, vcc_lo, v17, v28
	v_add_co_ci_u32_e32 v16, vcc_lo, 0, v18, vcc_lo
	v_add_co_u32 v25, vcc_lo, v23, v29
	v_add_co_ci_u32_e32 v22, vcc_lo, 0, v22, vcc_lo
	s_delay_alu instid0(VALU_DEP_4) | instskip(NEXT) | instid1(VALU_DEP_4)
	v_add_co_u32 v17, vcc_lo, 0, v15
	v_add_co_ci_u32_e32 v18, vcc_lo, v26, v16, vcc_lo
	s_delay_alu instid0(VALU_DEP_4) | instskip(NEXT) | instid1(VALU_DEP_4)
	v_add_co_u32 v23, vcc_lo, 0, v25
	v_add_co_ci_u32_e32 v22, vcc_lo, v27, v22, vcc_lo
	s_delay_alu instid0(VALU_DEP_3)
	v_mov_b32_e32 v16, v18
; %bb.9:
	s_or_b32 exec_lo, exec_lo, s0
	ds_swizzle_b32 v26, v15 offset:swizzle(BROADCAST,32,15)
	ds_swizzle_b32 v24, v16 offset:swizzle(BROADCAST,32,15)
	;; [unrolled: 1-line block ×4, first 2 shown]
	v_and_b32_e32 v28, 16, v21
	s_mov_b32 s0, exec_lo
	s_delay_alu instid0(VALU_DEP_1)
	v_cmpx_ne_u32_e32 0, v28
	s_cbranch_execz .LBB148_11
; %bb.10:
	s_waitcnt lgkmcnt(1)
	v_add_co_u32 v16, vcc_lo, v23, v27
	v_add_co_ci_u32_e32 v22, vcc_lo, 0, v22, vcc_lo
	v_add_co_u32 v15, vcc_lo, v17, v26
	v_add_co_ci_u32_e32 v17, vcc_lo, 0, v18, vcc_lo
	s_delay_alu instid0(VALU_DEP_4) | instskip(SKIP_2) | instid1(VALU_DEP_3)
	v_add_co_u32 v23, vcc_lo, v16, 0
	s_waitcnt lgkmcnt(0)
	v_add_co_ci_u32_e32 v22, vcc_lo, v22, v25, vcc_lo
	v_add_nc_u32_e32 v16, v24, v17
.LBB148_11:
	s_or_b32 exec_lo, exec_lo, s0
	v_add_nc_u32_e32 v17, -1, v21
	s_delay_alu instid0(VALU_DEP_1) | instskip(SKIP_1) | instid1(VALU_DEP_1)
	v_cmp_gt_i32_e32 vcc_lo, 0, v17
	v_cndmask_b32_e32 v17, v17, v21, vcc_lo
	v_lshlrev_b32_e32 v17, 2, v17
	ds_bpermute_b32 v18, v17, v23
	ds_bpermute_b32 v15, v17, v15
	;; [unrolled: 1-line block ×4, first 2 shown]
	s_waitcnt lgkmcnt(3)
	v_add_co_u32 v11, vcc_lo, v11, v18
	v_add_co_ci_u32_e32 v12, vcc_lo, 0, v12, vcc_lo
	s_waitcnt lgkmcnt(2)
	v_add_co_u32 v9, vcc_lo, v9, v15
	v_add_co_ci_u32_e32 v10, vcc_lo, 0, v10, vcc_lo
	v_add_co_u32 v11, vcc_lo, v11, 0
	s_waitcnt lgkmcnt(1)
	v_add_co_ci_u32_e32 v12, vcc_lo, v12, v21, vcc_lo
	v_cmp_eq_u32_e32 vcc_lo, 0, v0
	v_add_co_u32 v0, s0, 0, v9
	s_waitcnt lgkmcnt(0)
	v_add_co_ci_u32_e64 v10, s0, v16, v10, s0
	v_cndmask_b32_e32 v4, v12, v4, vcc_lo
	v_dual_cndmask_b32 v0, v9, v1 :: v_dual_cndmask_b32 v3, v11, v3
	s_delay_alu instid0(VALU_DEP_3) | instskip(NEXT) | instid1(VALU_DEP_2)
	v_cndmask_b32_e32 v1, v10, v2, vcc_lo
	v_add_co_u32 v5, vcc_lo, v0, v5
	s_delay_alu instid0(VALU_DEP_2) | instskip(NEXT) | instid1(VALU_DEP_4)
	v_add_co_ci_u32_e32 v6, vcc_lo, v1, v6, vcc_lo
	v_add_co_u32 v7, vcc_lo, v3, v7
	v_add_co_ci_u32_e32 v8, vcc_lo, v4, v8, vcc_lo
	ds_store_2addr_b64 v20, v[0:1], v[3:4] offset1:1
	ds_store_2addr_b64 v20, v[5:6], v[7:8] offset0:2 offset1:3
.LBB148_12:
	s_or_b32 exec_lo, exec_lo, s1
	s_waitcnt lgkmcnt(0)
	s_barrier
	buffer_gl0_inv
	ds_load_2addr_b64 v[0:3], v19 offset1:1
	s_waitcnt lgkmcnt(0)
	global_store_b128 v[13:14], v[0:3], off
	s_nop 0
	s_sendmsg sendmsg(MSG_DEALLOC_VGPRS)
	s_endpgm
	.section	.rodata,"a",@progbits
	.p2align	6, 0x0
	.amdhsa_kernel _Z21inclusive_scan_kernelILj37ELN6hipcub18BlockScanAlgorithmE1EN10test_utils16custom_test_typeIlEEEvPT1_
		.amdhsa_group_segment_fixed_size 1056
		.amdhsa_private_segment_fixed_size 0
		.amdhsa_kernarg_size 8
		.amdhsa_user_sgpr_count 15
		.amdhsa_user_sgpr_dispatch_ptr 0
		.amdhsa_user_sgpr_queue_ptr 0
		.amdhsa_user_sgpr_kernarg_segment_ptr 1
		.amdhsa_user_sgpr_dispatch_id 0
		.amdhsa_user_sgpr_private_segment_size 0
		.amdhsa_wavefront_size32 1
		.amdhsa_uses_dynamic_stack 0
		.amdhsa_enable_private_segment 0
		.amdhsa_system_sgpr_workgroup_id_x 1
		.amdhsa_system_sgpr_workgroup_id_y 0
		.amdhsa_system_sgpr_workgroup_id_z 0
		.amdhsa_system_sgpr_workgroup_info 0
		.amdhsa_system_vgpr_workitem_id 0
		.amdhsa_next_free_vgpr 30
		.amdhsa_next_free_sgpr 16
		.amdhsa_reserve_vcc 1
		.amdhsa_float_round_mode_32 0
		.amdhsa_float_round_mode_16_64 0
		.amdhsa_float_denorm_mode_32 3
		.amdhsa_float_denorm_mode_16_64 3
		.amdhsa_dx10_clamp 1
		.amdhsa_ieee_mode 1
		.amdhsa_fp16_overflow 0
		.amdhsa_workgroup_processor_mode 1
		.amdhsa_memory_ordered 1
		.amdhsa_forward_progress 0
		.amdhsa_shared_vgpr_count 0
		.amdhsa_exception_fp_ieee_invalid_op 0
		.amdhsa_exception_fp_denorm_src 0
		.amdhsa_exception_fp_ieee_div_zero 0
		.amdhsa_exception_fp_ieee_overflow 0
		.amdhsa_exception_fp_ieee_underflow 0
		.amdhsa_exception_fp_ieee_inexact 0
		.amdhsa_exception_int_div_zero 0
	.end_amdhsa_kernel
	.section	.text._Z21inclusive_scan_kernelILj37ELN6hipcub18BlockScanAlgorithmE1EN10test_utils16custom_test_typeIlEEEvPT1_,"axG",@progbits,_Z21inclusive_scan_kernelILj37ELN6hipcub18BlockScanAlgorithmE1EN10test_utils16custom_test_typeIlEEEvPT1_,comdat
.Lfunc_end148:
	.size	_Z21inclusive_scan_kernelILj37ELN6hipcub18BlockScanAlgorithmE1EN10test_utils16custom_test_typeIlEEEvPT1_, .Lfunc_end148-_Z21inclusive_scan_kernelILj37ELN6hipcub18BlockScanAlgorithmE1EN10test_utils16custom_test_typeIlEEEvPT1_
                                        ; -- End function
	.section	.AMDGPU.csdata,"",@progbits
; Kernel info:
; codeLenInByte = 992
; NumSgprs: 18
; NumVgprs: 30
; ScratchSize: 0
; MemoryBound: 0
; FloatMode: 240
; IeeeMode: 1
; LDSByteSize: 1056 bytes/workgroup (compile time only)
; SGPRBlocks: 2
; VGPRBlocks: 3
; NumSGPRsForWavesPerEU: 18
; NumVGPRsForWavesPerEU: 30
; Occupancy: 16
; WaveLimiterHint : 0
; COMPUTE_PGM_RSRC2:SCRATCH_EN: 0
; COMPUTE_PGM_RSRC2:USER_SGPR: 15
; COMPUTE_PGM_RSRC2:TRAP_HANDLER: 0
; COMPUTE_PGM_RSRC2:TGID_X_EN: 1
; COMPUTE_PGM_RSRC2:TGID_Y_EN: 0
; COMPUTE_PGM_RSRC2:TGID_Z_EN: 0
; COMPUTE_PGM_RSRC2:TIDIG_COMP_CNT: 0
	.section	.text._Z21inclusive_scan_kernelILj65ELN6hipcub18BlockScanAlgorithmE1EN10test_utils16custom_test_typeImEEEvPT1_,"axG",@progbits,_Z21inclusive_scan_kernelILj65ELN6hipcub18BlockScanAlgorithmE1EN10test_utils16custom_test_typeImEEEvPT1_,comdat
	.protected	_Z21inclusive_scan_kernelILj65ELN6hipcub18BlockScanAlgorithmE1EN10test_utils16custom_test_typeImEEEvPT1_ ; -- Begin function _Z21inclusive_scan_kernelILj65ELN6hipcub18BlockScanAlgorithmE1EN10test_utils16custom_test_typeImEEEvPT1_
	.globl	_Z21inclusive_scan_kernelILj65ELN6hipcub18BlockScanAlgorithmE1EN10test_utils16custom_test_typeImEEEvPT1_
	.p2align	8
	.type	_Z21inclusive_scan_kernelILj65ELN6hipcub18BlockScanAlgorithmE1EN10test_utils16custom_test_typeImEEEvPT1_,@function
_Z21inclusive_scan_kernelILj65ELN6hipcub18BlockScanAlgorithmE1EN10test_utils16custom_test_typeImEEEvPT1_: ; @_Z21inclusive_scan_kernelILj65ELN6hipcub18BlockScanAlgorithmE1EN10test_utils16custom_test_typeImEEEvPT1_
; %bb.0:
	s_load_b64 s[0:1], s[0:1], 0x0
	v_mad_u64_u32 v[1:2], null, 0x41, s15, v[0:1]
	v_dual_mov_b32 v2, 0 :: v_dual_lshlrev_b32 v23, 4, v0
	s_delay_alu instid0(VALU_DEP_1) | instskip(SKIP_1) | instid1(VALU_DEP_1)
	v_lshlrev_b64 v[1:2], 4, v[1:2]
	s_waitcnt lgkmcnt(0)
	v_add_co_u32 v17, vcc_lo, s0, v1
	s_delay_alu instid0(VALU_DEP_2)
	v_add_co_ci_u32_e32 v18, vcc_lo, s1, v2, vcc_lo
	s_mov_b32 s1, exec_lo
	global_load_b128 v[1:4], v[17:18], off
	s_waitcnt vmcnt(0)
	ds_store_2addr_b64 v23, v[1:2], v[3:4] offset1:1
	s_waitcnt lgkmcnt(0)
	s_barrier
	buffer_gl0_inv
	v_cmpx_gt_u32_e32 32, v0
	s_cbranch_execz .LBB149_12
; %bb.1:
	v_mul_u32_u24_e32 v5, 3, v0
	v_mbcnt_lo_u32_b32 v25, -1, 0
	s_mov_b32 s0, exec_lo
	s_delay_alu instid0(VALU_DEP_2)
	v_lshlrev_b32_e32 v24, 4, v5
	ds_load_2addr_b64 v[13:16], v24 offset1:1
	ds_load_2addr_b64 v[5:8], v24 offset0:2 offset1:3
	ds_load_2addr_b64 v[9:12], v24 offset0:4 offset1:5
	s_waitcnt lgkmcnt(1)
	v_add_co_u32 v19, vcc_lo, v5, v13
	v_add_co_ci_u32_e32 v20, vcc_lo, v6, v14, vcc_lo
	v_add_co_u32 v21, vcc_lo, v7, v15
	v_add_co_ci_u32_e32 v22, vcc_lo, v8, v16, vcc_lo
	s_waitcnt lgkmcnt(0)
	v_add_co_u32 v19, vcc_lo, v19, v9
	v_add_co_ci_u32_e32 v20, vcc_lo, v20, v10, vcc_lo
	v_add_co_u32 v27, vcc_lo, v21, v11
	v_add_co_ci_u32_e32 v26, vcc_lo, v22, v12, vcc_lo
	s_delay_alu instid0(VALU_DEP_2)
	v_dual_mov_b32 v22, v20 :: v_dual_mov_b32 v29, v27
	v_dual_mov_b32 v21, v19 :: v_dual_and_b32 v28, 15, v25
	v_mov_b32_dpp v32, v19 row_shr:1 row_mask:0xf bank_mask:0xf
	v_mov_b32_dpp v30, v20 row_shr:1 row_mask:0xf bank_mask:0xf
	;; [unrolled: 1-line block ×4, first 2 shown]
	v_cmpx_ne_u32_e32 0, v28
; %bb.2:
	v_add_co_u32 v19, vcc_lo, v19, v32
	v_add_co_ci_u32_e32 v20, vcc_lo, 0, v20, vcc_lo
	v_add_co_u32 v29, vcc_lo, v27, v33
	v_add_co_ci_u32_e32 v26, vcc_lo, 0, v26, vcc_lo
	s_delay_alu instid0(VALU_DEP_4) | instskip(NEXT) | instid1(VALU_DEP_4)
	v_add_co_u32 v21, vcc_lo, 0, v19
	v_add_co_ci_u32_e32 v22, vcc_lo, v30, v20, vcc_lo
	s_delay_alu instid0(VALU_DEP_4) | instskip(NEXT) | instid1(VALU_DEP_4)
	v_add_co_u32 v27, vcc_lo, 0, v29
	v_add_co_ci_u32_e32 v26, vcc_lo, v31, v26, vcc_lo
	s_delay_alu instid0(VALU_DEP_3)
	v_mov_b32_e32 v20, v22
; %bb.3:
	s_or_b32 exec_lo, exec_lo, s0
	v_mov_b32_dpp v32, v19 row_shr:2 row_mask:0xf bank_mask:0xf
	s_delay_alu instid0(VALU_DEP_2)
	v_mov_b32_dpp v30, v20 row_shr:2 row_mask:0xf bank_mask:0xf
	v_mov_b32_dpp v33, v29 row_shr:2 row_mask:0xf bank_mask:0xf
	v_mov_b32_dpp v31, v26 row_shr:2 row_mask:0xf bank_mask:0xf
	s_mov_b32 s0, exec_lo
	v_cmpx_lt_u32_e32 1, v28
; %bb.4:
	v_add_co_u32 v19, vcc_lo, v21, v32
	v_add_co_ci_u32_e32 v20, vcc_lo, 0, v22, vcc_lo
	v_add_co_u32 v29, vcc_lo, v27, v33
	v_add_co_ci_u32_e32 v26, vcc_lo, 0, v26, vcc_lo
	s_delay_alu instid0(VALU_DEP_4) | instskip(NEXT) | instid1(VALU_DEP_4)
	v_add_co_u32 v21, vcc_lo, 0, v19
	v_add_co_ci_u32_e32 v22, vcc_lo, v30, v20, vcc_lo
	s_delay_alu instid0(VALU_DEP_4) | instskip(NEXT) | instid1(VALU_DEP_4)
	v_add_co_u32 v27, vcc_lo, 0, v29
	v_add_co_ci_u32_e32 v26, vcc_lo, v31, v26, vcc_lo
	s_delay_alu instid0(VALU_DEP_3)
	v_mov_b32_e32 v20, v22
; %bb.5:
	s_or_b32 exec_lo, exec_lo, s0
	v_mov_b32_dpp v32, v19 row_shr:4 row_mask:0xf bank_mask:0xf
	s_delay_alu instid0(VALU_DEP_2)
	v_mov_b32_dpp v30, v20 row_shr:4 row_mask:0xf bank_mask:0xf
	v_mov_b32_dpp v33, v29 row_shr:4 row_mask:0xf bank_mask:0xf
	v_mov_b32_dpp v31, v26 row_shr:4 row_mask:0xf bank_mask:0xf
	s_mov_b32 s0, exec_lo
	v_cmpx_lt_u32_e32 3, v28
	;; [unrolled: 22-line block ×3, first 2 shown]
; %bb.8:
	v_add_co_u32 v19, vcc_lo, v21, v32
	v_add_co_ci_u32_e32 v20, vcc_lo, 0, v22, vcc_lo
	v_add_co_u32 v29, vcc_lo, v27, v33
	v_add_co_ci_u32_e32 v26, vcc_lo, 0, v26, vcc_lo
	s_delay_alu instid0(VALU_DEP_4) | instskip(NEXT) | instid1(VALU_DEP_4)
	v_add_co_u32 v21, vcc_lo, 0, v19
	v_add_co_ci_u32_e32 v22, vcc_lo, v30, v20, vcc_lo
	s_delay_alu instid0(VALU_DEP_4) | instskip(NEXT) | instid1(VALU_DEP_4)
	v_add_co_u32 v27, vcc_lo, 0, v29
	v_add_co_ci_u32_e32 v26, vcc_lo, v31, v26, vcc_lo
	s_delay_alu instid0(VALU_DEP_3)
	v_mov_b32_e32 v20, v22
; %bb.9:
	s_or_b32 exec_lo, exec_lo, s0
	ds_swizzle_b32 v30, v19 offset:swizzle(BROADCAST,32,15)
	ds_swizzle_b32 v28, v20 offset:swizzle(BROADCAST,32,15)
	;; [unrolled: 1-line block ×4, first 2 shown]
	v_and_b32_e32 v32, 16, v25
	s_mov_b32 s0, exec_lo
	s_delay_alu instid0(VALU_DEP_1)
	v_cmpx_ne_u32_e32 0, v32
	s_cbranch_execz .LBB149_11
; %bb.10:
	s_waitcnt lgkmcnt(1)
	v_add_co_u32 v20, vcc_lo, v27, v31
	v_add_co_ci_u32_e32 v26, vcc_lo, 0, v26, vcc_lo
	v_add_co_u32 v19, vcc_lo, v21, v30
	v_add_co_ci_u32_e32 v21, vcc_lo, 0, v22, vcc_lo
	s_delay_alu instid0(VALU_DEP_4) | instskip(SKIP_2) | instid1(VALU_DEP_3)
	v_add_co_u32 v27, vcc_lo, v20, 0
	s_waitcnt lgkmcnt(0)
	v_add_co_ci_u32_e32 v26, vcc_lo, v26, v29, vcc_lo
	v_add_nc_u32_e32 v20, v28, v21
.LBB149_11:
	s_or_b32 exec_lo, exec_lo, s0
	v_add_nc_u32_e32 v21, -1, v25
	s_delay_alu instid0(VALU_DEP_1) | instskip(SKIP_1) | instid1(VALU_DEP_1)
	v_cmp_gt_i32_e32 vcc_lo, 0, v21
	v_cndmask_b32_e32 v21, v21, v25, vcc_lo
	v_lshlrev_b32_e32 v21, 2, v21
	ds_bpermute_b32 v22, v21, v27
	ds_bpermute_b32 v19, v21, v19
	;; [unrolled: 1-line block ×4, first 2 shown]
	s_waitcnt lgkmcnt(3)
	v_add_co_u32 v15, vcc_lo, v15, v22
	v_add_co_ci_u32_e32 v16, vcc_lo, 0, v16, vcc_lo
	s_waitcnt lgkmcnt(2)
	v_add_co_u32 v13, vcc_lo, v13, v19
	v_add_co_ci_u32_e32 v14, vcc_lo, 0, v14, vcc_lo
	v_add_co_u32 v15, vcc_lo, v15, 0
	s_waitcnt lgkmcnt(1)
	v_add_co_ci_u32_e32 v16, vcc_lo, v16, v25, vcc_lo
	v_cmp_eq_u32_e32 vcc_lo, 0, v0
	v_add_co_u32 v0, s0, v13, 0
	s_waitcnt lgkmcnt(0)
	v_add_co_ci_u32_e64 v13, s0, v14, v20, s0
	v_cndmask_b32_e32 v4, v16, v4, vcc_lo
	s_delay_alu instid0(VALU_DEP_3) | instskip(NEXT) | instid1(VALU_DEP_3)
	v_dual_cndmask_b32 v0, v0, v1 :: v_dual_cndmask_b32 v3, v15, v3
	v_cndmask_b32_e32 v1, v13, v2, vcc_lo
	s_delay_alu instid0(VALU_DEP_2) | instskip(NEXT) | instid1(VALU_DEP_2)
	v_add_co_u32 v5, vcc_lo, v0, v5
	v_add_co_ci_u32_e32 v6, vcc_lo, v1, v6, vcc_lo
	s_delay_alu instid0(VALU_DEP_4) | instskip(SKIP_1) | instid1(VALU_DEP_4)
	v_add_co_u32 v7, vcc_lo, v3, v7
	v_add_co_ci_u32_e32 v8, vcc_lo, v4, v8, vcc_lo
	v_add_co_u32 v9, vcc_lo, v5, v9
	s_delay_alu instid0(VALU_DEP_4) | instskip(NEXT) | instid1(VALU_DEP_4)
	v_add_co_ci_u32_e32 v10, vcc_lo, v6, v10, vcc_lo
	v_add_co_u32 v11, vcc_lo, v7, v11
	s_delay_alu instid0(VALU_DEP_4)
	v_add_co_ci_u32_e32 v12, vcc_lo, v8, v12, vcc_lo
	ds_store_2addr_b64 v24, v[0:1], v[3:4] offset1:1
	ds_store_2addr_b64 v24, v[5:6], v[7:8] offset0:2 offset1:3
	ds_store_2addr_b64 v24, v[9:10], v[11:12] offset0:4 offset1:5
.LBB149_12:
	s_or_b32 exec_lo, exec_lo, s1
	s_waitcnt lgkmcnt(0)
	s_barrier
	buffer_gl0_inv
	ds_load_2addr_b64 v[0:3], v23 offset1:1
	s_waitcnt lgkmcnt(0)
	global_store_b128 v[17:18], v[0:3], off
	s_nop 0
	s_sendmsg sendmsg(MSG_DEALLOC_VGPRS)
	s_endpgm
	.section	.rodata,"a",@progbits
	.p2align	6, 0x0
	.amdhsa_kernel _Z21inclusive_scan_kernelILj65ELN6hipcub18BlockScanAlgorithmE1EN10test_utils16custom_test_typeImEEEvPT1_
		.amdhsa_group_segment_fixed_size 1536
		.amdhsa_private_segment_fixed_size 0
		.amdhsa_kernarg_size 8
		.amdhsa_user_sgpr_count 15
		.amdhsa_user_sgpr_dispatch_ptr 0
		.amdhsa_user_sgpr_queue_ptr 0
		.amdhsa_user_sgpr_kernarg_segment_ptr 1
		.amdhsa_user_sgpr_dispatch_id 0
		.amdhsa_user_sgpr_private_segment_size 0
		.amdhsa_wavefront_size32 1
		.amdhsa_uses_dynamic_stack 0
		.amdhsa_enable_private_segment 0
		.amdhsa_system_sgpr_workgroup_id_x 1
		.amdhsa_system_sgpr_workgroup_id_y 0
		.amdhsa_system_sgpr_workgroup_id_z 0
		.amdhsa_system_sgpr_workgroup_info 0
		.amdhsa_system_vgpr_workitem_id 0
		.amdhsa_next_free_vgpr 34
		.amdhsa_next_free_sgpr 16
		.amdhsa_reserve_vcc 1
		.amdhsa_float_round_mode_32 0
		.amdhsa_float_round_mode_16_64 0
		.amdhsa_float_denorm_mode_32 3
		.amdhsa_float_denorm_mode_16_64 3
		.amdhsa_dx10_clamp 1
		.amdhsa_ieee_mode 1
		.amdhsa_fp16_overflow 0
		.amdhsa_workgroup_processor_mode 1
		.amdhsa_memory_ordered 1
		.amdhsa_forward_progress 0
		.amdhsa_shared_vgpr_count 0
		.amdhsa_exception_fp_ieee_invalid_op 0
		.amdhsa_exception_fp_denorm_src 0
		.amdhsa_exception_fp_ieee_div_zero 0
		.amdhsa_exception_fp_ieee_overflow 0
		.amdhsa_exception_fp_ieee_underflow 0
		.amdhsa_exception_fp_ieee_inexact 0
		.amdhsa_exception_int_div_zero 0
	.end_amdhsa_kernel
	.section	.text._Z21inclusive_scan_kernelILj65ELN6hipcub18BlockScanAlgorithmE1EN10test_utils16custom_test_typeImEEEvPT1_,"axG",@progbits,_Z21inclusive_scan_kernelILj65ELN6hipcub18BlockScanAlgorithmE1EN10test_utils16custom_test_typeImEEEvPT1_,comdat
.Lfunc_end149:
	.size	_Z21inclusive_scan_kernelILj65ELN6hipcub18BlockScanAlgorithmE1EN10test_utils16custom_test_typeImEEEvPT1_, .Lfunc_end149-_Z21inclusive_scan_kernelILj65ELN6hipcub18BlockScanAlgorithmE1EN10test_utils16custom_test_typeImEEEvPT1_
                                        ; -- End function
	.section	.AMDGPU.csdata,"",@progbits
; Kernel info:
; codeLenInByte = 1064
; NumSgprs: 18
; NumVgprs: 34
; ScratchSize: 0
; MemoryBound: 0
; FloatMode: 240
; IeeeMode: 1
; LDSByteSize: 1536 bytes/workgroup (compile time only)
; SGPRBlocks: 2
; VGPRBlocks: 4
; NumSGPRsForWavesPerEU: 18
; NumVGPRsForWavesPerEU: 34
; Occupancy: 16
; WaveLimiterHint : 0
; COMPUTE_PGM_RSRC2:SCRATCH_EN: 0
; COMPUTE_PGM_RSRC2:USER_SGPR: 15
; COMPUTE_PGM_RSRC2:TRAP_HANDLER: 0
; COMPUTE_PGM_RSRC2:TGID_X_EN: 1
; COMPUTE_PGM_RSRC2:TGID_Y_EN: 0
; COMPUTE_PGM_RSRC2:TGID_Z_EN: 0
; COMPUTE_PGM_RSRC2:TIDIG_COMP_CNT: 0
	.section	.text._Z21inclusive_scan_kernelILj512ELN6hipcub18BlockScanAlgorithmE1EN10test_utils16custom_test_typeIiEEEvPT1_,"axG",@progbits,_Z21inclusive_scan_kernelILj512ELN6hipcub18BlockScanAlgorithmE1EN10test_utils16custom_test_typeIiEEEvPT1_,comdat
	.protected	_Z21inclusive_scan_kernelILj512ELN6hipcub18BlockScanAlgorithmE1EN10test_utils16custom_test_typeIiEEEvPT1_ ; -- Begin function _Z21inclusive_scan_kernelILj512ELN6hipcub18BlockScanAlgorithmE1EN10test_utils16custom_test_typeIiEEEvPT1_
	.globl	_Z21inclusive_scan_kernelILj512ELN6hipcub18BlockScanAlgorithmE1EN10test_utils16custom_test_typeIiEEEvPT1_
	.p2align	8
	.type	_Z21inclusive_scan_kernelILj512ELN6hipcub18BlockScanAlgorithmE1EN10test_utils16custom_test_typeIiEEEvPT1_,@function
_Z21inclusive_scan_kernelILj512ELN6hipcub18BlockScanAlgorithmE1EN10test_utils16custom_test_typeIiEEEvPT1_: ; @_Z21inclusive_scan_kernelILj512ELN6hipcub18BlockScanAlgorithmE1EN10test_utils16custom_test_typeIiEEEvPT1_
; %bb.0:
	s_load_b64 s[0:1], s[0:1], 0x0
	v_mov_b32_e32 v2, 0
	v_lshl_or_b32 v1, s15, 9, v0
	v_lshrrev_b32_e32 v5, 5, v0
	s_delay_alu instid0(VALU_DEP_2) | instskip(NEXT) | instid1(VALU_DEP_2)
	v_lshlrev_b64 v[1:2], 3, v[1:2]
	v_add_lshl_u32 v5, v5, v0, 3
	s_waitcnt lgkmcnt(0)
	s_delay_alu instid0(VALU_DEP_2) | instskip(NEXT) | instid1(VALU_DEP_3)
	v_add_co_u32 v1, vcc_lo, s0, v1
	v_add_co_ci_u32_e32 v2, vcc_lo, s1, v2, vcc_lo
	s_mov_b32 s0, exec_lo
	global_load_b64 v[3:4], v[1:2], off
	s_waitcnt vmcnt(0)
	ds_store_2addr_b32 v5, v3, v4 offset1:1
	s_waitcnt lgkmcnt(0)
	s_barrier
	buffer_gl0_inv
	v_cmpx_gt_u32_e32 32, v0
	s_cbranch_execz .LBB150_2
; %bb.1:
	v_lshlrev_b32_e32 v6, 2, v0
	v_mbcnt_lo_u32_b32 v41, -1, 0
	s_delay_alu instid0(VALU_DEP_2) | instskip(NEXT) | instid1(VALU_DEP_2)
	v_and_b32_e32 v6, 0x7f8, v6
	v_and_b32_e32 v42, 15, v41
	v_bfe_i32 v45, v41, 4, 1
	s_delay_alu instid0(VALU_DEP_3) | instskip(NEXT) | instid1(VALU_DEP_3)
	v_lshl_or_b32 v38, v0, 7, v6
	v_cmp_eq_u32_e32 vcc_lo, 0, v42
	ds_load_2addr_b32 v[6:7], v38 offset0:4 offset1:5
	ds_load_2addr_b32 v[8:9], v38 offset0:6 offset1:7
	;; [unrolled: 1-line block ×3, first 2 shown]
	ds_load_2addr_b32 v[12:13], v38 offset1:1
	ds_load_2addr_b32 v[14:15], v38 offset0:8 offset1:9
	ds_load_2addr_b32 v[16:17], v38 offset0:10 offset1:11
	;; [unrolled: 1-line block ×6, first 2 shown]
	s_waitcnt lgkmcnt(6)
	v_add_nc_u32_e32 v26, v10, v12
	v_add_nc_u32_e32 v30, v11, v13
	s_delay_alu instid0(VALU_DEP_2)
	v_add3_u32 v31, v26, v6, v8
	ds_load_2addr_b32 v[26:27], v38 offset0:20 offset1:21
	ds_load_2addr_b32 v[28:29], v38 offset0:22 offset1:23
	v_add3_u32 v34, v30, v7, v9
	s_waitcnt lgkmcnt(6)
	v_add3_u32 v39, v31, v14, v16
	ds_load_2addr_b32 v[30:31], v38 offset0:24 offset1:25
	ds_load_2addr_b32 v[32:33], v38 offset0:26 offset1:27
	v_add3_u32 v40, v34, v15, v17
	ds_load_2addr_b32 v[34:35], v38 offset0:28 offset1:29
	ds_load_2addr_b32 v[36:37], v38 offset0:30 offset1:31
	s_waitcnt lgkmcnt(8)
	v_add3_u32 v39, v39, v18, v20
	v_add3_u32 v40, v40, v19, v21
	s_waitcnt lgkmcnt(6)
	s_delay_alu instid0(VALU_DEP_2) | instskip(NEXT) | instid1(VALU_DEP_2)
	v_add3_u32 v39, v39, v22, v24
	v_add3_u32 v40, v40, v23, v25
	s_waitcnt lgkmcnt(4)
	s_delay_alu instid0(VALU_DEP_2) | instskip(NEXT) | instid1(VALU_DEP_2)
	;; [unrolled: 4-line block ×4, first 2 shown]
	v_add3_u32 v39, v39, v34, v36
	v_add3_u32 v40, v40, v35, v37
	s_delay_alu instid0(VALU_DEP_2) | instskip(NEXT) | instid1(VALU_DEP_2)
	v_mov_b32_dpp v43, v39 row_shr:1 row_mask:0xf bank_mask:0xf
	v_mov_b32_dpp v44, v40 row_shr:1 row_mask:0xf bank_mask:0xf
	s_delay_alu instid0(VALU_DEP_2) | instskip(NEXT) | instid1(VALU_DEP_2)
	v_cndmask_b32_e64 v43, v43, 0, vcc_lo
	v_cndmask_b32_e64 v44, v44, 0, vcc_lo
	v_cmp_lt_u32_e32 vcc_lo, 1, v42
	s_delay_alu instid0(VALU_DEP_2) | instskip(NEXT) | instid1(VALU_DEP_1)
	v_add_nc_u32_e32 v40, v44, v40
	v_mov_b32_dpp v44, v40 row_shr:2 row_mask:0xf bank_mask:0xf
	s_delay_alu instid0(VALU_DEP_1) | instskip(NEXT) | instid1(VALU_DEP_1)
	v_dual_cndmask_b32 v44, 0, v44 :: v_dual_add_nc_u32 v39, v43, v39
	v_mov_b32_dpp v43, v39 row_shr:2 row_mask:0xf bank_mask:0xf
	s_delay_alu instid0(VALU_DEP_1) | instskip(SKIP_1) | instid1(VALU_DEP_2)
	v_dual_cndmask_b32 v43, 0, v43 :: v_dual_add_nc_u32 v40, v44, v40
	v_cmp_lt_u32_e32 vcc_lo, 3, v42
	v_mov_b32_dpp v44, v40 row_shr:4 row_mask:0xf bank_mask:0xf
	s_delay_alu instid0(VALU_DEP_1) | instskip(NEXT) | instid1(VALU_DEP_1)
	v_dual_cndmask_b32 v44, 0, v44 :: v_dual_add_nc_u32 v39, v39, v43
	v_mov_b32_dpp v43, v39 row_shr:4 row_mask:0xf bank_mask:0xf
	s_delay_alu instid0(VALU_DEP_1) | instskip(SKIP_1) | instid1(VALU_DEP_2)
	v_dual_cndmask_b32 v43, 0, v43 :: v_dual_add_nc_u32 v40, v44, v40
	v_cmp_lt_u32_e32 vcc_lo, 7, v42
	v_mov_b32_dpp v44, v40 row_shr:8 row_mask:0xf bank_mask:0xf
	s_delay_alu instid0(VALU_DEP_1) | instskip(NEXT) | instid1(VALU_DEP_1)
	v_dual_cndmask_b32 v42, 0, v44 :: v_dual_add_nc_u32 v39, v43, v39
	v_mov_b32_dpp v43, v39 row_shr:8 row_mask:0xf bank_mask:0xf
	s_delay_alu instid0(VALU_DEP_1) | instskip(NEXT) | instid1(VALU_DEP_1)
	v_dual_cndmask_b32 v43, 0, v43 :: v_dual_add_nc_u32 v44, -1, v41
	v_cmp_gt_i32_e32 vcc_lo, 0, v44
	s_delay_alu instid0(VALU_DEP_4) | instskip(NEXT) | instid1(VALU_DEP_3)
	v_add_nc_u32_e32 v40, v42, v40
	v_add_nc_u32_e32 v39, v43, v39
	v_cndmask_b32_e32 v41, v44, v41, vcc_lo
	ds_swizzle_b32 v43, v40 offset:swizzle(BROADCAST,32,15)
	v_cmp_eq_u32_e32 vcc_lo, 0, v0
	ds_swizzle_b32 v42, v39 offset:swizzle(BROADCAST,32,15)
	v_lshlrev_b32_e32 v41, 2, v41
	s_waitcnt lgkmcnt(1)
	v_and_b32_e32 v43, v45, v43
	s_waitcnt lgkmcnt(0)
	v_and_b32_e32 v42, v45, v42
	s_delay_alu instid0(VALU_DEP_2) | instskip(NEXT) | instid1(VALU_DEP_2)
	v_add_nc_u32_e32 v40, v43, v40
	v_add_nc_u32_e32 v39, v42, v39
	ds_bpermute_b32 v39, v41, v39
	s_waitcnt lgkmcnt(0)
	v_add_nc_u32_e32 v12, v12, v39
	s_delay_alu instid0(VALU_DEP_1) | instskip(SKIP_3) | instid1(VALU_DEP_1)
	v_cndmask_b32_e32 v0, v12, v3, vcc_lo
	ds_bpermute_b32 v40, v41, v40
	s_waitcnt lgkmcnt(0)
	v_add_nc_u32_e32 v13, v13, v40
	v_dual_cndmask_b32 v3, v13, v4 :: v_dual_add_nc_u32 v4, v0, v10
	s_delay_alu instid0(VALU_DEP_1) | instskip(NEXT) | instid1(VALU_DEP_2)
	v_add_nc_u32_e32 v10, v3, v11
	v_add_nc_u32_e32 v6, v4, v6
	s_delay_alu instid0(VALU_DEP_2) | instskip(NEXT) | instid1(VALU_DEP_2)
	v_add_nc_u32_e32 v7, v10, v7
	v_add_nc_u32_e32 v8, v6, v8
	s_delay_alu instid0(VALU_DEP_2) | instskip(NEXT) | instid1(VALU_DEP_2)
	v_add_nc_u32_e32 v9, v7, v9
	v_add_nc_u32_e32 v11, v8, v14
	ds_store_2addr_b32 v38, v0, v3 offset1:1
	ds_store_2addr_b32 v38, v4, v10 offset0:2 offset1:3
	ds_store_2addr_b32 v38, v6, v7 offset0:4 offset1:5
	;; [unrolled: 1-line block ×3, first 2 shown]
	v_add_nc_u32_e32 v12, v9, v15
	v_add_nc_u32_e32 v13, v11, v16
	s_delay_alu instid0(VALU_DEP_2) | instskip(NEXT) | instid1(VALU_DEP_2)
	v_add_nc_u32_e32 v14, v12, v17
	v_add_nc_u32_e32 v15, v13, v18
	s_delay_alu instid0(VALU_DEP_2) | instskip(NEXT) | instid1(VALU_DEP_2)
	;; [unrolled: 3-line block ×3, first 2 shown]
	v_add_nc_u32_e32 v18, v16, v21
	v_add_nc_u32_e32 v19, v17, v22
	ds_store_2addr_b32 v38, v11, v12 offset0:8 offset1:9
	ds_store_2addr_b32 v38, v13, v14 offset0:10 offset1:11
	;; [unrolled: 1-line block ×4, first 2 shown]
	v_add_nc_u32_e32 v20, v18, v23
	v_add_nc_u32_e32 v21, v19, v24
	s_delay_alu instid0(VALU_DEP_2) | instskip(NEXT) | instid1(VALU_DEP_2)
	v_add_nc_u32_e32 v22, v20, v25
	v_add_nc_u32_e32 v23, v21, v26
	s_delay_alu instid0(VALU_DEP_2) | instskip(NEXT) | instid1(VALU_DEP_2)
	;; [unrolled: 3-line block ×6, first 2 shown]
	v_add_nc_u32_e32 v3, v30, v35
	v_add_nc_u32_e32 v4, v0, v36
	s_delay_alu instid0(VALU_DEP_2)
	v_add_nc_u32_e32 v6, v3, v37
	ds_store_2addr_b32 v38, v19, v20 offset0:16 offset1:17
	ds_store_2addr_b32 v38, v21, v22 offset0:18 offset1:19
	;; [unrolled: 1-line block ×8, first 2 shown]
.LBB150_2:
	s_or_b32 exec_lo, exec_lo, s0
	s_waitcnt lgkmcnt(0)
	s_barrier
	buffer_gl0_inv
	ds_load_2addr_b32 v[3:4], v5 offset1:1
	s_waitcnt lgkmcnt(0)
	global_store_b64 v[1:2], v[3:4], off
	s_nop 0
	s_sendmsg sendmsg(MSG_DEALLOC_VGPRS)
	s_endpgm
	.section	.rodata,"a",@progbits
	.p2align	6, 0x0
	.amdhsa_kernel _Z21inclusive_scan_kernelILj512ELN6hipcub18BlockScanAlgorithmE1EN10test_utils16custom_test_typeIiEEEvPT1_
		.amdhsa_group_segment_fixed_size 4224
		.amdhsa_private_segment_fixed_size 0
		.amdhsa_kernarg_size 8
		.amdhsa_user_sgpr_count 15
		.amdhsa_user_sgpr_dispatch_ptr 0
		.amdhsa_user_sgpr_queue_ptr 0
		.amdhsa_user_sgpr_kernarg_segment_ptr 1
		.amdhsa_user_sgpr_dispatch_id 0
		.amdhsa_user_sgpr_private_segment_size 0
		.amdhsa_wavefront_size32 1
		.amdhsa_uses_dynamic_stack 0
		.amdhsa_enable_private_segment 0
		.amdhsa_system_sgpr_workgroup_id_x 1
		.amdhsa_system_sgpr_workgroup_id_y 0
		.amdhsa_system_sgpr_workgroup_id_z 0
		.amdhsa_system_sgpr_workgroup_info 0
		.amdhsa_system_vgpr_workitem_id 0
		.amdhsa_next_free_vgpr 46
		.amdhsa_next_free_sgpr 16
		.amdhsa_reserve_vcc 1
		.amdhsa_float_round_mode_32 0
		.amdhsa_float_round_mode_16_64 0
		.amdhsa_float_denorm_mode_32 3
		.amdhsa_float_denorm_mode_16_64 3
		.amdhsa_dx10_clamp 1
		.amdhsa_ieee_mode 1
		.amdhsa_fp16_overflow 0
		.amdhsa_workgroup_processor_mode 1
		.amdhsa_memory_ordered 1
		.amdhsa_forward_progress 0
		.amdhsa_shared_vgpr_count 0
		.amdhsa_exception_fp_ieee_invalid_op 0
		.amdhsa_exception_fp_denorm_src 0
		.amdhsa_exception_fp_ieee_div_zero 0
		.amdhsa_exception_fp_ieee_overflow 0
		.amdhsa_exception_fp_ieee_underflow 0
		.amdhsa_exception_fp_ieee_inexact 0
		.amdhsa_exception_int_div_zero 0
	.end_amdhsa_kernel
	.section	.text._Z21inclusive_scan_kernelILj512ELN6hipcub18BlockScanAlgorithmE1EN10test_utils16custom_test_typeIiEEEvPT1_,"axG",@progbits,_Z21inclusive_scan_kernelILj512ELN6hipcub18BlockScanAlgorithmE1EN10test_utils16custom_test_typeIiEEEvPT1_,comdat
.Lfunc_end150:
	.size	_Z21inclusive_scan_kernelILj512ELN6hipcub18BlockScanAlgorithmE1EN10test_utils16custom_test_typeIiEEEvPT1_, .Lfunc_end150-_Z21inclusive_scan_kernelILj512ELN6hipcub18BlockScanAlgorithmE1EN10test_utils16custom_test_typeIiEEEvPT1_
                                        ; -- End function
	.section	.AMDGPU.csdata,"",@progbits
; Kernel info:
; codeLenInByte = 1108
; NumSgprs: 18
; NumVgprs: 46
; ScratchSize: 0
; MemoryBound: 0
; FloatMode: 240
; IeeeMode: 1
; LDSByteSize: 4224 bytes/workgroup (compile time only)
; SGPRBlocks: 2
; VGPRBlocks: 5
; NumSGPRsForWavesPerEU: 18
; NumVGPRsForWavesPerEU: 46
; Occupancy: 16
; WaveLimiterHint : 0
; COMPUTE_PGM_RSRC2:SCRATCH_EN: 0
; COMPUTE_PGM_RSRC2:USER_SGPR: 15
; COMPUTE_PGM_RSRC2:TRAP_HANDLER: 0
; COMPUTE_PGM_RSRC2:TGID_X_EN: 1
; COMPUTE_PGM_RSRC2:TGID_Y_EN: 0
; COMPUTE_PGM_RSRC2:TGID_Z_EN: 0
; COMPUTE_PGM_RSRC2:TIDIG_COMP_CNT: 0
	.section	.text._Z21inclusive_scan_kernelILj256ELN6hipcub18BlockScanAlgorithmE1EN10test_utils16custom_test_typeIiEEEvPT1_,"axG",@progbits,_Z21inclusive_scan_kernelILj256ELN6hipcub18BlockScanAlgorithmE1EN10test_utils16custom_test_typeIiEEEvPT1_,comdat
	.protected	_Z21inclusive_scan_kernelILj256ELN6hipcub18BlockScanAlgorithmE1EN10test_utils16custom_test_typeIiEEEvPT1_ ; -- Begin function _Z21inclusive_scan_kernelILj256ELN6hipcub18BlockScanAlgorithmE1EN10test_utils16custom_test_typeIiEEEvPT1_
	.globl	_Z21inclusive_scan_kernelILj256ELN6hipcub18BlockScanAlgorithmE1EN10test_utils16custom_test_typeIiEEEvPT1_
	.p2align	8
	.type	_Z21inclusive_scan_kernelILj256ELN6hipcub18BlockScanAlgorithmE1EN10test_utils16custom_test_typeIiEEEvPT1_,@function
_Z21inclusive_scan_kernelILj256ELN6hipcub18BlockScanAlgorithmE1EN10test_utils16custom_test_typeIiEEEvPT1_: ; @_Z21inclusive_scan_kernelILj256ELN6hipcub18BlockScanAlgorithmE1EN10test_utils16custom_test_typeIiEEEvPT1_
; %bb.0:
	s_load_b64 s[0:1], s[0:1], 0x0
	v_mov_b32_e32 v2, 0
	v_lshl_or_b32 v1, s15, 8, v0
	v_lshrrev_b32_e32 v5, 5, v0
	s_delay_alu instid0(VALU_DEP_2) | instskip(NEXT) | instid1(VALU_DEP_2)
	v_lshlrev_b64 v[1:2], 3, v[1:2]
	v_add_lshl_u32 v5, v5, v0, 3
	s_waitcnt lgkmcnt(0)
	s_delay_alu instid0(VALU_DEP_2) | instskip(NEXT) | instid1(VALU_DEP_3)
	v_add_co_u32 v1, vcc_lo, s0, v1
	v_add_co_ci_u32_e32 v2, vcc_lo, s1, v2, vcc_lo
	s_mov_b32 s0, exec_lo
	global_load_b64 v[3:4], v[1:2], off
	s_waitcnt vmcnt(0)
	ds_store_2addr_b32 v5, v3, v4 offset1:1
	s_waitcnt lgkmcnt(0)
	s_barrier
	buffer_gl0_inv
	v_cmpx_gt_u32_e32 32, v0
	s_cbranch_execz .LBB151_2
; %bb.1:
	v_lshlrev_b32_e32 v6, 1, v0
	v_mbcnt_lo_u32_b32 v25, -1, 0
	s_delay_alu instid0(VALU_DEP_2) | instskip(NEXT) | instid1(VALU_DEP_2)
	v_and_b32_e32 v6, 0x1f8, v6
	v_and_b32_e32 v26, 15, v25
	v_bfe_i32 v29, v25, 4, 1
	s_delay_alu instid0(VALU_DEP_3) | instskip(NEXT) | instid1(VALU_DEP_3)
	v_lshl_or_b32 v22, v0, 6, v6
	v_cmp_eq_u32_e32 vcc_lo, 0, v26
	ds_load_2addr_b32 v[6:7], v22 offset1:1
	ds_load_2addr_b32 v[8:9], v22 offset0:2 offset1:3
	ds_load_2addr_b32 v[10:11], v22 offset0:4 offset1:5
	;; [unrolled: 1-line block ×7, first 2 shown]
	s_waitcnt lgkmcnt(6)
	v_add_nc_u32_e32 v24, v9, v7
	s_waitcnt lgkmcnt(4)
	s_delay_alu instid0(VALU_DEP_1) | instskip(SKIP_1) | instid1(VALU_DEP_1)
	v_add3_u32 v24, v24, v11, v13
	s_waitcnt lgkmcnt(2)
	v_add3_u32 v24, v24, v15, v17
	s_waitcnt lgkmcnt(0)
	s_delay_alu instid0(VALU_DEP_1) | instskip(NEXT) | instid1(VALU_DEP_1)
	v_add3_u32 v24, v24, v19, v21
	v_mov_b32_dpp v28, v24 row_shr:1 row_mask:0xf bank_mask:0xf
	s_delay_alu instid0(VALU_DEP_1) | instskip(NEXT) | instid1(VALU_DEP_1)
	v_cndmask_b32_e64 v28, v28, 0, vcc_lo
	v_add_nc_u32_e32 v24, v28, v24
	s_delay_alu instid0(VALU_DEP_1) | instskip(SKIP_1) | instid1(VALU_DEP_1)
	v_mov_b32_dpp v28, v24 row_shr:2 row_mask:0xf bank_mask:0xf
	v_add_nc_u32_e32 v23, v8, v6
	v_add3_u32 v23, v23, v10, v12
	s_delay_alu instid0(VALU_DEP_1) | instskip(NEXT) | instid1(VALU_DEP_1)
	v_add3_u32 v23, v23, v14, v16
	v_add3_u32 v23, v23, v18, v20
	s_delay_alu instid0(VALU_DEP_1) | instskip(NEXT) | instid1(VALU_DEP_1)
	v_mov_b32_dpp v27, v23 row_shr:1 row_mask:0xf bank_mask:0xf
	v_cndmask_b32_e64 v27, v27, 0, vcc_lo
	v_cmp_lt_u32_e32 vcc_lo, 1, v26
	v_cndmask_b32_e32 v28, 0, v28, vcc_lo
	s_delay_alu instid0(VALU_DEP_1) | instskip(NEXT) | instid1(VALU_DEP_1)
	v_add_nc_u32_e32 v24, v28, v24
	v_mov_b32_dpp v28, v24 row_shr:4 row_mask:0xf bank_mask:0xf
	v_add_nc_u32_e32 v23, v27, v23
	s_delay_alu instid0(VALU_DEP_1) | instskip(NEXT) | instid1(VALU_DEP_1)
	v_mov_b32_dpp v27, v23 row_shr:2 row_mask:0xf bank_mask:0xf
	v_cndmask_b32_e32 v27, 0, v27, vcc_lo
	v_cmp_lt_u32_e32 vcc_lo, 3, v26
	v_cndmask_b32_e32 v28, 0, v28, vcc_lo
	s_delay_alu instid0(VALU_DEP_1) | instskip(NEXT) | instid1(VALU_DEP_1)
	v_add_nc_u32_e32 v24, v28, v24
	v_mov_b32_dpp v28, v24 row_shr:8 row_mask:0xf bank_mask:0xf
	v_add_nc_u32_e32 v23, v23, v27
	s_delay_alu instid0(VALU_DEP_1) | instskip(NEXT) | instid1(VALU_DEP_1)
	v_mov_b32_dpp v27, v23 row_shr:4 row_mask:0xf bank_mask:0xf
	v_cndmask_b32_e32 v27, 0, v27, vcc_lo
	v_cmp_lt_u32_e32 vcc_lo, 7, v26
	s_delay_alu instid0(VALU_DEP_2) | instskip(SKIP_1) | instid1(VALU_DEP_2)
	v_dual_cndmask_b32 v26, 0, v28 :: v_dual_add_nc_u32 v23, v27, v23
	v_add_nc_u32_e32 v28, -1, v25
	v_add_nc_u32_e32 v24, v26, v24
	s_delay_alu instid0(VALU_DEP_3) | instskip(NEXT) | instid1(VALU_DEP_1)
	v_mov_b32_dpp v27, v23 row_shr:8 row_mask:0xf bank_mask:0xf
	v_cndmask_b32_e32 v27, 0, v27, vcc_lo
	s_delay_alu instid0(VALU_DEP_4) | instskip(NEXT) | instid1(VALU_DEP_2)
	v_cmp_gt_i32_e32 vcc_lo, 0, v28
	v_add_nc_u32_e32 v23, v27, v23
	v_cndmask_b32_e32 v25, v28, v25, vcc_lo
	ds_swizzle_b32 v27, v24 offset:swizzle(BROADCAST,32,15)
	v_cmp_eq_u32_e32 vcc_lo, 0, v0
	ds_swizzle_b32 v26, v23 offset:swizzle(BROADCAST,32,15)
	v_lshlrev_b32_e32 v25, 2, v25
	s_waitcnt lgkmcnt(1)
	v_and_b32_e32 v27, v29, v27
	s_waitcnt lgkmcnt(0)
	v_and_b32_e32 v26, v29, v26
	s_delay_alu instid0(VALU_DEP_2) | instskip(NEXT) | instid1(VALU_DEP_2)
	v_add_nc_u32_e32 v24, v27, v24
	v_add_nc_u32_e32 v23, v26, v23
	ds_bpermute_b32 v23, v25, v23
	s_waitcnt lgkmcnt(0)
	v_add_nc_u32_e32 v6, v6, v23
	s_delay_alu instid0(VALU_DEP_1) | instskip(SKIP_3) | instid1(VALU_DEP_1)
	v_cndmask_b32_e32 v0, v6, v3, vcc_lo
	ds_bpermute_b32 v24, v25, v24
	s_waitcnt lgkmcnt(0)
	v_add_nc_u32_e32 v7, v7, v24
	v_cndmask_b32_e32 v3, v7, v4, vcc_lo
	v_add_nc_u32_e32 v4, v0, v8
	s_delay_alu instid0(VALU_DEP_2) | instskip(NEXT) | instid1(VALU_DEP_2)
	v_add_nc_u32_e32 v6, v3, v9
	v_add_nc_u32_e32 v7, v4, v10
	s_delay_alu instid0(VALU_DEP_2) | instskip(NEXT) | instid1(VALU_DEP_2)
	v_add_nc_u32_e32 v8, v6, v11
	;; [unrolled: 3-line block ×6, first 2 shown]
	v_add_nc_u32_e32 v17, v15, v20
	s_delay_alu instid0(VALU_DEP_2)
	v_add_nc_u32_e32 v18, v16, v21
	ds_store_2addr_b32 v22, v0, v3 offset1:1
	ds_store_2addr_b32 v22, v4, v6 offset0:2 offset1:3
	ds_store_2addr_b32 v22, v7, v8 offset0:4 offset1:5
	;; [unrolled: 1-line block ×7, first 2 shown]
.LBB151_2:
	s_or_b32 exec_lo, exec_lo, s0
	s_waitcnt lgkmcnt(0)
	s_barrier
	buffer_gl0_inv
	ds_load_2addr_b32 v[3:4], v5 offset1:1
	s_waitcnt lgkmcnt(0)
	global_store_b64 v[1:2], v[3:4], off
	s_nop 0
	s_sendmsg sendmsg(MSG_DEALLOC_VGPRS)
	s_endpgm
	.section	.rodata,"a",@progbits
	.p2align	6, 0x0
	.amdhsa_kernel _Z21inclusive_scan_kernelILj256ELN6hipcub18BlockScanAlgorithmE1EN10test_utils16custom_test_typeIiEEEvPT1_
		.amdhsa_group_segment_fixed_size 2112
		.amdhsa_private_segment_fixed_size 0
		.amdhsa_kernarg_size 8
		.amdhsa_user_sgpr_count 15
		.amdhsa_user_sgpr_dispatch_ptr 0
		.amdhsa_user_sgpr_queue_ptr 0
		.amdhsa_user_sgpr_kernarg_segment_ptr 1
		.amdhsa_user_sgpr_dispatch_id 0
		.amdhsa_user_sgpr_private_segment_size 0
		.amdhsa_wavefront_size32 1
		.amdhsa_uses_dynamic_stack 0
		.amdhsa_enable_private_segment 0
		.amdhsa_system_sgpr_workgroup_id_x 1
		.amdhsa_system_sgpr_workgroup_id_y 0
		.amdhsa_system_sgpr_workgroup_id_z 0
		.amdhsa_system_sgpr_workgroup_info 0
		.amdhsa_system_vgpr_workitem_id 0
		.amdhsa_next_free_vgpr 30
		.amdhsa_next_free_sgpr 16
		.amdhsa_reserve_vcc 1
		.amdhsa_float_round_mode_32 0
		.amdhsa_float_round_mode_16_64 0
		.amdhsa_float_denorm_mode_32 3
		.amdhsa_float_denorm_mode_16_64 3
		.amdhsa_dx10_clamp 1
		.amdhsa_ieee_mode 1
		.amdhsa_fp16_overflow 0
		.amdhsa_workgroup_processor_mode 1
		.amdhsa_memory_ordered 1
		.amdhsa_forward_progress 0
		.amdhsa_shared_vgpr_count 0
		.amdhsa_exception_fp_ieee_invalid_op 0
		.amdhsa_exception_fp_denorm_src 0
		.amdhsa_exception_fp_ieee_div_zero 0
		.amdhsa_exception_fp_ieee_overflow 0
		.amdhsa_exception_fp_ieee_underflow 0
		.amdhsa_exception_fp_ieee_inexact 0
		.amdhsa_exception_int_div_zero 0
	.end_amdhsa_kernel
	.section	.text._Z21inclusive_scan_kernelILj256ELN6hipcub18BlockScanAlgorithmE1EN10test_utils16custom_test_typeIiEEEvPT1_,"axG",@progbits,_Z21inclusive_scan_kernelILj256ELN6hipcub18BlockScanAlgorithmE1EN10test_utils16custom_test_typeIiEEEvPT1_,comdat
.Lfunc_end151:
	.size	_Z21inclusive_scan_kernelILj256ELN6hipcub18BlockScanAlgorithmE1EN10test_utils16custom_test_typeIiEEEvPT1_, .Lfunc_end151-_Z21inclusive_scan_kernelILj256ELN6hipcub18BlockScanAlgorithmE1EN10test_utils16custom_test_typeIiEEEvPT1_
                                        ; -- End function
	.section	.AMDGPU.csdata,"",@progbits
; Kernel info:
; codeLenInByte = 808
; NumSgprs: 18
; NumVgprs: 30
; ScratchSize: 0
; MemoryBound: 0
; FloatMode: 240
; IeeeMode: 1
; LDSByteSize: 2112 bytes/workgroup (compile time only)
; SGPRBlocks: 2
; VGPRBlocks: 3
; NumSGPRsForWavesPerEU: 18
; NumVGPRsForWavesPerEU: 30
; Occupancy: 16
; WaveLimiterHint : 0
; COMPUTE_PGM_RSRC2:SCRATCH_EN: 0
; COMPUTE_PGM_RSRC2:USER_SGPR: 15
; COMPUTE_PGM_RSRC2:TRAP_HANDLER: 0
; COMPUTE_PGM_RSRC2:TGID_X_EN: 1
; COMPUTE_PGM_RSRC2:TGID_Y_EN: 0
; COMPUTE_PGM_RSRC2:TGID_Z_EN: 0
; COMPUTE_PGM_RSRC2:TIDIG_COMP_CNT: 0
	.section	.text._Z21inclusive_scan_kernelILj128ELN6hipcub18BlockScanAlgorithmE1EN10test_utils16custom_test_typeIiEEEvPT1_,"axG",@progbits,_Z21inclusive_scan_kernelILj128ELN6hipcub18BlockScanAlgorithmE1EN10test_utils16custom_test_typeIiEEEvPT1_,comdat
	.protected	_Z21inclusive_scan_kernelILj128ELN6hipcub18BlockScanAlgorithmE1EN10test_utils16custom_test_typeIiEEEvPT1_ ; -- Begin function _Z21inclusive_scan_kernelILj128ELN6hipcub18BlockScanAlgorithmE1EN10test_utils16custom_test_typeIiEEEvPT1_
	.globl	_Z21inclusive_scan_kernelILj128ELN6hipcub18BlockScanAlgorithmE1EN10test_utils16custom_test_typeIiEEEvPT1_
	.p2align	8
	.type	_Z21inclusive_scan_kernelILj128ELN6hipcub18BlockScanAlgorithmE1EN10test_utils16custom_test_typeIiEEEvPT1_,@function
_Z21inclusive_scan_kernelILj128ELN6hipcub18BlockScanAlgorithmE1EN10test_utils16custom_test_typeIiEEEvPT1_: ; @_Z21inclusive_scan_kernelILj128ELN6hipcub18BlockScanAlgorithmE1EN10test_utils16custom_test_typeIiEEEvPT1_
; %bb.0:
	s_load_b64 s[0:1], s[0:1], 0x0
	v_mov_b32_e32 v2, 0
	v_lshl_or_b32 v1, s15, 7, v0
	v_lshrrev_b32_e32 v5, 5, v0
	s_delay_alu instid0(VALU_DEP_2) | instskip(NEXT) | instid1(VALU_DEP_2)
	v_lshlrev_b64 v[1:2], 3, v[1:2]
	v_add_lshl_u32 v5, v5, v0, 3
	s_waitcnt lgkmcnt(0)
	s_delay_alu instid0(VALU_DEP_2) | instskip(NEXT) | instid1(VALU_DEP_3)
	v_add_co_u32 v1, vcc_lo, s0, v1
	v_add_co_ci_u32_e32 v2, vcc_lo, s1, v2, vcc_lo
	s_mov_b32 s0, exec_lo
	global_load_b64 v[3:4], v[1:2], off
	s_waitcnt vmcnt(0)
	ds_store_2addr_b32 v5, v3, v4 offset1:1
	s_waitcnt lgkmcnt(0)
	s_barrier
	buffer_gl0_inv
	v_cmpx_gt_u32_e32 32, v0
	s_cbranch_execz .LBB152_2
; %bb.1:
	v_and_b32_e32 v6, 0x78, v0
	v_mbcnt_lo_u32_b32 v17, -1, 0
	s_delay_alu instid0(VALU_DEP_2) | instskip(NEXT) | instid1(VALU_DEP_2)
	v_lshl_or_b32 v14, v0, 5, v6
	v_and_b32_e32 v18, 15, v17
	v_bfe_i32 v21, v17, 4, 1
	ds_load_2addr_b32 v[6:7], v14 offset1:1
	ds_load_2addr_b32 v[8:9], v14 offset0:2 offset1:3
	ds_load_2addr_b32 v[10:11], v14 offset0:4 offset1:5
	;; [unrolled: 1-line block ×3, first 2 shown]
	v_cmp_eq_u32_e32 vcc_lo, 0, v18
	s_waitcnt lgkmcnt(2)
	v_add_nc_u32_e32 v16, v9, v7
	s_waitcnt lgkmcnt(0)
	s_delay_alu instid0(VALU_DEP_1) | instskip(NEXT) | instid1(VALU_DEP_1)
	v_add3_u32 v16, v16, v11, v13
	v_mov_b32_dpp v20, v16 row_shr:1 row_mask:0xf bank_mask:0xf
	s_delay_alu instid0(VALU_DEP_1) | instskip(NEXT) | instid1(VALU_DEP_1)
	v_cndmask_b32_e64 v20, v20, 0, vcc_lo
	v_add_nc_u32_e32 v16, v20, v16
	s_delay_alu instid0(VALU_DEP_1) | instskip(SKIP_1) | instid1(VALU_DEP_1)
	v_mov_b32_dpp v20, v16 row_shr:2 row_mask:0xf bank_mask:0xf
	v_add_nc_u32_e32 v15, v8, v6
	v_add3_u32 v15, v15, v10, v12
	s_delay_alu instid0(VALU_DEP_1) | instskip(NEXT) | instid1(VALU_DEP_1)
	v_mov_b32_dpp v19, v15 row_shr:1 row_mask:0xf bank_mask:0xf
	v_cndmask_b32_e64 v19, v19, 0, vcc_lo
	v_cmp_lt_u32_e32 vcc_lo, 1, v18
	v_cndmask_b32_e32 v20, 0, v20, vcc_lo
	s_delay_alu instid0(VALU_DEP_1) | instskip(NEXT) | instid1(VALU_DEP_1)
	v_add_nc_u32_e32 v16, v20, v16
	v_mov_b32_dpp v20, v16 row_shr:4 row_mask:0xf bank_mask:0xf
	v_add_nc_u32_e32 v15, v19, v15
	s_delay_alu instid0(VALU_DEP_1) | instskip(NEXT) | instid1(VALU_DEP_1)
	v_mov_b32_dpp v19, v15 row_shr:2 row_mask:0xf bank_mask:0xf
	v_cndmask_b32_e32 v19, 0, v19, vcc_lo
	v_cmp_lt_u32_e32 vcc_lo, 3, v18
	v_cndmask_b32_e32 v20, 0, v20, vcc_lo
	s_delay_alu instid0(VALU_DEP_1) | instskip(NEXT) | instid1(VALU_DEP_1)
	v_add_nc_u32_e32 v16, v20, v16
	v_mov_b32_dpp v20, v16 row_shr:8 row_mask:0xf bank_mask:0xf
	v_add_nc_u32_e32 v15, v15, v19
	s_delay_alu instid0(VALU_DEP_1) | instskip(NEXT) | instid1(VALU_DEP_1)
	v_mov_b32_dpp v19, v15 row_shr:4 row_mask:0xf bank_mask:0xf
	v_cndmask_b32_e32 v19, 0, v19, vcc_lo
	v_cmp_lt_u32_e32 vcc_lo, 7, v18
	s_delay_alu instid0(VALU_DEP_2) | instskip(SKIP_1) | instid1(VALU_DEP_2)
	v_dual_cndmask_b32 v18, 0, v20 :: v_dual_add_nc_u32 v15, v19, v15
	v_add_nc_u32_e32 v20, -1, v17
	v_add_nc_u32_e32 v16, v18, v16
	s_delay_alu instid0(VALU_DEP_3) | instskip(NEXT) | instid1(VALU_DEP_1)
	v_mov_b32_dpp v19, v15 row_shr:8 row_mask:0xf bank_mask:0xf
	v_cndmask_b32_e32 v19, 0, v19, vcc_lo
	s_delay_alu instid0(VALU_DEP_4) | instskip(NEXT) | instid1(VALU_DEP_2)
	v_cmp_gt_i32_e32 vcc_lo, 0, v20
	v_add_nc_u32_e32 v15, v19, v15
	v_cndmask_b32_e32 v17, v20, v17, vcc_lo
	ds_swizzle_b32 v19, v16 offset:swizzle(BROADCAST,32,15)
	v_cmp_eq_u32_e32 vcc_lo, 0, v0
	ds_swizzle_b32 v18, v15 offset:swizzle(BROADCAST,32,15)
	v_lshlrev_b32_e32 v17, 2, v17
	s_waitcnt lgkmcnt(1)
	v_and_b32_e32 v19, v21, v19
	s_waitcnt lgkmcnt(0)
	v_and_b32_e32 v18, v21, v18
	s_delay_alu instid0(VALU_DEP_2) | instskip(NEXT) | instid1(VALU_DEP_2)
	v_add_nc_u32_e32 v16, v19, v16
	v_add_nc_u32_e32 v15, v18, v15
	ds_bpermute_b32 v15, v17, v15
	s_waitcnt lgkmcnt(0)
	v_add_nc_u32_e32 v6, v15, v6
	s_delay_alu instid0(VALU_DEP_1) | instskip(SKIP_3) | instid1(VALU_DEP_1)
	v_cndmask_b32_e32 v0, v6, v3, vcc_lo
	ds_bpermute_b32 v16, v17, v16
	s_waitcnt lgkmcnt(0)
	v_add_nc_u32_e32 v7, v16, v7
	v_cndmask_b32_e32 v3, v7, v4, vcc_lo
	v_add_nc_u32_e32 v4, v0, v8
	s_delay_alu instid0(VALU_DEP_2) | instskip(NEXT) | instid1(VALU_DEP_2)
	v_add_nc_u32_e32 v6, v3, v9
	v_add_nc_u32_e32 v7, v4, v10
	s_delay_alu instid0(VALU_DEP_2) | instskip(NEXT) | instid1(VALU_DEP_2)
	v_add_nc_u32_e32 v8, v6, v11
	v_add_nc_u32_e32 v9, v7, v12
	s_delay_alu instid0(VALU_DEP_2)
	v_add_nc_u32_e32 v10, v8, v13
	ds_store_2addr_b32 v14, v0, v3 offset1:1
	ds_store_2addr_b32 v14, v4, v6 offset0:2 offset1:3
	ds_store_2addr_b32 v14, v7, v8 offset0:4 offset1:5
	;; [unrolled: 1-line block ×3, first 2 shown]
.LBB152_2:
	s_or_b32 exec_lo, exec_lo, s0
	s_waitcnt lgkmcnt(0)
	s_barrier
	buffer_gl0_inv
	ds_load_2addr_b32 v[3:4], v5 offset1:1
	s_waitcnt lgkmcnt(0)
	global_store_b64 v[1:2], v[3:4], off
	s_nop 0
	s_sendmsg sendmsg(MSG_DEALLOC_VGPRS)
	s_endpgm
	.section	.rodata,"a",@progbits
	.p2align	6, 0x0
	.amdhsa_kernel _Z21inclusive_scan_kernelILj128ELN6hipcub18BlockScanAlgorithmE1EN10test_utils16custom_test_typeIiEEEvPT1_
		.amdhsa_group_segment_fixed_size 1056
		.amdhsa_private_segment_fixed_size 0
		.amdhsa_kernarg_size 8
		.amdhsa_user_sgpr_count 15
		.amdhsa_user_sgpr_dispatch_ptr 0
		.amdhsa_user_sgpr_queue_ptr 0
		.amdhsa_user_sgpr_kernarg_segment_ptr 1
		.amdhsa_user_sgpr_dispatch_id 0
		.amdhsa_user_sgpr_private_segment_size 0
		.amdhsa_wavefront_size32 1
		.amdhsa_uses_dynamic_stack 0
		.amdhsa_enable_private_segment 0
		.amdhsa_system_sgpr_workgroup_id_x 1
		.amdhsa_system_sgpr_workgroup_id_y 0
		.amdhsa_system_sgpr_workgroup_id_z 0
		.amdhsa_system_sgpr_workgroup_info 0
		.amdhsa_system_vgpr_workitem_id 0
		.amdhsa_next_free_vgpr 22
		.amdhsa_next_free_sgpr 16
		.amdhsa_reserve_vcc 1
		.amdhsa_float_round_mode_32 0
		.amdhsa_float_round_mode_16_64 0
		.amdhsa_float_denorm_mode_32 3
		.amdhsa_float_denorm_mode_16_64 3
		.amdhsa_dx10_clamp 1
		.amdhsa_ieee_mode 1
		.amdhsa_fp16_overflow 0
		.amdhsa_workgroup_processor_mode 1
		.amdhsa_memory_ordered 1
		.amdhsa_forward_progress 0
		.amdhsa_shared_vgpr_count 0
		.amdhsa_exception_fp_ieee_invalid_op 0
		.amdhsa_exception_fp_denorm_src 0
		.amdhsa_exception_fp_ieee_div_zero 0
		.amdhsa_exception_fp_ieee_overflow 0
		.amdhsa_exception_fp_ieee_underflow 0
		.amdhsa_exception_fp_ieee_inexact 0
		.amdhsa_exception_int_div_zero 0
	.end_amdhsa_kernel
	.section	.text._Z21inclusive_scan_kernelILj128ELN6hipcub18BlockScanAlgorithmE1EN10test_utils16custom_test_typeIiEEEvPT1_,"axG",@progbits,_Z21inclusive_scan_kernelILj128ELN6hipcub18BlockScanAlgorithmE1EN10test_utils16custom_test_typeIiEEEvPT1_,comdat
.Lfunc_end152:
	.size	_Z21inclusive_scan_kernelILj128ELN6hipcub18BlockScanAlgorithmE1EN10test_utils16custom_test_typeIiEEEvPT1_, .Lfunc_end152-_Z21inclusive_scan_kernelILj128ELN6hipcub18BlockScanAlgorithmE1EN10test_utils16custom_test_typeIiEEEvPT1_
                                        ; -- End function
	.section	.AMDGPU.csdata,"",@progbits
; Kernel info:
; codeLenInByte = 640
; NumSgprs: 18
; NumVgprs: 22
; ScratchSize: 0
; MemoryBound: 0
; FloatMode: 240
; IeeeMode: 1
; LDSByteSize: 1056 bytes/workgroup (compile time only)
; SGPRBlocks: 2
; VGPRBlocks: 2
; NumSGPRsForWavesPerEU: 18
; NumVGPRsForWavesPerEU: 22
; Occupancy: 16
; WaveLimiterHint : 0
; COMPUTE_PGM_RSRC2:SCRATCH_EN: 0
; COMPUTE_PGM_RSRC2:USER_SGPR: 15
; COMPUTE_PGM_RSRC2:TRAP_HANDLER: 0
; COMPUTE_PGM_RSRC2:TGID_X_EN: 1
; COMPUTE_PGM_RSRC2:TGID_Y_EN: 0
; COMPUTE_PGM_RSRC2:TGID_Z_EN: 0
; COMPUTE_PGM_RSRC2:TIDIG_COMP_CNT: 0
	.section	.text._Z21inclusive_scan_kernelILj64ELN6hipcub18BlockScanAlgorithmE1EN10test_utils16custom_test_typeIiEEEvPT1_,"axG",@progbits,_Z21inclusive_scan_kernelILj64ELN6hipcub18BlockScanAlgorithmE1EN10test_utils16custom_test_typeIiEEEvPT1_,comdat
	.protected	_Z21inclusive_scan_kernelILj64ELN6hipcub18BlockScanAlgorithmE1EN10test_utils16custom_test_typeIiEEEvPT1_ ; -- Begin function _Z21inclusive_scan_kernelILj64ELN6hipcub18BlockScanAlgorithmE1EN10test_utils16custom_test_typeIiEEEvPT1_
	.globl	_Z21inclusive_scan_kernelILj64ELN6hipcub18BlockScanAlgorithmE1EN10test_utils16custom_test_typeIiEEEvPT1_
	.p2align	8
	.type	_Z21inclusive_scan_kernelILj64ELN6hipcub18BlockScanAlgorithmE1EN10test_utils16custom_test_typeIiEEEvPT1_,@function
_Z21inclusive_scan_kernelILj64ELN6hipcub18BlockScanAlgorithmE1EN10test_utils16custom_test_typeIiEEEvPT1_: ; @_Z21inclusive_scan_kernelILj64ELN6hipcub18BlockScanAlgorithmE1EN10test_utils16custom_test_typeIiEEEvPT1_
; %bb.0:
	s_load_b64 s[0:1], s[0:1], 0x0
	v_mov_b32_e32 v2, 0
	v_lshl_or_b32 v1, s15, 6, v0
	v_lshrrev_b32_e32 v5, 5, v0
	s_delay_alu instid0(VALU_DEP_2) | instskip(NEXT) | instid1(VALU_DEP_2)
	v_lshlrev_b64 v[1:2], 3, v[1:2]
	v_add_lshl_u32 v5, v5, v0, 3
	s_waitcnt lgkmcnt(0)
	s_delay_alu instid0(VALU_DEP_2) | instskip(NEXT) | instid1(VALU_DEP_3)
	v_add_co_u32 v1, vcc_lo, s0, v1
	v_add_co_ci_u32_e32 v2, vcc_lo, s1, v2, vcc_lo
	s_mov_b32 s0, exec_lo
	global_load_b64 v[3:4], v[1:2], off
	s_waitcnt vmcnt(0)
	ds_store_2addr_b32 v5, v3, v4 offset1:1
	s_waitcnt lgkmcnt(0)
	s_barrier
	buffer_gl0_inv
	v_cmpx_gt_u32_e32 32, v0
	s_cbranch_execz .LBB153_2
; %bb.1:
	v_lshrrev_b32_e32 v6, 1, v0
	v_mbcnt_lo_u32_b32 v11, -1, 0
	s_delay_alu instid0(VALU_DEP_2) | instskip(NEXT) | instid1(VALU_DEP_2)
	v_and_b32_e32 v6, 24, v6
	v_and_b32_e32 v14, 15, v11
	v_bfe_i32 v17, v11, 4, 1
	s_delay_alu instid0(VALU_DEP_3) | instskip(NEXT) | instid1(VALU_DEP_3)
	v_lshl_or_b32 v10, v0, 4, v6
	v_cmp_eq_u32_e32 vcc_lo, 0, v14
	ds_load_2addr_b32 v[6:7], v10 offset1:1
	ds_load_2addr_b32 v[8:9], v10 offset0:2 offset1:3
	s_waitcnt lgkmcnt(0)
	v_add_nc_u32_e32 v13, v9, v7
	v_add_nc_u32_e32 v12, v8, v6
	s_delay_alu instid0(VALU_DEP_2) | instskip(NEXT) | instid1(VALU_DEP_2)
	v_mov_b32_dpp v16, v13 row_shr:1 row_mask:0xf bank_mask:0xf
	v_mov_b32_dpp v15, v12 row_shr:1 row_mask:0xf bank_mask:0xf
	s_delay_alu instid0(VALU_DEP_2) | instskip(NEXT) | instid1(VALU_DEP_2)
	v_cndmask_b32_e64 v16, v16, 0, vcc_lo
	v_cndmask_b32_e64 v15, v15, 0, vcc_lo
	v_cmp_lt_u32_e32 vcc_lo, 1, v14
	s_delay_alu instid0(VALU_DEP_3) | instskip(NEXT) | instid1(VALU_DEP_3)
	v_add_nc_u32_e32 v13, v16, v13
	v_add_nc_u32_e32 v12, v15, v12
	s_delay_alu instid0(VALU_DEP_2) | instskip(NEXT) | instid1(VALU_DEP_2)
	v_mov_b32_dpp v16, v13 row_shr:2 row_mask:0xf bank_mask:0xf
	v_mov_b32_dpp v15, v12 row_shr:2 row_mask:0xf bank_mask:0xf
	s_delay_alu instid0(VALU_DEP_1) | instskip(SKIP_1) | instid1(VALU_DEP_2)
	v_dual_cndmask_b32 v16, 0, v16 :: v_dual_cndmask_b32 v15, 0, v15
	v_cmp_lt_u32_e32 vcc_lo, 3, v14
	v_add_nc_u32_e32 v13, v16, v13
	s_delay_alu instid0(VALU_DEP_3) | instskip(NEXT) | instid1(VALU_DEP_2)
	v_add_nc_u32_e32 v12, v12, v15
	v_mov_b32_dpp v16, v13 row_shr:4 row_mask:0xf bank_mask:0xf
	s_delay_alu instid0(VALU_DEP_2) | instskip(NEXT) | instid1(VALU_DEP_1)
	v_mov_b32_dpp v15, v12 row_shr:4 row_mask:0xf bank_mask:0xf
	v_dual_cndmask_b32 v16, 0, v16 :: v_dual_cndmask_b32 v15, 0, v15
	v_cmp_lt_u32_e32 vcc_lo, 7, v14
	s_delay_alu instid0(VALU_DEP_2) | instskip(NEXT) | instid1(VALU_DEP_1)
	v_add_nc_u32_e32 v13, v16, v13
	v_mov_b32_dpp v16, v13 row_shr:8 row_mask:0xf bank_mask:0xf
	s_delay_alu instid0(VALU_DEP_1) | instskip(SKIP_2) | instid1(VALU_DEP_3)
	v_cndmask_b32_e32 v14, 0, v16, vcc_lo
	v_add_nc_u32_e32 v16, -1, v11
	v_add_nc_u32_e32 v12, v15, v12
	v_add_nc_u32_e32 v13, v14, v13
	s_delay_alu instid0(VALU_DEP_2) | instskip(NEXT) | instid1(VALU_DEP_1)
	v_mov_b32_dpp v15, v12 row_shr:8 row_mask:0xf bank_mask:0xf
	v_cndmask_b32_e32 v15, 0, v15, vcc_lo
	v_cmp_gt_i32_e32 vcc_lo, 0, v16
	s_delay_alu instid0(VALU_DEP_2)
	v_dual_cndmask_b32 v11, v16, v11 :: v_dual_add_nc_u32 v12, v15, v12
	ds_swizzle_b32 v15, v13 offset:swizzle(BROADCAST,32,15)
	v_cmp_eq_u32_e32 vcc_lo, 0, v0
	v_lshlrev_b32_e32 v11, 2, v11
	ds_swizzle_b32 v14, v12 offset:swizzle(BROADCAST,32,15)
	s_waitcnt lgkmcnt(1)
	v_and_b32_e32 v15, v17, v15
	s_waitcnt lgkmcnt(0)
	v_and_b32_e32 v14, v17, v14
	s_delay_alu instid0(VALU_DEP_2) | instskip(NEXT) | instid1(VALU_DEP_2)
	v_add_nc_u32_e32 v13, v15, v13
	v_add_nc_u32_e32 v12, v14, v12
	ds_bpermute_b32 v12, v11, v12
	ds_bpermute_b32 v11, v11, v13
	s_waitcnt lgkmcnt(1)
	v_add_nc_u32_e32 v6, v12, v6
	s_waitcnt lgkmcnt(0)
	v_add_nc_u32_e32 v7, v11, v7
	s_delay_alu instid0(VALU_DEP_1) | instskip(NEXT) | instid1(VALU_DEP_1)
	v_dual_cndmask_b32 v0, v6, v3 :: v_dual_cndmask_b32 v3, v7, v4
	v_add_nc_u32_e32 v4, v0, v8
	s_delay_alu instid0(VALU_DEP_2)
	v_add_nc_u32_e32 v6, v3, v9
	ds_store_2addr_b32 v10, v0, v3 offset1:1
	ds_store_2addr_b32 v10, v4, v6 offset0:2 offset1:3
.LBB153_2:
	s_or_b32 exec_lo, exec_lo, s0
	s_waitcnt lgkmcnt(0)
	s_barrier
	buffer_gl0_inv
	ds_load_2addr_b32 v[3:4], v5 offset1:1
	s_waitcnt lgkmcnt(0)
	global_store_b64 v[1:2], v[3:4], off
	s_nop 0
	s_sendmsg sendmsg(MSG_DEALLOC_VGPRS)
	s_endpgm
	.section	.rodata,"a",@progbits
	.p2align	6, 0x0
	.amdhsa_kernel _Z21inclusive_scan_kernelILj64ELN6hipcub18BlockScanAlgorithmE1EN10test_utils16custom_test_typeIiEEEvPT1_
		.amdhsa_group_segment_fixed_size 528
		.amdhsa_private_segment_fixed_size 0
		.amdhsa_kernarg_size 8
		.amdhsa_user_sgpr_count 15
		.amdhsa_user_sgpr_dispatch_ptr 0
		.amdhsa_user_sgpr_queue_ptr 0
		.amdhsa_user_sgpr_kernarg_segment_ptr 1
		.amdhsa_user_sgpr_dispatch_id 0
		.amdhsa_user_sgpr_private_segment_size 0
		.amdhsa_wavefront_size32 1
		.amdhsa_uses_dynamic_stack 0
		.amdhsa_enable_private_segment 0
		.amdhsa_system_sgpr_workgroup_id_x 1
		.amdhsa_system_sgpr_workgroup_id_y 0
		.amdhsa_system_sgpr_workgroup_id_z 0
		.amdhsa_system_sgpr_workgroup_info 0
		.amdhsa_system_vgpr_workitem_id 0
		.amdhsa_next_free_vgpr 18
		.amdhsa_next_free_sgpr 16
		.amdhsa_reserve_vcc 1
		.amdhsa_float_round_mode_32 0
		.amdhsa_float_round_mode_16_64 0
		.amdhsa_float_denorm_mode_32 3
		.amdhsa_float_denorm_mode_16_64 3
		.amdhsa_dx10_clamp 1
		.amdhsa_ieee_mode 1
		.amdhsa_fp16_overflow 0
		.amdhsa_workgroup_processor_mode 1
		.amdhsa_memory_ordered 1
		.amdhsa_forward_progress 0
		.amdhsa_shared_vgpr_count 0
		.amdhsa_exception_fp_ieee_invalid_op 0
		.amdhsa_exception_fp_denorm_src 0
		.amdhsa_exception_fp_ieee_div_zero 0
		.amdhsa_exception_fp_ieee_overflow 0
		.amdhsa_exception_fp_ieee_underflow 0
		.amdhsa_exception_fp_ieee_inexact 0
		.amdhsa_exception_int_div_zero 0
	.end_amdhsa_kernel
	.section	.text._Z21inclusive_scan_kernelILj64ELN6hipcub18BlockScanAlgorithmE1EN10test_utils16custom_test_typeIiEEEvPT1_,"axG",@progbits,_Z21inclusive_scan_kernelILj64ELN6hipcub18BlockScanAlgorithmE1EN10test_utils16custom_test_typeIiEEEvPT1_,comdat
.Lfunc_end153:
	.size	_Z21inclusive_scan_kernelILj64ELN6hipcub18BlockScanAlgorithmE1EN10test_utils16custom_test_typeIiEEEvPT1_, .Lfunc_end153-_Z21inclusive_scan_kernelILj64ELN6hipcub18BlockScanAlgorithmE1EN10test_utils16custom_test_typeIiEEEvPT1_
                                        ; -- End function
	.section	.AMDGPU.csdata,"",@progbits
; Kernel info:
; codeLenInByte = 568
; NumSgprs: 18
; NumVgprs: 18
; ScratchSize: 0
; MemoryBound: 0
; FloatMode: 240
; IeeeMode: 1
; LDSByteSize: 528 bytes/workgroup (compile time only)
; SGPRBlocks: 2
; VGPRBlocks: 2
; NumSGPRsForWavesPerEU: 18
; NumVGPRsForWavesPerEU: 18
; Occupancy: 16
; WaveLimiterHint : 0
; COMPUTE_PGM_RSRC2:SCRATCH_EN: 0
; COMPUTE_PGM_RSRC2:USER_SGPR: 15
; COMPUTE_PGM_RSRC2:TRAP_HANDLER: 0
; COMPUTE_PGM_RSRC2:TGID_X_EN: 1
; COMPUTE_PGM_RSRC2:TGID_Y_EN: 0
; COMPUTE_PGM_RSRC2:TGID_Z_EN: 0
; COMPUTE_PGM_RSRC2:TIDIG_COMP_CNT: 0
	.section	.text._Z21inclusive_scan_kernelILj377ELN6hipcub18BlockScanAlgorithmE0EN10test_utils16custom_test_typeIlEEEvPT1_,"axG",@progbits,_Z21inclusive_scan_kernelILj377ELN6hipcub18BlockScanAlgorithmE0EN10test_utils16custom_test_typeIlEEEvPT1_,comdat
	.protected	_Z21inclusive_scan_kernelILj377ELN6hipcub18BlockScanAlgorithmE0EN10test_utils16custom_test_typeIlEEEvPT1_ ; -- Begin function _Z21inclusive_scan_kernelILj377ELN6hipcub18BlockScanAlgorithmE0EN10test_utils16custom_test_typeIlEEEvPT1_
	.globl	_Z21inclusive_scan_kernelILj377ELN6hipcub18BlockScanAlgorithmE0EN10test_utils16custom_test_typeIlEEEvPT1_
	.p2align	8
	.type	_Z21inclusive_scan_kernelILj377ELN6hipcub18BlockScanAlgorithmE0EN10test_utils16custom_test_typeIlEEEvPT1_,@function
_Z21inclusive_scan_kernelILj377ELN6hipcub18BlockScanAlgorithmE0EN10test_utils16custom_test_typeIlEEEvPT1_: ; @_Z21inclusive_scan_kernelILj377ELN6hipcub18BlockScanAlgorithmE0EN10test_utils16custom_test_typeIlEEEvPT1_
; %bb.0:
	s_load_b64 s[0:1], s[0:1], 0x0
	v_mad_u64_u32 v[1:2], null, 0x179, s15, v[0:1]
	v_mbcnt_lo_u32_b32 v5, -1, 0
	s_delay_alu instid0(VALU_DEP_1) | instskip(NEXT) | instid1(VALU_DEP_1)
	v_dual_mov_b32 v2, 0 :: v_dual_and_b32 v7, 15, v5
	v_lshlrev_b64 v[1:2], 4, v[1:2]
	s_waitcnt lgkmcnt(0)
	s_delay_alu instid0(VALU_DEP_1) | instskip(NEXT) | instid1(VALU_DEP_2)
	v_add_co_u32 v9, vcc_lo, s0, v1
	v_add_co_ci_u32_e32 v10, vcc_lo, s1, v2, vcc_lo
	v_cmp_ne_u32_e32 vcc_lo, 0, v7
	global_load_b128 v[1:4], v[9:10], off
	s_waitcnt vmcnt(0)
	v_mov_b32_dpp v12, v1 row_shr:1 row_mask:0xf bank_mask:0xf
	v_mov_b32_dpp v11, v2 row_shr:1 row_mask:0xf bank_mask:0xf
	v_mov_b32_dpp v14, v3 row_shr:1 row_mask:0xf bank_mask:0xf
	v_mov_b32_dpp v13, v4 row_shr:1 row_mask:0xf bank_mask:0xf
	v_mov_b32_e32 v6, v3
	v_mov_b32_e32 v8, v1
	s_and_saveexec_b32 s1, vcc_lo
; %bb.1:
	v_add_co_u32 v6, s0, v3, v14
	s_delay_alu instid0(VALU_DEP_1) | instskip(SKIP_1) | instid1(VALU_DEP_1)
	v_add_co_ci_u32_e64 v4, s0, 0, v4, s0
	v_add_co_u32 v8, s0, v1, v12
	v_add_co_ci_u32_e64 v2, s0, 0, v2, s0
	s_delay_alu instid0(VALU_DEP_4) | instskip(NEXT) | instid1(VALU_DEP_1)
	v_add_co_u32 v3, s0, 0, v6
	v_add_co_ci_u32_e64 v4, s0, v13, v4, s0
	s_delay_alu instid0(VALU_DEP_4) | instskip(NEXT) | instid1(VALU_DEP_1)
	v_add_co_u32 v1, s0, 0, v8
	v_add_co_ci_u32_e64 v2, s0, v11, v2, s0
; %bb.2:
	s_or_b32 exec_lo, exec_lo, s1
	v_mov_b32_dpp v12, v8 row_shr:2 row_mask:0xf bank_mask:0xf
	s_delay_alu instid0(VALU_DEP_2) | instskip(SKIP_3) | instid1(VALU_DEP_1)
	v_mov_b32_dpp v11, v2 row_shr:2 row_mask:0xf bank_mask:0xf
	v_mov_b32_dpp v14, v6 row_shr:2 row_mask:0xf bank_mask:0xf
	v_mov_b32_dpp v13, v4 row_shr:2 row_mask:0xf bank_mask:0xf
	v_cmp_lt_u32_e64 s0, 1, v7
	s_and_saveexec_b32 s2, s0
; %bb.3:
	s_delay_alu instid0(VALU_DEP_3) | instskip(NEXT) | instid1(VALU_DEP_1)
	v_add_co_u32 v6, s1, v3, v14
	v_add_co_ci_u32_e64 v4, s1, 0, v4, s1
	v_add_co_u32 v8, s1, v1, v12
	s_delay_alu instid0(VALU_DEP_1) | instskip(NEXT) | instid1(VALU_DEP_4)
	v_add_co_ci_u32_e64 v2, s1, 0, v2, s1
	v_add_co_u32 v3, s1, 0, v6
	s_delay_alu instid0(VALU_DEP_1) | instskip(NEXT) | instid1(VALU_DEP_4)
	v_add_co_ci_u32_e64 v4, s1, v13, v4, s1
	v_add_co_u32 v1, s1, 0, v8
	s_delay_alu instid0(VALU_DEP_1)
	v_add_co_ci_u32_e64 v2, s1, v11, v2, s1
; %bb.4:
	s_or_b32 exec_lo, exec_lo, s2
	v_mov_b32_dpp v12, v8 row_shr:4 row_mask:0xf bank_mask:0xf
	s_delay_alu instid0(VALU_DEP_2) | instskip(SKIP_3) | instid1(VALU_DEP_1)
	v_mov_b32_dpp v11, v2 row_shr:4 row_mask:0xf bank_mask:0xf
	v_mov_b32_dpp v14, v6 row_shr:4 row_mask:0xf bank_mask:0xf
	v_mov_b32_dpp v13, v4 row_shr:4 row_mask:0xf bank_mask:0xf
	v_cmp_lt_u32_e64 s1, 3, v7
	s_and_saveexec_b32 s3, s1
; %bb.5:
	s_delay_alu instid0(VALU_DEP_3) | instskip(NEXT) | instid1(VALU_DEP_1)
	v_add_co_u32 v6, s2, v3, v14
	v_add_co_ci_u32_e64 v4, s2, 0, v4, s2
	v_add_co_u32 v8, s2, v1, v12
	s_delay_alu instid0(VALU_DEP_1) | instskip(NEXT) | instid1(VALU_DEP_4)
	v_add_co_ci_u32_e64 v2, s2, 0, v2, s2
	v_add_co_u32 v3, s2, 0, v6
	s_delay_alu instid0(VALU_DEP_1) | instskip(NEXT) | instid1(VALU_DEP_4)
	v_add_co_ci_u32_e64 v4, s2, v13, v4, s2
	v_add_co_u32 v1, s2, 0, v8
	s_delay_alu instid0(VALU_DEP_1)
	;; [unrolled: 22-line block ×3, first 2 shown]
	v_add_co_ci_u32_e64 v2, s3, v11, v2, s3
; %bb.8:
	s_or_b32 exec_lo, exec_lo, s4
	ds_swizzle_b32 v8, v8 offset:swizzle(BROADCAST,32,15)
	ds_swizzle_b32 v7, v2 offset:swizzle(BROADCAST,32,15)
	;; [unrolled: 1-line block ×4, first 2 shown]
	v_and_b32_e32 v5, 16, v5
	s_mov_b32 s4, exec_lo
	s_delay_alu instid0(VALU_DEP_1)
	v_cmpx_ne_u32_e32 0, v5
	s_cbranch_execz .LBB154_10
; %bb.9:
	s_waitcnt lgkmcnt(1)
	v_add_co_u32 v3, s3, v3, v11
	s_delay_alu instid0(VALU_DEP_1) | instskip(SKIP_1) | instid1(VALU_DEP_1)
	v_add_co_ci_u32_e64 v4, s3, 0, v4, s3
	v_add_co_u32 v1, s3, v1, v8
	v_add_co_ci_u32_e64 v2, s3, 0, v2, s3
	s_delay_alu instid0(VALU_DEP_4) | instskip(SKIP_3) | instid1(VALU_DEP_1)
	v_add_co_u32 v3, s3, v3, 0
	s_waitcnt lgkmcnt(0)
	v_add_co_ci_u32_e64 v4, s3, v4, v6, s3
	v_add_co_u32 v1, s3, v1, 0
	v_add_co_ci_u32_e64 v2, s3, v2, v7, s3
.LBB154_10:
	s_or_b32 exec_lo, exec_lo, s4
	v_and_b32_e32 v5, 0x1e0, v0
	s_waitcnt lgkmcnt(1)
	v_lshrrev_b32_e32 v11, 5, v0
	s_mov_b32 s4, exec_lo
	s_delay_alu instid0(VALU_DEP_2) | instskip(NEXT) | instid1(VALU_DEP_1)
	v_min_u32_e32 v5, 0x159, v5
	v_add_nc_u32_e32 v5, 31, v5
	s_delay_alu instid0(VALU_DEP_1)
	v_cmpx_eq_u32_e64 v5, v0
	s_cbranch_execz .LBB154_12
; %bb.11:
	v_lshlrev_b32_e32 v5, 4, v11
	ds_store_2addr_b64 v5, v[1:2], v[3:4] offset1:1
.LBB154_12:
	s_or_b32 exec_lo, exec_lo, s4
	s_delay_alu instid0(SALU_CYCLE_1)
	s_mov_b32 s4, exec_lo
	s_waitcnt lgkmcnt(0)
	s_barrier
	buffer_gl0_inv
	v_cmpx_gt_u32_e32 12, v0
	s_cbranch_execz .LBB154_22
; %bb.13:
	v_lshlrev_b32_e32 v12, 4, v0
	ds_load_2addr_b64 v[5:8], v12 offset1:1
	s_waitcnt lgkmcnt(0)
	v_mov_b32_e32 v13, v7
	v_mov_b32_dpp v16, v5 row_shr:1 row_mask:0xf bank_mask:0xf
	v_mov_b32_dpp v15, v6 row_shr:1 row_mask:0xf bank_mask:0xf
	;; [unrolled: 1-line block ×4, first 2 shown]
	v_mov_b32_e32 v14, v5
	s_and_saveexec_b32 s3, vcc_lo
; %bb.14:
	s_delay_alu instid0(VALU_DEP_3) | instskip(SKIP_3) | instid1(VALU_DEP_4)
	v_add_co_u32 v13, vcc_lo, v7, v18
	v_add_co_ci_u32_e32 v8, vcc_lo, 0, v8, vcc_lo
	v_add_co_u32 v14, vcc_lo, v5, v16
	v_add_co_ci_u32_e32 v6, vcc_lo, 0, v6, vcc_lo
	v_add_co_u32 v7, vcc_lo, 0, v13
	s_delay_alu instid0(VALU_DEP_4) | instskip(NEXT) | instid1(VALU_DEP_4)
	v_add_co_ci_u32_e32 v8, vcc_lo, v17, v8, vcc_lo
	v_add_co_u32 v5, vcc_lo, 0, v14
	s_delay_alu instid0(VALU_DEP_4)
	v_add_co_ci_u32_e32 v6, vcc_lo, v15, v6, vcc_lo
; %bb.15:
	s_or_b32 exec_lo, exec_lo, s3
	v_mov_b32_dpp v16, v14 row_shr:2 row_mask:0xf bank_mask:0xf
	s_delay_alu instid0(VALU_DEP_2)
	v_mov_b32_dpp v15, v6 row_shr:2 row_mask:0xf bank_mask:0xf
	v_mov_b32_dpp v18, v13 row_shr:2 row_mask:0xf bank_mask:0xf
	v_mov_b32_dpp v17, v8 row_shr:2 row_mask:0xf bank_mask:0xf
	s_and_saveexec_b32 s3, s0
; %bb.16:
	s_delay_alu instid0(VALU_DEP_2) | instskip(SKIP_3) | instid1(VALU_DEP_4)
	v_add_co_u32 v13, vcc_lo, v7, v18
	v_add_co_ci_u32_e32 v8, vcc_lo, 0, v8, vcc_lo
	v_add_co_u32 v14, vcc_lo, v5, v16
	v_add_co_ci_u32_e32 v6, vcc_lo, 0, v6, vcc_lo
	v_add_co_u32 v7, vcc_lo, 0, v13
	s_delay_alu instid0(VALU_DEP_4) | instskip(NEXT) | instid1(VALU_DEP_4)
	v_add_co_ci_u32_e32 v8, vcc_lo, v17, v8, vcc_lo
	v_add_co_u32 v5, vcc_lo, 0, v14
	s_delay_alu instid0(VALU_DEP_4)
	v_add_co_ci_u32_e32 v6, vcc_lo, v15, v6, vcc_lo
; %bb.17:
	s_or_b32 exec_lo, exec_lo, s3
	v_mov_b32_dpp v16, v14 row_shr:4 row_mask:0xf bank_mask:0xf
	s_delay_alu instid0(VALU_DEP_2)
	v_mov_b32_dpp v15, v6 row_shr:4 row_mask:0xf bank_mask:0xf
	v_mov_b32_dpp v18, v13 row_shr:4 row_mask:0xf bank_mask:0xf
	v_mov_b32_dpp v17, v8 row_shr:4 row_mask:0xf bank_mask:0xf
	s_and_saveexec_b32 s0, s1
; %bb.18:
	s_delay_alu instid0(VALU_DEP_2) | instskip(SKIP_3) | instid1(VALU_DEP_4)
	;; [unrolled: 20-line block ×3, first 2 shown]
	v_add_co_u32 v7, vcc_lo, v7, v16
	v_add_co_ci_u32_e32 v8, vcc_lo, 0, v8, vcc_lo
	v_add_co_u32 v5, vcc_lo, v5, v15
	v_add_co_ci_u32_e32 v6, vcc_lo, 0, v6, vcc_lo
	v_add_co_u32 v7, vcc_lo, v7, 0
	s_delay_alu instid0(VALU_DEP_4) | instskip(NEXT) | instid1(VALU_DEP_4)
	v_add_co_ci_u32_e32 v8, vcc_lo, v8, v13, vcc_lo
	v_add_co_u32 v5, vcc_lo, v5, 0
	s_delay_alu instid0(VALU_DEP_4)
	v_add_co_ci_u32_e32 v6, vcc_lo, v6, v14, vcc_lo
; %bb.21:
	s_or_b32 exec_lo, exec_lo, s0
	ds_store_2addr_b64 v12, v[5:6], v[7:8] offset1:1
.LBB154_22:
	s_or_b32 exec_lo, exec_lo, s4
	s_delay_alu instid0(SALU_CYCLE_1)
	s_mov_b32 s0, exec_lo
	s_waitcnt lgkmcnt(0)
	s_barrier
	buffer_gl0_inv
	v_cmpx_lt_u32_e32 31, v0
	s_cbranch_execz .LBB154_24
; %bb.23:
	v_lshl_add_u32 v0, v11, 4, -16
	ds_load_2addr_b64 v[5:8], v0 offset1:1
	s_waitcnt lgkmcnt(0)
	v_add_co_u32 v1, vcc_lo, v5, v1
	v_add_co_ci_u32_e32 v2, vcc_lo, v6, v2, vcc_lo
	v_add_co_u32 v3, vcc_lo, v7, v3
	v_add_co_ci_u32_e32 v4, vcc_lo, v8, v4, vcc_lo
.LBB154_24:
	s_or_b32 exec_lo, exec_lo, s0
	global_store_b128 v[9:10], v[1:4], off
	s_nop 0
	s_sendmsg sendmsg(MSG_DEALLOC_VGPRS)
	s_endpgm
	.section	.rodata,"a",@progbits
	.p2align	6, 0x0
	.amdhsa_kernel _Z21inclusive_scan_kernelILj377ELN6hipcub18BlockScanAlgorithmE0EN10test_utils16custom_test_typeIlEEEvPT1_
		.amdhsa_group_segment_fixed_size 192
		.amdhsa_private_segment_fixed_size 0
		.amdhsa_kernarg_size 8
		.amdhsa_user_sgpr_count 15
		.amdhsa_user_sgpr_dispatch_ptr 0
		.amdhsa_user_sgpr_queue_ptr 0
		.amdhsa_user_sgpr_kernarg_segment_ptr 1
		.amdhsa_user_sgpr_dispatch_id 0
		.amdhsa_user_sgpr_private_segment_size 0
		.amdhsa_wavefront_size32 1
		.amdhsa_uses_dynamic_stack 0
		.amdhsa_enable_private_segment 0
		.amdhsa_system_sgpr_workgroup_id_x 1
		.amdhsa_system_sgpr_workgroup_id_y 0
		.amdhsa_system_sgpr_workgroup_id_z 0
		.amdhsa_system_sgpr_workgroup_info 0
		.amdhsa_system_vgpr_workitem_id 0
		.amdhsa_next_free_vgpr 19
		.amdhsa_next_free_sgpr 16
		.amdhsa_reserve_vcc 1
		.amdhsa_float_round_mode_32 0
		.amdhsa_float_round_mode_16_64 0
		.amdhsa_float_denorm_mode_32 3
		.amdhsa_float_denorm_mode_16_64 3
		.amdhsa_dx10_clamp 1
		.amdhsa_ieee_mode 1
		.amdhsa_fp16_overflow 0
		.amdhsa_workgroup_processor_mode 1
		.amdhsa_memory_ordered 1
		.amdhsa_forward_progress 0
		.amdhsa_shared_vgpr_count 0
		.amdhsa_exception_fp_ieee_invalid_op 0
		.amdhsa_exception_fp_denorm_src 0
		.amdhsa_exception_fp_ieee_div_zero 0
		.amdhsa_exception_fp_ieee_overflow 0
		.amdhsa_exception_fp_ieee_underflow 0
		.amdhsa_exception_fp_ieee_inexact 0
		.amdhsa_exception_int_div_zero 0
	.end_amdhsa_kernel
	.section	.text._Z21inclusive_scan_kernelILj377ELN6hipcub18BlockScanAlgorithmE0EN10test_utils16custom_test_typeIlEEEvPT1_,"axG",@progbits,_Z21inclusive_scan_kernelILj377ELN6hipcub18BlockScanAlgorithmE0EN10test_utils16custom_test_typeIlEEEvPT1_,comdat
.Lfunc_end154:
	.size	_Z21inclusive_scan_kernelILj377ELN6hipcub18BlockScanAlgorithmE0EN10test_utils16custom_test_typeIlEEEvPT1_, .Lfunc_end154-_Z21inclusive_scan_kernelILj377ELN6hipcub18BlockScanAlgorithmE0EN10test_utils16custom_test_typeIlEEEvPT1_
                                        ; -- End function
	.section	.AMDGPU.csdata,"",@progbits
; Kernel info:
; codeLenInByte = 1388
; NumSgprs: 18
; NumVgprs: 19
; ScratchSize: 0
; MemoryBound: 0
; FloatMode: 240
; IeeeMode: 1
; LDSByteSize: 192 bytes/workgroup (compile time only)
; SGPRBlocks: 2
; VGPRBlocks: 2
; NumSGPRsForWavesPerEU: 18
; NumVGPRsForWavesPerEU: 19
; Occupancy: 15
; WaveLimiterHint : 0
; COMPUTE_PGM_RSRC2:SCRATCH_EN: 0
; COMPUTE_PGM_RSRC2:USER_SGPR: 15
; COMPUTE_PGM_RSRC2:TRAP_HANDLER: 0
; COMPUTE_PGM_RSRC2:TGID_X_EN: 1
; COMPUTE_PGM_RSRC2:TGID_Y_EN: 0
; COMPUTE_PGM_RSRC2:TGID_Z_EN: 0
; COMPUTE_PGM_RSRC2:TIDIG_COMP_CNT: 0
	.section	.text._Z21inclusive_scan_kernelILj256ELN6hipcub18BlockScanAlgorithmE0EN10test_utils16custom_test_typeIlEEEvPT1_,"axG",@progbits,_Z21inclusive_scan_kernelILj256ELN6hipcub18BlockScanAlgorithmE0EN10test_utils16custom_test_typeIlEEEvPT1_,comdat
	.protected	_Z21inclusive_scan_kernelILj256ELN6hipcub18BlockScanAlgorithmE0EN10test_utils16custom_test_typeIlEEEvPT1_ ; -- Begin function _Z21inclusive_scan_kernelILj256ELN6hipcub18BlockScanAlgorithmE0EN10test_utils16custom_test_typeIlEEEvPT1_
	.globl	_Z21inclusive_scan_kernelILj256ELN6hipcub18BlockScanAlgorithmE0EN10test_utils16custom_test_typeIlEEEvPT1_
	.p2align	8
	.type	_Z21inclusive_scan_kernelILj256ELN6hipcub18BlockScanAlgorithmE0EN10test_utils16custom_test_typeIlEEEvPT1_,@function
_Z21inclusive_scan_kernelILj256ELN6hipcub18BlockScanAlgorithmE0EN10test_utils16custom_test_typeIlEEEvPT1_: ; @_Z21inclusive_scan_kernelILj256ELN6hipcub18BlockScanAlgorithmE0EN10test_utils16custom_test_typeIlEEEvPT1_
; %bb.0:
	s_load_b64 s[0:1], s[0:1], 0x0
	v_mov_b32_e32 v2, 0
	v_lshl_or_b32 v1, s15, 8, v0
	v_mbcnt_lo_u32_b32 v11, -1, 0
	s_delay_alu instid0(VALU_DEP_2) | instskip(SKIP_1) | instid1(VALU_DEP_1)
	v_lshlrev_b64 v[1:2], 4, v[1:2]
	s_waitcnt lgkmcnt(0)
	v_add_co_u32 v9, vcc_lo, s0, v1
	s_delay_alu instid0(VALU_DEP_2)
	v_add_co_ci_u32_e32 v10, vcc_lo, s1, v2, vcc_lo
	s_mov_b32 s0, exec_lo
	global_load_b128 v[1:4], v[9:10], off
	s_waitcnt vmcnt(0)
	v_dual_mov_b32 v7, v1 :: v_dual_and_b32 v6, 15, v11
	v_mov_b32_dpp v12, v1 row_shr:1 row_mask:0xf bank_mask:0xf
	v_mov_b32_dpp v8, v2 row_shr:1 row_mask:0xf bank_mask:0xf
	;; [unrolled: 1-line block ×4, first 2 shown]
	v_mov_b32_e32 v5, v3
	v_cmpx_ne_u32_e32 0, v6
; %bb.1:
	s_delay_alu instid0(VALU_DEP_4) | instskip(SKIP_3) | instid1(VALU_DEP_4)
	v_add_co_u32 v5, vcc_lo, v3, v14
	v_add_co_ci_u32_e32 v4, vcc_lo, 0, v4, vcc_lo
	v_add_co_u32 v7, vcc_lo, v1, v12
	v_add_co_ci_u32_e32 v2, vcc_lo, 0, v2, vcc_lo
	v_add_co_u32 v3, vcc_lo, 0, v5
	s_delay_alu instid0(VALU_DEP_4) | instskip(NEXT) | instid1(VALU_DEP_4)
	v_add_co_ci_u32_e32 v4, vcc_lo, v13, v4, vcc_lo
	v_add_co_u32 v1, vcc_lo, 0, v7
	s_delay_alu instid0(VALU_DEP_4)
	v_add_co_ci_u32_e32 v2, vcc_lo, v8, v2, vcc_lo
; %bb.2:
	s_or_b32 exec_lo, exec_lo, s0
	v_mov_b32_dpp v12, v7 row_shr:2 row_mask:0xf bank_mask:0xf
	s_delay_alu instid0(VALU_DEP_2)
	v_mov_b32_dpp v8, v2 row_shr:2 row_mask:0xf bank_mask:0xf
	v_mov_b32_dpp v14, v5 row_shr:2 row_mask:0xf bank_mask:0xf
	v_mov_b32_dpp v13, v4 row_shr:2 row_mask:0xf bank_mask:0xf
	s_mov_b32 s0, exec_lo
	v_cmpx_lt_u32_e32 1, v6
; %bb.3:
	s_delay_alu instid0(VALU_DEP_3) | instskip(SKIP_3) | instid1(VALU_DEP_4)
	v_add_co_u32 v5, vcc_lo, v3, v14
	v_add_co_ci_u32_e32 v4, vcc_lo, 0, v4, vcc_lo
	v_add_co_u32 v7, vcc_lo, v1, v12
	v_add_co_ci_u32_e32 v2, vcc_lo, 0, v2, vcc_lo
	v_add_co_u32 v3, vcc_lo, 0, v5
	s_delay_alu instid0(VALU_DEP_4) | instskip(NEXT) | instid1(VALU_DEP_4)
	v_add_co_ci_u32_e32 v4, vcc_lo, v13, v4, vcc_lo
	v_add_co_u32 v1, vcc_lo, 0, v7
	s_delay_alu instid0(VALU_DEP_4)
	v_add_co_ci_u32_e32 v2, vcc_lo, v8, v2, vcc_lo
; %bb.4:
	s_or_b32 exec_lo, exec_lo, s0
	v_mov_b32_dpp v12, v7 row_shr:4 row_mask:0xf bank_mask:0xf
	s_delay_alu instid0(VALU_DEP_2)
	v_mov_b32_dpp v8, v2 row_shr:4 row_mask:0xf bank_mask:0xf
	v_mov_b32_dpp v14, v5 row_shr:4 row_mask:0xf bank_mask:0xf
	v_mov_b32_dpp v13, v4 row_shr:4 row_mask:0xf bank_mask:0xf
	s_mov_b32 s0, exec_lo
	v_cmpx_lt_u32_e32 3, v6
; %bb.5:
	s_delay_alu instid0(VALU_DEP_3) | instskip(SKIP_3) | instid1(VALU_DEP_4)
	;; [unrolled: 21-line block ×3, first 2 shown]
	v_add_co_u32 v5, vcc_lo, v3, v14
	v_add_co_ci_u32_e32 v4, vcc_lo, 0, v4, vcc_lo
	v_add_co_u32 v7, vcc_lo, v1, v12
	v_add_co_ci_u32_e32 v2, vcc_lo, 0, v2, vcc_lo
	v_add_co_u32 v3, vcc_lo, 0, v5
	s_delay_alu instid0(VALU_DEP_4) | instskip(NEXT) | instid1(VALU_DEP_4)
	v_add_co_ci_u32_e32 v4, vcc_lo, v13, v4, vcc_lo
	v_add_co_u32 v1, vcc_lo, 0, v7
	s_delay_alu instid0(VALU_DEP_4)
	v_add_co_ci_u32_e32 v2, vcc_lo, v8, v2, vcc_lo
; %bb.8:
	s_or_b32 exec_lo, exec_lo, s0
	ds_swizzle_b32 v7, v7 offset:swizzle(BROADCAST,32,15)
	ds_swizzle_b32 v6, v2 offset:swizzle(BROADCAST,32,15)
	;; [unrolled: 1-line block ×4, first 2 shown]
	v_and_b32_e32 v12, 16, v11
	s_mov_b32 s0, exec_lo
	s_delay_alu instid0(VALU_DEP_1)
	v_cmpx_ne_u32_e32 0, v12
	s_cbranch_execz .LBB155_10
; %bb.9:
	s_waitcnt lgkmcnt(1)
	v_add_co_u32 v3, vcc_lo, v3, v8
	v_add_co_ci_u32_e32 v4, vcc_lo, 0, v4, vcc_lo
	v_add_co_u32 v1, vcc_lo, v1, v7
	v_add_co_ci_u32_e32 v2, vcc_lo, 0, v2, vcc_lo
	s_delay_alu instid0(VALU_DEP_4)
	v_add_co_u32 v3, vcc_lo, v3, 0
	s_waitcnt lgkmcnt(0)
	v_add_co_ci_u32_e32 v4, vcc_lo, v4, v5, vcc_lo
	v_add_co_u32 v1, vcc_lo, v1, 0
	v_add_co_ci_u32_e32 v2, vcc_lo, v2, v6, vcc_lo
.LBB155_10:
	s_or_b32 exec_lo, exec_lo, s0
	s_waitcnt lgkmcnt(0)
	v_or_b32_e32 v5, 31, v0
	v_lshrrev_b32_e32 v12, 5, v0
	s_mov_b32 s0, exec_lo
	s_delay_alu instid0(VALU_DEP_2)
	v_cmpx_eq_u32_e64 v5, v0
	s_cbranch_execz .LBB155_12
; %bb.11:
	s_delay_alu instid0(VALU_DEP_2)
	v_lshlrev_b32_e32 v5, 4, v12
	ds_store_2addr_b64 v5, v[1:2], v[3:4] offset1:1
.LBB155_12:
	s_or_b32 exec_lo, exec_lo, s0
	s_delay_alu instid0(SALU_CYCLE_1)
	s_mov_b32 s0, exec_lo
	s_waitcnt lgkmcnt(0)
	s_barrier
	buffer_gl0_inv
	v_cmpx_gt_u32_e32 8, v0
	s_cbranch_execz .LBB155_20
; %bb.13:
	v_lshlrev_b32_e32 v13, 4, v0
	v_and_b32_e32 v11, 7, v11
	s_mov_b32 s1, exec_lo
	ds_load_2addr_b64 v[5:8], v13 offset1:1
	s_waitcnt lgkmcnt(0)
	v_mov_b32_e32 v14, v7
	v_mov_b32_dpp v17, v5 row_shr:1 row_mask:0xf bank_mask:0xf
	v_mov_b32_dpp v16, v6 row_shr:1 row_mask:0xf bank_mask:0xf
	;; [unrolled: 1-line block ×4, first 2 shown]
	v_mov_b32_e32 v15, v5
	v_cmpx_ne_u32_e32 0, v11
; %bb.14:
	s_delay_alu instid0(VALU_DEP_4) | instskip(SKIP_3) | instid1(VALU_DEP_4)
	v_add_co_u32 v14, vcc_lo, v7, v19
	v_add_co_ci_u32_e32 v8, vcc_lo, 0, v8, vcc_lo
	v_add_co_u32 v15, vcc_lo, v5, v17
	v_add_co_ci_u32_e32 v6, vcc_lo, 0, v6, vcc_lo
	v_add_co_u32 v7, vcc_lo, 0, v14
	s_delay_alu instid0(VALU_DEP_4) | instskip(NEXT) | instid1(VALU_DEP_4)
	v_add_co_ci_u32_e32 v8, vcc_lo, v18, v8, vcc_lo
	v_add_co_u32 v5, vcc_lo, 0, v15
	s_delay_alu instid0(VALU_DEP_4)
	v_add_co_ci_u32_e32 v6, vcc_lo, v16, v6, vcc_lo
; %bb.15:
	s_or_b32 exec_lo, exec_lo, s1
	v_mov_b32_dpp v17, v15 row_shr:2 row_mask:0xf bank_mask:0xf
	s_delay_alu instid0(VALU_DEP_2)
	v_mov_b32_dpp v16, v6 row_shr:2 row_mask:0xf bank_mask:0xf
	v_mov_b32_dpp v19, v14 row_shr:2 row_mask:0xf bank_mask:0xf
	;; [unrolled: 1-line block ×3, first 2 shown]
	s_mov_b32 s1, exec_lo
	v_cmpx_lt_u32_e32 1, v11
; %bb.16:
	s_delay_alu instid0(VALU_DEP_3) | instskip(SKIP_3) | instid1(VALU_DEP_4)
	v_add_co_u32 v14, vcc_lo, v7, v19
	v_add_co_ci_u32_e32 v8, vcc_lo, 0, v8, vcc_lo
	v_add_co_u32 v15, vcc_lo, v5, v17
	v_add_co_ci_u32_e32 v6, vcc_lo, 0, v6, vcc_lo
	v_add_co_u32 v7, vcc_lo, 0, v14
	s_delay_alu instid0(VALU_DEP_4) | instskip(NEXT) | instid1(VALU_DEP_4)
	v_add_co_ci_u32_e32 v8, vcc_lo, v18, v8, vcc_lo
	v_add_co_u32 v5, vcc_lo, 0, v15
	s_delay_alu instid0(VALU_DEP_4)
	v_add_co_ci_u32_e32 v6, vcc_lo, v16, v6, vcc_lo
; %bb.17:
	s_or_b32 exec_lo, exec_lo, s1
	v_mov_b32_dpp v16, v15 row_shr:4 row_mask:0xf bank_mask:0xf
	s_delay_alu instid0(VALU_DEP_2)
	v_mov_b32_dpp v15, v6 row_shr:4 row_mask:0xf bank_mask:0xf
	v_mov_b32_dpp v17, v14 row_shr:4 row_mask:0xf bank_mask:0xf
	v_mov_b32_dpp v14, v8 row_shr:4 row_mask:0xf bank_mask:0xf
	s_mov_b32 s1, exec_lo
	v_cmpx_lt_u32_e32 3, v11
; %bb.18:
	s_delay_alu instid0(VALU_DEP_3) | instskip(SKIP_3) | instid1(VALU_DEP_4)
	v_add_co_u32 v7, vcc_lo, v7, v17
	v_add_co_ci_u32_e32 v8, vcc_lo, 0, v8, vcc_lo
	v_add_co_u32 v5, vcc_lo, v5, v16
	v_add_co_ci_u32_e32 v6, vcc_lo, 0, v6, vcc_lo
	v_add_co_u32 v7, vcc_lo, v7, 0
	s_delay_alu instid0(VALU_DEP_4) | instskip(NEXT) | instid1(VALU_DEP_4)
	v_add_co_ci_u32_e32 v8, vcc_lo, v8, v14, vcc_lo
	v_add_co_u32 v5, vcc_lo, v5, 0
	s_delay_alu instid0(VALU_DEP_4)
	v_add_co_ci_u32_e32 v6, vcc_lo, v6, v15, vcc_lo
; %bb.19:
	s_or_b32 exec_lo, exec_lo, s1
	ds_store_2addr_b64 v13, v[5:6], v[7:8] offset1:1
.LBB155_20:
	s_or_b32 exec_lo, exec_lo, s0
	s_delay_alu instid0(SALU_CYCLE_1)
	s_mov_b32 s0, exec_lo
	s_waitcnt lgkmcnt(0)
	s_barrier
	buffer_gl0_inv
	v_cmpx_lt_u32_e32 31, v0
	s_cbranch_execz .LBB155_22
; %bb.21:
	v_lshl_add_u32 v0, v12, 4, -16
	ds_load_2addr_b64 v[5:8], v0 offset1:1
	s_waitcnt lgkmcnt(0)
	v_add_co_u32 v1, vcc_lo, v5, v1
	v_add_co_ci_u32_e32 v2, vcc_lo, v6, v2, vcc_lo
	v_add_co_u32 v3, vcc_lo, v7, v3
	v_add_co_ci_u32_e32 v4, vcc_lo, v8, v4, vcc_lo
.LBB155_22:
	s_or_b32 exec_lo, exec_lo, s0
	global_store_b128 v[9:10], v[1:4], off
	s_nop 0
	s_sendmsg sendmsg(MSG_DEALLOC_VGPRS)
	s_endpgm
	.section	.rodata,"a",@progbits
	.p2align	6, 0x0
	.amdhsa_kernel _Z21inclusive_scan_kernelILj256ELN6hipcub18BlockScanAlgorithmE0EN10test_utils16custom_test_typeIlEEEvPT1_
		.amdhsa_group_segment_fixed_size 128
		.amdhsa_private_segment_fixed_size 0
		.amdhsa_kernarg_size 8
		.amdhsa_user_sgpr_count 15
		.amdhsa_user_sgpr_dispatch_ptr 0
		.amdhsa_user_sgpr_queue_ptr 0
		.amdhsa_user_sgpr_kernarg_segment_ptr 1
		.amdhsa_user_sgpr_dispatch_id 0
		.amdhsa_user_sgpr_private_segment_size 0
		.amdhsa_wavefront_size32 1
		.amdhsa_uses_dynamic_stack 0
		.amdhsa_enable_private_segment 0
		.amdhsa_system_sgpr_workgroup_id_x 1
		.amdhsa_system_sgpr_workgroup_id_y 0
		.amdhsa_system_sgpr_workgroup_id_z 0
		.amdhsa_system_sgpr_workgroup_info 0
		.amdhsa_system_vgpr_workitem_id 0
		.amdhsa_next_free_vgpr 20
		.amdhsa_next_free_sgpr 16
		.amdhsa_reserve_vcc 1
		.amdhsa_float_round_mode_32 0
		.amdhsa_float_round_mode_16_64 0
		.amdhsa_float_denorm_mode_32 3
		.amdhsa_float_denorm_mode_16_64 3
		.amdhsa_dx10_clamp 1
		.amdhsa_ieee_mode 1
		.amdhsa_fp16_overflow 0
		.amdhsa_workgroup_processor_mode 1
		.amdhsa_memory_ordered 1
		.amdhsa_forward_progress 0
		.amdhsa_shared_vgpr_count 0
		.amdhsa_exception_fp_ieee_invalid_op 0
		.amdhsa_exception_fp_denorm_src 0
		.amdhsa_exception_fp_ieee_div_zero 0
		.amdhsa_exception_fp_ieee_overflow 0
		.amdhsa_exception_fp_ieee_underflow 0
		.amdhsa_exception_fp_ieee_inexact 0
		.amdhsa_exception_int_div_zero 0
	.end_amdhsa_kernel
	.section	.text._Z21inclusive_scan_kernelILj256ELN6hipcub18BlockScanAlgorithmE0EN10test_utils16custom_test_typeIlEEEvPT1_,"axG",@progbits,_Z21inclusive_scan_kernelILj256ELN6hipcub18BlockScanAlgorithmE0EN10test_utils16custom_test_typeIlEEEvPT1_,comdat
.Lfunc_end155:
	.size	_Z21inclusive_scan_kernelILj256ELN6hipcub18BlockScanAlgorithmE0EN10test_utils16custom_test_typeIlEEEvPT1_, .Lfunc_end155-_Z21inclusive_scan_kernelILj256ELN6hipcub18BlockScanAlgorithmE0EN10test_utils16custom_test_typeIlEEEvPT1_
                                        ; -- End function
	.section	.AMDGPU.csdata,"",@progbits
; Kernel info:
; codeLenInByte = 1172
; NumSgprs: 18
; NumVgprs: 20
; ScratchSize: 0
; MemoryBound: 0
; FloatMode: 240
; IeeeMode: 1
; LDSByteSize: 128 bytes/workgroup (compile time only)
; SGPRBlocks: 2
; VGPRBlocks: 2
; NumSGPRsForWavesPerEU: 18
; NumVGPRsForWavesPerEU: 20
; Occupancy: 16
; WaveLimiterHint : 0
; COMPUTE_PGM_RSRC2:SCRATCH_EN: 0
; COMPUTE_PGM_RSRC2:USER_SGPR: 15
; COMPUTE_PGM_RSRC2:TRAP_HANDLER: 0
; COMPUTE_PGM_RSRC2:TGID_X_EN: 1
; COMPUTE_PGM_RSRC2:TGID_Y_EN: 0
; COMPUTE_PGM_RSRC2:TGID_Z_EN: 0
; COMPUTE_PGM_RSRC2:TIDIG_COMP_CNT: 0
	.section	.text._Z21inclusive_scan_kernelILj64ELN6hipcub18BlockScanAlgorithmE0EN10test_utils16custom_test_typeIlEEEvPT1_,"axG",@progbits,_Z21inclusive_scan_kernelILj64ELN6hipcub18BlockScanAlgorithmE0EN10test_utils16custom_test_typeIlEEEvPT1_,comdat
	.protected	_Z21inclusive_scan_kernelILj64ELN6hipcub18BlockScanAlgorithmE0EN10test_utils16custom_test_typeIlEEEvPT1_ ; -- Begin function _Z21inclusive_scan_kernelILj64ELN6hipcub18BlockScanAlgorithmE0EN10test_utils16custom_test_typeIlEEEvPT1_
	.globl	_Z21inclusive_scan_kernelILj64ELN6hipcub18BlockScanAlgorithmE0EN10test_utils16custom_test_typeIlEEEvPT1_
	.p2align	8
	.type	_Z21inclusive_scan_kernelILj64ELN6hipcub18BlockScanAlgorithmE0EN10test_utils16custom_test_typeIlEEEvPT1_,@function
_Z21inclusive_scan_kernelILj64ELN6hipcub18BlockScanAlgorithmE0EN10test_utils16custom_test_typeIlEEEvPT1_: ; @_Z21inclusive_scan_kernelILj64ELN6hipcub18BlockScanAlgorithmE0EN10test_utils16custom_test_typeIlEEEvPT1_
; %bb.0:
	s_load_b64 s[0:1], s[0:1], 0x0
	v_mov_b32_e32 v2, 0
	v_lshl_or_b32 v1, s15, 6, v0
	v_mbcnt_lo_u32_b32 v11, -1, 0
	s_delay_alu instid0(VALU_DEP_2) | instskip(SKIP_1) | instid1(VALU_DEP_1)
	v_lshlrev_b64 v[1:2], 4, v[1:2]
	s_waitcnt lgkmcnt(0)
	v_add_co_u32 v9, vcc_lo, s0, v1
	s_delay_alu instid0(VALU_DEP_2)
	v_add_co_ci_u32_e32 v10, vcc_lo, s1, v2, vcc_lo
	s_mov_b32 s0, exec_lo
	global_load_b128 v[1:4], v[9:10], off
	s_waitcnt vmcnt(0)
	v_dual_mov_b32 v7, v1 :: v_dual_and_b32 v6, 15, v11
	v_mov_b32_dpp v12, v1 row_shr:1 row_mask:0xf bank_mask:0xf
	v_mov_b32_dpp v8, v2 row_shr:1 row_mask:0xf bank_mask:0xf
	v_mov_b32_dpp v14, v3 row_shr:1 row_mask:0xf bank_mask:0xf
	v_mov_b32_dpp v13, v4 row_shr:1 row_mask:0xf bank_mask:0xf
	v_mov_b32_e32 v5, v3
	v_cmpx_ne_u32_e32 0, v6
; %bb.1:
	s_delay_alu instid0(VALU_DEP_4) | instskip(SKIP_3) | instid1(VALU_DEP_4)
	v_add_co_u32 v5, vcc_lo, v3, v14
	v_add_co_ci_u32_e32 v4, vcc_lo, 0, v4, vcc_lo
	v_add_co_u32 v7, vcc_lo, v1, v12
	v_add_co_ci_u32_e32 v2, vcc_lo, 0, v2, vcc_lo
	v_add_co_u32 v3, vcc_lo, 0, v5
	s_delay_alu instid0(VALU_DEP_4) | instskip(NEXT) | instid1(VALU_DEP_4)
	v_add_co_ci_u32_e32 v4, vcc_lo, v13, v4, vcc_lo
	v_add_co_u32 v1, vcc_lo, 0, v7
	s_delay_alu instid0(VALU_DEP_4)
	v_add_co_ci_u32_e32 v2, vcc_lo, v8, v2, vcc_lo
; %bb.2:
	s_or_b32 exec_lo, exec_lo, s0
	v_mov_b32_dpp v12, v7 row_shr:2 row_mask:0xf bank_mask:0xf
	s_delay_alu instid0(VALU_DEP_2)
	v_mov_b32_dpp v8, v2 row_shr:2 row_mask:0xf bank_mask:0xf
	v_mov_b32_dpp v14, v5 row_shr:2 row_mask:0xf bank_mask:0xf
	v_mov_b32_dpp v13, v4 row_shr:2 row_mask:0xf bank_mask:0xf
	s_mov_b32 s0, exec_lo
	v_cmpx_lt_u32_e32 1, v6
; %bb.3:
	s_delay_alu instid0(VALU_DEP_3) | instskip(SKIP_3) | instid1(VALU_DEP_4)
	v_add_co_u32 v5, vcc_lo, v3, v14
	v_add_co_ci_u32_e32 v4, vcc_lo, 0, v4, vcc_lo
	v_add_co_u32 v7, vcc_lo, v1, v12
	v_add_co_ci_u32_e32 v2, vcc_lo, 0, v2, vcc_lo
	v_add_co_u32 v3, vcc_lo, 0, v5
	s_delay_alu instid0(VALU_DEP_4) | instskip(NEXT) | instid1(VALU_DEP_4)
	v_add_co_ci_u32_e32 v4, vcc_lo, v13, v4, vcc_lo
	v_add_co_u32 v1, vcc_lo, 0, v7
	s_delay_alu instid0(VALU_DEP_4)
	v_add_co_ci_u32_e32 v2, vcc_lo, v8, v2, vcc_lo
; %bb.4:
	s_or_b32 exec_lo, exec_lo, s0
	v_mov_b32_dpp v12, v7 row_shr:4 row_mask:0xf bank_mask:0xf
	s_delay_alu instid0(VALU_DEP_2)
	v_mov_b32_dpp v8, v2 row_shr:4 row_mask:0xf bank_mask:0xf
	v_mov_b32_dpp v14, v5 row_shr:4 row_mask:0xf bank_mask:0xf
	v_mov_b32_dpp v13, v4 row_shr:4 row_mask:0xf bank_mask:0xf
	s_mov_b32 s0, exec_lo
	v_cmpx_lt_u32_e32 3, v6
; %bb.5:
	s_delay_alu instid0(VALU_DEP_3) | instskip(SKIP_3) | instid1(VALU_DEP_4)
	;; [unrolled: 21-line block ×3, first 2 shown]
	v_add_co_u32 v5, vcc_lo, v3, v14
	v_add_co_ci_u32_e32 v4, vcc_lo, 0, v4, vcc_lo
	v_add_co_u32 v7, vcc_lo, v1, v12
	v_add_co_ci_u32_e32 v2, vcc_lo, 0, v2, vcc_lo
	v_add_co_u32 v3, vcc_lo, 0, v5
	s_delay_alu instid0(VALU_DEP_4) | instskip(NEXT) | instid1(VALU_DEP_4)
	v_add_co_ci_u32_e32 v4, vcc_lo, v13, v4, vcc_lo
	v_add_co_u32 v1, vcc_lo, 0, v7
	s_delay_alu instid0(VALU_DEP_4)
	v_add_co_ci_u32_e32 v2, vcc_lo, v8, v2, vcc_lo
; %bb.8:
	s_or_b32 exec_lo, exec_lo, s0
	ds_swizzle_b32 v7, v7 offset:swizzle(BROADCAST,32,15)
	ds_swizzle_b32 v6, v2 offset:swizzle(BROADCAST,32,15)
	;; [unrolled: 1-line block ×4, first 2 shown]
	v_and_b32_e32 v12, 16, v11
	s_mov_b32 s0, exec_lo
	s_delay_alu instid0(VALU_DEP_1)
	v_cmpx_ne_u32_e32 0, v12
	s_cbranch_execz .LBB156_10
; %bb.9:
	s_waitcnt lgkmcnt(1)
	v_add_co_u32 v3, vcc_lo, v3, v8
	v_add_co_ci_u32_e32 v4, vcc_lo, 0, v4, vcc_lo
	v_add_co_u32 v1, vcc_lo, v1, v7
	v_add_co_ci_u32_e32 v2, vcc_lo, 0, v2, vcc_lo
	s_delay_alu instid0(VALU_DEP_4)
	v_add_co_u32 v3, vcc_lo, v3, 0
	s_waitcnt lgkmcnt(0)
	v_add_co_ci_u32_e32 v4, vcc_lo, v4, v5, vcc_lo
	v_add_co_u32 v1, vcc_lo, v1, 0
	v_add_co_ci_u32_e32 v2, vcc_lo, v2, v6, vcc_lo
.LBB156_10:
	s_or_b32 exec_lo, exec_lo, s0
	s_waitcnt lgkmcnt(0)
	v_or_b32_e32 v5, 31, v0
	v_lshrrev_b32_e32 v12, 5, v0
	s_mov_b32 s0, exec_lo
	s_delay_alu instid0(VALU_DEP_2)
	v_cmpx_eq_u32_e64 v5, v0
	s_cbranch_execz .LBB156_12
; %bb.11:
	s_delay_alu instid0(VALU_DEP_2)
	v_lshlrev_b32_e32 v5, 4, v12
	ds_store_2addr_b64 v5, v[1:2], v[3:4] offset1:1
.LBB156_12:
	s_or_b32 exec_lo, exec_lo, s0
	s_delay_alu instid0(SALU_CYCLE_1)
	s_mov_b32 s0, exec_lo
	s_waitcnt lgkmcnt(0)
	s_barrier
	buffer_gl0_inv
	v_cmpx_gt_u32_e32 2, v0
	s_cbranch_execz .LBB156_16
; %bb.13:
	v_lshlrev_b32_e32 v13, 4, v0
	v_and_b32_e32 v17, 1, v11
	s_mov_b32 s1, exec_lo
	ds_load_2addr_b64 v[5:8], v13 offset1:1
	s_waitcnt lgkmcnt(0)
	v_mov_b32_dpp v14, v5 row_shr:1 row_mask:0xf bank_mask:0xf
	v_mov_b32_dpp v11, v6 row_shr:1 row_mask:0xf bank_mask:0xf
	;; [unrolled: 1-line block ×4, first 2 shown]
	v_cmpx_eq_u32_e32 1, v17
; %bb.14:
	s_delay_alu instid0(VALU_DEP_3) | instskip(SKIP_3) | instid1(VALU_DEP_4)
	v_add_co_u32 v7, vcc_lo, v7, v16
	v_add_co_ci_u32_e32 v8, vcc_lo, 0, v8, vcc_lo
	v_add_co_u32 v5, vcc_lo, v5, v14
	v_add_co_ci_u32_e32 v6, vcc_lo, 0, v6, vcc_lo
	v_add_co_u32 v7, vcc_lo, v7, 0
	s_delay_alu instid0(VALU_DEP_4) | instskip(NEXT) | instid1(VALU_DEP_4)
	v_add_co_ci_u32_e32 v8, vcc_lo, v8, v15, vcc_lo
	v_add_co_u32 v5, vcc_lo, v5, 0
	s_delay_alu instid0(VALU_DEP_4)
	v_add_co_ci_u32_e32 v6, vcc_lo, v6, v11, vcc_lo
; %bb.15:
	s_or_b32 exec_lo, exec_lo, s1
	ds_store_2addr_b64 v13, v[5:6], v[7:8] offset1:1
.LBB156_16:
	s_or_b32 exec_lo, exec_lo, s0
	s_delay_alu instid0(SALU_CYCLE_1)
	s_mov_b32 s0, exec_lo
	s_waitcnt lgkmcnt(0)
	s_barrier
	buffer_gl0_inv
	v_cmpx_lt_u32_e32 31, v0
	s_cbranch_execz .LBB156_18
; %bb.17:
	v_lshl_add_u32 v0, v12, 4, -16
	ds_load_2addr_b64 v[5:8], v0 offset1:1
	s_waitcnt lgkmcnt(0)
	v_add_co_u32 v1, vcc_lo, v5, v1
	v_add_co_ci_u32_e32 v2, vcc_lo, v6, v2, vcc_lo
	v_add_co_u32 v3, vcc_lo, v7, v3
	v_add_co_ci_u32_e32 v4, vcc_lo, v8, v4, vcc_lo
.LBB156_18:
	s_or_b32 exec_lo, exec_lo, s0
	global_store_b128 v[9:10], v[1:4], off
	s_nop 0
	s_sendmsg sendmsg(MSG_DEALLOC_VGPRS)
	s_endpgm
	.section	.rodata,"a",@progbits
	.p2align	6, 0x0
	.amdhsa_kernel _Z21inclusive_scan_kernelILj64ELN6hipcub18BlockScanAlgorithmE0EN10test_utils16custom_test_typeIlEEEvPT1_
		.amdhsa_group_segment_fixed_size 32
		.amdhsa_private_segment_fixed_size 0
		.amdhsa_kernarg_size 8
		.amdhsa_user_sgpr_count 15
		.amdhsa_user_sgpr_dispatch_ptr 0
		.amdhsa_user_sgpr_queue_ptr 0
		.amdhsa_user_sgpr_kernarg_segment_ptr 1
		.amdhsa_user_sgpr_dispatch_id 0
		.amdhsa_user_sgpr_private_segment_size 0
		.amdhsa_wavefront_size32 1
		.amdhsa_uses_dynamic_stack 0
		.amdhsa_enable_private_segment 0
		.amdhsa_system_sgpr_workgroup_id_x 1
		.amdhsa_system_sgpr_workgroup_id_y 0
		.amdhsa_system_sgpr_workgroup_id_z 0
		.amdhsa_system_sgpr_workgroup_info 0
		.amdhsa_system_vgpr_workitem_id 0
		.amdhsa_next_free_vgpr 18
		.amdhsa_next_free_sgpr 16
		.amdhsa_reserve_vcc 1
		.amdhsa_float_round_mode_32 0
		.amdhsa_float_round_mode_16_64 0
		.amdhsa_float_denorm_mode_32 3
		.amdhsa_float_denorm_mode_16_64 3
		.amdhsa_dx10_clamp 1
		.amdhsa_ieee_mode 1
		.amdhsa_fp16_overflow 0
		.amdhsa_workgroup_processor_mode 1
		.amdhsa_memory_ordered 1
		.amdhsa_forward_progress 0
		.amdhsa_shared_vgpr_count 0
		.amdhsa_exception_fp_ieee_invalid_op 0
		.amdhsa_exception_fp_denorm_src 0
		.amdhsa_exception_fp_ieee_div_zero 0
		.amdhsa_exception_fp_ieee_overflow 0
		.amdhsa_exception_fp_ieee_underflow 0
		.amdhsa_exception_fp_ieee_inexact 0
		.amdhsa_exception_int_div_zero 0
	.end_amdhsa_kernel
	.section	.text._Z21inclusive_scan_kernelILj64ELN6hipcub18BlockScanAlgorithmE0EN10test_utils16custom_test_typeIlEEEvPT1_,"axG",@progbits,_Z21inclusive_scan_kernelILj64ELN6hipcub18BlockScanAlgorithmE0EN10test_utils16custom_test_typeIlEEEvPT1_,comdat
.Lfunc_end156:
	.size	_Z21inclusive_scan_kernelILj64ELN6hipcub18BlockScanAlgorithmE0EN10test_utils16custom_test_typeIlEEEvPT1_, .Lfunc_end156-_Z21inclusive_scan_kernelILj64ELN6hipcub18BlockScanAlgorithmE0EN10test_utils16custom_test_typeIlEEEvPT1_
                                        ; -- End function
	.section	.AMDGPU.csdata,"",@progbits
; Kernel info:
; codeLenInByte = 948
; NumSgprs: 18
; NumVgprs: 18
; ScratchSize: 0
; MemoryBound: 0
; FloatMode: 240
; IeeeMode: 1
; LDSByteSize: 32 bytes/workgroup (compile time only)
; SGPRBlocks: 2
; VGPRBlocks: 2
; NumSGPRsForWavesPerEU: 18
; NumVGPRsForWavesPerEU: 18
; Occupancy: 16
; WaveLimiterHint : 0
; COMPUTE_PGM_RSRC2:SCRATCH_EN: 0
; COMPUTE_PGM_RSRC2:USER_SGPR: 15
; COMPUTE_PGM_RSRC2:TRAP_HANDLER: 0
; COMPUTE_PGM_RSRC2:TGID_X_EN: 1
; COMPUTE_PGM_RSRC2:TGID_Y_EN: 0
; COMPUTE_PGM_RSRC2:TGID_Z_EN: 0
; COMPUTE_PGM_RSRC2:TIDIG_COMP_CNT: 0
	.section	.text._Z21inclusive_scan_kernelILj377ELN6hipcub18BlockScanAlgorithmE0EN10test_utils16custom_test_typeIjEEEvPT1_,"axG",@progbits,_Z21inclusive_scan_kernelILj377ELN6hipcub18BlockScanAlgorithmE0EN10test_utils16custom_test_typeIjEEEvPT1_,comdat
	.protected	_Z21inclusive_scan_kernelILj377ELN6hipcub18BlockScanAlgorithmE0EN10test_utils16custom_test_typeIjEEEvPT1_ ; -- Begin function _Z21inclusive_scan_kernelILj377ELN6hipcub18BlockScanAlgorithmE0EN10test_utils16custom_test_typeIjEEEvPT1_
	.globl	_Z21inclusive_scan_kernelILj377ELN6hipcub18BlockScanAlgorithmE0EN10test_utils16custom_test_typeIjEEEvPT1_
	.p2align	8
	.type	_Z21inclusive_scan_kernelILj377ELN6hipcub18BlockScanAlgorithmE0EN10test_utils16custom_test_typeIjEEEvPT1_,@function
_Z21inclusive_scan_kernelILj377ELN6hipcub18BlockScanAlgorithmE0EN10test_utils16custom_test_typeIjEEEvPT1_: ; @_Z21inclusive_scan_kernelILj377ELN6hipcub18BlockScanAlgorithmE0EN10test_utils16custom_test_typeIjEEEvPT1_
; %bb.0:
	s_load_b64 s[0:1], s[0:1], 0x0
	v_mad_u64_u32 v[1:2], null, 0x179, s15, v[0:1]
	v_mov_b32_e32 v2, 0
	v_mbcnt_lo_u32_b32 v5, -1, 0
	s_mov_b32 s4, exec_lo
	s_delay_alu instid0(VALU_DEP_1) | instskip(NEXT) | instid1(VALU_DEP_3)
	v_and_b32_e32 v6, 15, v5
	v_lshlrev_b64 v[1:2], 3, v[1:2]
	v_bfe_i32 v5, v5, 4, 1
	s_delay_alu instid0(VALU_DEP_3) | instskip(SKIP_1) | instid1(VALU_DEP_3)
	v_cmp_lt_u32_e64 s2, 7, v6
	s_waitcnt lgkmcnt(0)
	v_add_co_u32 v1, vcc_lo, s0, v1
	s_delay_alu instid0(VALU_DEP_4)
	v_add_co_ci_u32_e32 v2, vcc_lo, s1, v2, vcc_lo
	v_cmp_eq_u32_e32 vcc_lo, 0, v6
	v_cmp_lt_u32_e64 s0, 1, v6
	v_cmp_lt_u32_e64 s1, 3, v6
	global_load_b64 v[3:4], v[1:2], off
	s_waitcnt vmcnt(0)
	v_mov_b32_dpp v7, v3 row_shr:1 row_mask:0xf bank_mask:0xf
	v_mov_b32_dpp v8, v4 row_shr:1 row_mask:0xf bank_mask:0xf
	s_delay_alu instid0(VALU_DEP_2) | instskip(NEXT) | instid1(VALU_DEP_2)
	v_cndmask_b32_e64 v7, v7, 0, vcc_lo
	v_cndmask_b32_e64 v8, v8, 0, vcc_lo
	s_delay_alu instid0(VALU_DEP_2) | instskip(NEXT) | instid1(VALU_DEP_2)
	v_add_nc_u32_e32 v3, v7, v3
	v_add_nc_u32_e32 v4, v8, v4
	s_delay_alu instid0(VALU_DEP_2) | instskip(NEXT) | instid1(VALU_DEP_2)
	v_mov_b32_dpp v7, v3 row_shr:2 row_mask:0xf bank_mask:0xf
	v_mov_b32_dpp v8, v4 row_shr:2 row_mask:0xf bank_mask:0xf
	s_delay_alu instid0(VALU_DEP_2) | instskip(NEXT) | instid1(VALU_DEP_2)
	v_cndmask_b32_e64 v7, 0, v7, s0
	v_cndmask_b32_e64 v8, 0, v8, s0
	s_delay_alu instid0(VALU_DEP_2) | instskip(NEXT) | instid1(VALU_DEP_2)
	v_add_nc_u32_e32 v3, v3, v7
	v_add_nc_u32_e32 v4, v4, v8
	s_delay_alu instid0(VALU_DEP_2) | instskip(NEXT) | instid1(VALU_DEP_2)
	v_mov_b32_dpp v7, v3 row_shr:4 row_mask:0xf bank_mask:0xf
	v_mov_b32_dpp v8, v4 row_shr:4 row_mask:0xf bank_mask:0xf
	s_delay_alu instid0(VALU_DEP_2) | instskip(NEXT) | instid1(VALU_DEP_2)
	v_cndmask_b32_e64 v7, 0, v7, s1
	v_cndmask_b32_e64 v8, 0, v8, s1
	;; [unrolled: 9-line block ×3, first 2 shown]
	v_and_b32_e32 v8, 0x1e0, v0
	s_delay_alu instid0(VALU_DEP_3) | instskip(NEXT) | instid1(VALU_DEP_3)
	v_add_nc_u32_e32 v3, v3, v7
	v_add_nc_u32_e32 v4, v4, v6
	s_delay_alu instid0(VALU_DEP_3)
	v_min_u32_e32 v8, 0x159, v8
	ds_swizzle_b32 v6, v3 offset:swizzle(BROADCAST,32,15)
	ds_swizzle_b32 v7, v4 offset:swizzle(BROADCAST,32,15)
	v_add_nc_u32_e32 v8, 31, v8
	s_waitcnt lgkmcnt(1)
	v_and_b32_e32 v6, v5, v6
	s_waitcnt lgkmcnt(0)
	v_and_b32_e32 v7, v5, v7
	v_lshrrev_b32_e32 v5, 5, v0
	s_delay_alu instid0(VALU_DEP_3) | instskip(NEXT) | instid1(VALU_DEP_3)
	v_add_nc_u32_e32 v3, v3, v6
	v_add_nc_u32_e32 v4, v4, v7
	v_cmpx_eq_u32_e64 v8, v0
	s_cbranch_execz .LBB157_2
; %bb.1:
	v_lshlrev_b32_e32 v6, 3, v5
	ds_store_2addr_b32 v6, v3, v4 offset1:1
.LBB157_2:
	s_or_b32 exec_lo, exec_lo, s4
	s_delay_alu instid0(SALU_CYCLE_1)
	s_mov_b32 s4, exec_lo
	s_waitcnt lgkmcnt(0)
	s_barrier
	buffer_gl0_inv
	v_cmpx_gt_u32_e32 12, v0
	s_cbranch_execz .LBB157_4
; %bb.3:
	v_lshlrev_b32_e32 v8, 3, v0
	ds_load_2addr_b32 v[6:7], v8 offset1:1
	s_waitcnt lgkmcnt(0)
	v_mov_b32_dpp v9, v6 row_shr:1 row_mask:0xf bank_mask:0xf
	v_mov_b32_dpp v10, v7 row_shr:1 row_mask:0xf bank_mask:0xf
	s_delay_alu instid0(VALU_DEP_2) | instskip(NEXT) | instid1(VALU_DEP_2)
	v_cndmask_b32_e64 v9, v9, 0, vcc_lo
	v_cndmask_b32_e64 v10, v10, 0, vcc_lo
	s_delay_alu instid0(VALU_DEP_2) | instskip(NEXT) | instid1(VALU_DEP_2)
	v_add_nc_u32_e32 v6, v9, v6
	v_add_nc_u32_e32 v7, v10, v7
	s_delay_alu instid0(VALU_DEP_2) | instskip(NEXT) | instid1(VALU_DEP_2)
	v_mov_b32_dpp v9, v6 row_shr:2 row_mask:0xf bank_mask:0xf
	v_mov_b32_dpp v10, v7 row_shr:2 row_mask:0xf bank_mask:0xf
	s_delay_alu instid0(VALU_DEP_2) | instskip(NEXT) | instid1(VALU_DEP_2)
	v_cndmask_b32_e64 v9, 0, v9, s0
	v_cndmask_b32_e64 v10, 0, v10, s0
	s_delay_alu instid0(VALU_DEP_2) | instskip(NEXT) | instid1(VALU_DEP_2)
	v_add_nc_u32_e32 v6, v9, v6
	v_add_nc_u32_e32 v7, v10, v7
	s_delay_alu instid0(VALU_DEP_2) | instskip(NEXT) | instid1(VALU_DEP_2)
	v_mov_b32_dpp v9, v6 row_shr:4 row_mask:0xf bank_mask:0xf
	v_mov_b32_dpp v10, v7 row_shr:4 row_mask:0xf bank_mask:0xf
	s_delay_alu instid0(VALU_DEP_2) | instskip(NEXT) | instid1(VALU_DEP_2)
	v_cndmask_b32_e64 v9, 0, v9, s1
	v_cndmask_b32_e64 v10, 0, v10, s1
	;; [unrolled: 9-line block ×3, first 2 shown]
	s_delay_alu instid0(VALU_DEP_2) | instskip(NEXT) | instid1(VALU_DEP_2)
	v_add_nc_u32_e32 v6, v9, v6
	v_add_nc_u32_e32 v7, v10, v7
	ds_store_2addr_b32 v8, v6, v7 offset1:1
.LBB157_4:
	s_or_b32 exec_lo, exec_lo, s4
	s_delay_alu instid0(SALU_CYCLE_1)
	s_mov_b32 s0, exec_lo
	s_waitcnt lgkmcnt(0)
	s_barrier
	buffer_gl0_inv
	v_cmpx_lt_u32_e32 31, v0
	s_cbranch_execz .LBB157_6
; %bb.5:
	v_lshl_add_u32 v0, v5, 3, -8
	ds_load_2addr_b32 v[5:6], v0 offset1:1
	s_waitcnt lgkmcnt(0)
	v_add_nc_u32_e32 v3, v3, v5
	v_add_nc_u32_e32 v4, v4, v6
.LBB157_6:
	s_or_b32 exec_lo, exec_lo, s0
	global_store_b64 v[1:2], v[3:4], off
	s_nop 0
	s_sendmsg sendmsg(MSG_DEALLOC_VGPRS)
	s_endpgm
	.section	.rodata,"a",@progbits
	.p2align	6, 0x0
	.amdhsa_kernel _Z21inclusive_scan_kernelILj377ELN6hipcub18BlockScanAlgorithmE0EN10test_utils16custom_test_typeIjEEEvPT1_
		.amdhsa_group_segment_fixed_size 96
		.amdhsa_private_segment_fixed_size 0
		.amdhsa_kernarg_size 8
		.amdhsa_user_sgpr_count 15
		.amdhsa_user_sgpr_dispatch_ptr 0
		.amdhsa_user_sgpr_queue_ptr 0
		.amdhsa_user_sgpr_kernarg_segment_ptr 1
		.amdhsa_user_sgpr_dispatch_id 0
		.amdhsa_user_sgpr_private_segment_size 0
		.amdhsa_wavefront_size32 1
		.amdhsa_uses_dynamic_stack 0
		.amdhsa_enable_private_segment 0
		.amdhsa_system_sgpr_workgroup_id_x 1
		.amdhsa_system_sgpr_workgroup_id_y 0
		.amdhsa_system_sgpr_workgroup_id_z 0
		.amdhsa_system_sgpr_workgroup_info 0
		.amdhsa_system_vgpr_workitem_id 0
		.amdhsa_next_free_vgpr 11
		.amdhsa_next_free_sgpr 16
		.amdhsa_reserve_vcc 1
		.amdhsa_float_round_mode_32 0
		.amdhsa_float_round_mode_16_64 0
		.amdhsa_float_denorm_mode_32 3
		.amdhsa_float_denorm_mode_16_64 3
		.amdhsa_dx10_clamp 1
		.amdhsa_ieee_mode 1
		.amdhsa_fp16_overflow 0
		.amdhsa_workgroup_processor_mode 1
		.amdhsa_memory_ordered 1
		.amdhsa_forward_progress 0
		.amdhsa_shared_vgpr_count 0
		.amdhsa_exception_fp_ieee_invalid_op 0
		.amdhsa_exception_fp_denorm_src 0
		.amdhsa_exception_fp_ieee_div_zero 0
		.amdhsa_exception_fp_ieee_overflow 0
		.amdhsa_exception_fp_ieee_underflow 0
		.amdhsa_exception_fp_ieee_inexact 0
		.amdhsa_exception_int_div_zero 0
	.end_amdhsa_kernel
	.section	.text._Z21inclusive_scan_kernelILj377ELN6hipcub18BlockScanAlgorithmE0EN10test_utils16custom_test_typeIjEEEvPT1_,"axG",@progbits,_Z21inclusive_scan_kernelILj377ELN6hipcub18BlockScanAlgorithmE0EN10test_utils16custom_test_typeIjEEEvPT1_,comdat
.Lfunc_end157:
	.size	_Z21inclusive_scan_kernelILj377ELN6hipcub18BlockScanAlgorithmE0EN10test_utils16custom_test_typeIjEEEvPT1_, .Lfunc_end157-_Z21inclusive_scan_kernelILj377ELN6hipcub18BlockScanAlgorithmE0EN10test_utils16custom_test_typeIjEEEvPT1_
                                        ; -- End function
	.section	.AMDGPU.csdata,"",@progbits
; Kernel info:
; codeLenInByte = 776
; NumSgprs: 18
; NumVgprs: 11
; ScratchSize: 0
; MemoryBound: 0
; FloatMode: 240
; IeeeMode: 1
; LDSByteSize: 96 bytes/workgroup (compile time only)
; SGPRBlocks: 2
; VGPRBlocks: 1
; NumSGPRsForWavesPerEU: 18
; NumVGPRsForWavesPerEU: 11
; Occupancy: 15
; WaveLimiterHint : 0
; COMPUTE_PGM_RSRC2:SCRATCH_EN: 0
; COMPUTE_PGM_RSRC2:USER_SGPR: 15
; COMPUTE_PGM_RSRC2:TRAP_HANDLER: 0
; COMPUTE_PGM_RSRC2:TGID_X_EN: 1
; COMPUTE_PGM_RSRC2:TGID_Y_EN: 0
; COMPUTE_PGM_RSRC2:TGID_Z_EN: 0
; COMPUTE_PGM_RSRC2:TIDIG_COMP_CNT: 0
	.section	.text._Z21inclusive_scan_kernelILj256ELN6hipcub18BlockScanAlgorithmE0EN10test_utils16custom_test_typeIjEEEvPT1_,"axG",@progbits,_Z21inclusive_scan_kernelILj256ELN6hipcub18BlockScanAlgorithmE0EN10test_utils16custom_test_typeIjEEEvPT1_,comdat
	.protected	_Z21inclusive_scan_kernelILj256ELN6hipcub18BlockScanAlgorithmE0EN10test_utils16custom_test_typeIjEEEvPT1_ ; -- Begin function _Z21inclusive_scan_kernelILj256ELN6hipcub18BlockScanAlgorithmE0EN10test_utils16custom_test_typeIjEEEvPT1_
	.globl	_Z21inclusive_scan_kernelILj256ELN6hipcub18BlockScanAlgorithmE0EN10test_utils16custom_test_typeIjEEEvPT1_
	.p2align	8
	.type	_Z21inclusive_scan_kernelILj256ELN6hipcub18BlockScanAlgorithmE0EN10test_utils16custom_test_typeIjEEEvPT1_,@function
_Z21inclusive_scan_kernelILj256ELN6hipcub18BlockScanAlgorithmE0EN10test_utils16custom_test_typeIjEEEvPT1_: ; @_Z21inclusive_scan_kernelILj256ELN6hipcub18BlockScanAlgorithmE0EN10test_utils16custom_test_typeIjEEEvPT1_
; %bb.0:
	s_load_b64 s[0:1], s[0:1], 0x0
	v_mov_b32_e32 v2, 0
	v_lshl_or_b32 v1, s15, 8, v0
	v_mbcnt_lo_u32_b32 v5, -1, 0
	s_delay_alu instid0(VALU_DEP_2) | instskip(NEXT) | instid1(VALU_DEP_2)
	v_lshlrev_b64 v[1:2], 3, v[1:2]
	v_and_b32_e32 v6, 15, v5
	s_waitcnt lgkmcnt(0)
	s_delay_alu instid0(VALU_DEP_2) | instskip(NEXT) | instid1(VALU_DEP_3)
	v_add_co_u32 v1, vcc_lo, s0, v1
	v_add_co_ci_u32_e32 v2, vcc_lo, s1, v2, vcc_lo
	s_delay_alu instid0(VALU_DEP_3)
	v_cmp_eq_u32_e32 vcc_lo, 0, v6
	s_mov_b32 s0, exec_lo
	global_load_b64 v[3:4], v[1:2], off
	s_waitcnt vmcnt(0)
	v_mov_b32_dpp v7, v3 row_shr:1 row_mask:0xf bank_mask:0xf
	v_mov_b32_dpp v8, v4 row_shr:1 row_mask:0xf bank_mask:0xf
	s_delay_alu instid0(VALU_DEP_2) | instskip(NEXT) | instid1(VALU_DEP_2)
	v_cndmask_b32_e64 v7, v7, 0, vcc_lo
	v_cndmask_b32_e64 v8, v8, 0, vcc_lo
	v_cmp_lt_u32_e32 vcc_lo, 1, v6
	s_delay_alu instid0(VALU_DEP_3) | instskip(NEXT) | instid1(VALU_DEP_1)
	v_add_nc_u32_e32 v3, v7, v3
	v_mov_b32_dpp v7, v3 row_shr:2 row_mask:0xf bank_mask:0xf
	s_delay_alu instid0(VALU_DEP_1) | instskip(NEXT) | instid1(VALU_DEP_1)
	v_cndmask_b32_e32 v7, 0, v7, vcc_lo
	v_add_nc_u32_e32 v3, v3, v7
	s_delay_alu instid0(VALU_DEP_1) | instskip(SKIP_1) | instid1(VALU_DEP_1)
	v_mov_b32_dpp v7, v3 row_shr:4 row_mask:0xf bank_mask:0xf
	v_add_nc_u32_e32 v4, v8, v4
	v_mov_b32_dpp v8, v4 row_shr:2 row_mask:0xf bank_mask:0xf
	s_delay_alu instid0(VALU_DEP_1) | instskip(SKIP_2) | instid1(VALU_DEP_1)
	v_cndmask_b32_e32 v8, 0, v8, vcc_lo
	v_cmp_lt_u32_e32 vcc_lo, 3, v6
	v_cndmask_b32_e32 v7, 0, v7, vcc_lo
	v_add_nc_u32_e32 v3, v3, v7
	s_delay_alu instid0(VALU_DEP_1) | instskip(SKIP_1) | instid1(VALU_DEP_1)
	v_mov_b32_dpp v7, v3 row_shr:8 row_mask:0xf bank_mask:0xf
	v_add_nc_u32_e32 v4, v4, v8
	v_mov_b32_dpp v8, v4 row_shr:4 row_mask:0xf bank_mask:0xf
	s_delay_alu instid0(VALU_DEP_1) | instskip(SKIP_1) | instid1(VALU_DEP_2)
	v_cndmask_b32_e32 v8, 0, v8, vcc_lo
	v_cmp_lt_u32_e32 vcc_lo, 7, v6
	v_dual_cndmask_b32 v7, 0, v7 :: v_dual_add_nc_u32 v4, v4, v8
	s_delay_alu instid0(VALU_DEP_1) | instskip(NEXT) | instid1(VALU_DEP_2)
	v_add_nc_u32_e32 v3, v3, v7
	v_mov_b32_dpp v8, v4 row_shr:8 row_mask:0xf bank_mask:0xf
	s_delay_alu instid0(VALU_DEP_1) | instskip(SKIP_1) | instid1(VALU_DEP_2)
	v_cndmask_b32_e32 v6, 0, v8, vcc_lo
	v_bfe_i32 v8, v5, 4, 1
	v_add_nc_u32_e32 v4, v4, v6
	ds_swizzle_b32 v6, v3 offset:swizzle(BROADCAST,32,15)
	ds_swizzle_b32 v7, v4 offset:swizzle(BROADCAST,32,15)
	s_waitcnt lgkmcnt(1)
	v_and_b32_e32 v9, v8, v6
	v_lshrrev_b32_e32 v6, 5, v0
	s_waitcnt lgkmcnt(0)
	v_and_b32_e32 v7, v8, v7
	v_or_b32_e32 v8, 31, v0
	v_add_nc_u32_e32 v3, v3, v9
	s_delay_alu instid0(VALU_DEP_3) | instskip(NEXT) | instid1(VALU_DEP_3)
	v_add_nc_u32_e32 v4, v4, v7
	v_cmpx_eq_u32_e64 v8, v0
	s_cbranch_execz .LBB158_2
; %bb.1:
	v_lshlrev_b32_e32 v7, 3, v6
	ds_store_2addr_b32 v7, v3, v4 offset1:1
.LBB158_2:
	s_or_b32 exec_lo, exec_lo, s0
	s_delay_alu instid0(SALU_CYCLE_1)
	s_mov_b32 s0, exec_lo
	s_waitcnt lgkmcnt(0)
	s_barrier
	buffer_gl0_inv
	v_cmpx_gt_u32_e32 8, v0
	s_cbranch_execz .LBB158_4
; %bb.3:
	v_lshlrev_b32_e32 v9, 3, v0
	v_and_b32_e32 v5, 7, v5
	ds_load_2addr_b32 v[7:8], v9 offset1:1
	v_cmp_eq_u32_e32 vcc_lo, 0, v5
	s_waitcnt lgkmcnt(0)
	v_mov_b32_dpp v10, v7 row_shr:1 row_mask:0xf bank_mask:0xf
	v_mov_b32_dpp v11, v8 row_shr:1 row_mask:0xf bank_mask:0xf
	s_delay_alu instid0(VALU_DEP_2) | instskip(NEXT) | instid1(VALU_DEP_2)
	v_cndmask_b32_e64 v10, v10, 0, vcc_lo
	v_cndmask_b32_e64 v11, v11, 0, vcc_lo
	v_cmp_lt_u32_e32 vcc_lo, 1, v5
	s_delay_alu instid0(VALU_DEP_3) | instskip(NEXT) | instid1(VALU_DEP_3)
	v_add_nc_u32_e32 v7, v10, v7
	v_add_nc_u32_e32 v8, v11, v8
	s_delay_alu instid0(VALU_DEP_2) | instskip(NEXT) | instid1(VALU_DEP_2)
	v_mov_b32_dpp v10, v7 row_shr:2 row_mask:0xf bank_mask:0xf
	v_mov_b32_dpp v11, v8 row_shr:2 row_mask:0xf bank_mask:0xf
	s_delay_alu instid0(VALU_DEP_1) | instskip(SKIP_1) | instid1(VALU_DEP_2)
	v_dual_cndmask_b32 v10, 0, v10 :: v_dual_cndmask_b32 v11, 0, v11
	v_cmp_lt_u32_e32 vcc_lo, 3, v5
	v_add_nc_u32_e32 v7, v10, v7
	s_delay_alu instid0(VALU_DEP_1) | instskip(NEXT) | instid1(VALU_DEP_1)
	v_mov_b32_dpp v10, v7 row_shr:4 row_mask:0xf bank_mask:0xf
	v_dual_cndmask_b32 v5, 0, v10 :: v_dual_add_nc_u32 v8, v11, v8
	s_delay_alu instid0(VALU_DEP_1) | instskip(NEXT) | instid1(VALU_DEP_2)
	v_mov_b32_dpp v11, v8 row_shr:4 row_mask:0xf bank_mask:0xf
	v_add_nc_u32_e32 v5, v5, v7
	s_delay_alu instid0(VALU_DEP_2) | instskip(NEXT) | instid1(VALU_DEP_1)
	v_cndmask_b32_e32 v10, 0, v11, vcc_lo
	v_add_nc_u32_e32 v7, v10, v8
	ds_store_2addr_b32 v9, v5, v7 offset1:1
.LBB158_4:
	s_or_b32 exec_lo, exec_lo, s0
	s_delay_alu instid0(SALU_CYCLE_1)
	s_mov_b32 s0, exec_lo
	s_waitcnt lgkmcnt(0)
	s_barrier
	buffer_gl0_inv
	v_cmpx_lt_u32_e32 31, v0
	s_cbranch_execz .LBB158_6
; %bb.5:
	v_lshl_add_u32 v0, v6, 3, -8
	ds_load_2addr_b32 v[5:6], v0 offset1:1
	s_waitcnt lgkmcnt(0)
	v_add_nc_u32_e32 v3, v3, v5
	v_add_nc_u32_e32 v4, v4, v6
.LBB158_6:
	s_or_b32 exec_lo, exec_lo, s0
	global_store_b64 v[1:2], v[3:4], off
	s_nop 0
	s_sendmsg sendmsg(MSG_DEALLOC_VGPRS)
	s_endpgm
	.section	.rodata,"a",@progbits
	.p2align	6, 0x0
	.amdhsa_kernel _Z21inclusive_scan_kernelILj256ELN6hipcub18BlockScanAlgorithmE0EN10test_utils16custom_test_typeIjEEEvPT1_
		.amdhsa_group_segment_fixed_size 64
		.amdhsa_private_segment_fixed_size 0
		.amdhsa_kernarg_size 8
		.amdhsa_user_sgpr_count 15
		.amdhsa_user_sgpr_dispatch_ptr 0
		.amdhsa_user_sgpr_queue_ptr 0
		.amdhsa_user_sgpr_kernarg_segment_ptr 1
		.amdhsa_user_sgpr_dispatch_id 0
		.amdhsa_user_sgpr_private_segment_size 0
		.amdhsa_wavefront_size32 1
		.amdhsa_uses_dynamic_stack 0
		.amdhsa_enable_private_segment 0
		.amdhsa_system_sgpr_workgroup_id_x 1
		.amdhsa_system_sgpr_workgroup_id_y 0
		.amdhsa_system_sgpr_workgroup_id_z 0
		.amdhsa_system_sgpr_workgroup_info 0
		.amdhsa_system_vgpr_workitem_id 0
		.amdhsa_next_free_vgpr 12
		.amdhsa_next_free_sgpr 16
		.amdhsa_reserve_vcc 1
		.amdhsa_float_round_mode_32 0
		.amdhsa_float_round_mode_16_64 0
		.amdhsa_float_denorm_mode_32 3
		.amdhsa_float_denorm_mode_16_64 3
		.amdhsa_dx10_clamp 1
		.amdhsa_ieee_mode 1
		.amdhsa_fp16_overflow 0
		.amdhsa_workgroup_processor_mode 1
		.amdhsa_memory_ordered 1
		.amdhsa_forward_progress 0
		.amdhsa_shared_vgpr_count 0
		.amdhsa_exception_fp_ieee_invalid_op 0
		.amdhsa_exception_fp_denorm_src 0
		.amdhsa_exception_fp_ieee_div_zero 0
		.amdhsa_exception_fp_ieee_overflow 0
		.amdhsa_exception_fp_ieee_underflow 0
		.amdhsa_exception_fp_ieee_inexact 0
		.amdhsa_exception_int_div_zero 0
	.end_amdhsa_kernel
	.section	.text._Z21inclusive_scan_kernelILj256ELN6hipcub18BlockScanAlgorithmE0EN10test_utils16custom_test_typeIjEEEvPT1_,"axG",@progbits,_Z21inclusive_scan_kernelILj256ELN6hipcub18BlockScanAlgorithmE0EN10test_utils16custom_test_typeIjEEEvPT1_,comdat
.Lfunc_end158:
	.size	_Z21inclusive_scan_kernelILj256ELN6hipcub18BlockScanAlgorithmE0EN10test_utils16custom_test_typeIjEEEvPT1_, .Lfunc_end158-_Z21inclusive_scan_kernelILj256ELN6hipcub18BlockScanAlgorithmE0EN10test_utils16custom_test_typeIjEEEvPT1_
                                        ; -- End function
	.section	.AMDGPU.csdata,"",@progbits
; Kernel info:
; codeLenInByte = 652
; NumSgprs: 18
; NumVgprs: 12
; ScratchSize: 0
; MemoryBound: 0
; FloatMode: 240
; IeeeMode: 1
; LDSByteSize: 64 bytes/workgroup (compile time only)
; SGPRBlocks: 2
; VGPRBlocks: 1
; NumSGPRsForWavesPerEU: 18
; NumVGPRsForWavesPerEU: 12
; Occupancy: 16
; WaveLimiterHint : 0
; COMPUTE_PGM_RSRC2:SCRATCH_EN: 0
; COMPUTE_PGM_RSRC2:USER_SGPR: 15
; COMPUTE_PGM_RSRC2:TRAP_HANDLER: 0
; COMPUTE_PGM_RSRC2:TGID_X_EN: 1
; COMPUTE_PGM_RSRC2:TGID_Y_EN: 0
; COMPUTE_PGM_RSRC2:TGID_Z_EN: 0
; COMPUTE_PGM_RSRC2:TIDIG_COMP_CNT: 0
	.section	.text._Z21inclusive_scan_kernelILj64ELN6hipcub18BlockScanAlgorithmE0EN10test_utils16custom_test_typeIjEEEvPT1_,"axG",@progbits,_Z21inclusive_scan_kernelILj64ELN6hipcub18BlockScanAlgorithmE0EN10test_utils16custom_test_typeIjEEEvPT1_,comdat
	.protected	_Z21inclusive_scan_kernelILj64ELN6hipcub18BlockScanAlgorithmE0EN10test_utils16custom_test_typeIjEEEvPT1_ ; -- Begin function _Z21inclusive_scan_kernelILj64ELN6hipcub18BlockScanAlgorithmE0EN10test_utils16custom_test_typeIjEEEvPT1_
	.globl	_Z21inclusive_scan_kernelILj64ELN6hipcub18BlockScanAlgorithmE0EN10test_utils16custom_test_typeIjEEEvPT1_
	.p2align	8
	.type	_Z21inclusive_scan_kernelILj64ELN6hipcub18BlockScanAlgorithmE0EN10test_utils16custom_test_typeIjEEEvPT1_,@function
_Z21inclusive_scan_kernelILj64ELN6hipcub18BlockScanAlgorithmE0EN10test_utils16custom_test_typeIjEEEvPT1_: ; @_Z21inclusive_scan_kernelILj64ELN6hipcub18BlockScanAlgorithmE0EN10test_utils16custom_test_typeIjEEEvPT1_
; %bb.0:
	s_load_b64 s[0:1], s[0:1], 0x0
	v_mov_b32_e32 v2, 0
	v_lshl_or_b32 v1, s15, 6, v0
	v_mbcnt_lo_u32_b32 v5, -1, 0
	s_delay_alu instid0(VALU_DEP_2) | instskip(NEXT) | instid1(VALU_DEP_2)
	v_lshlrev_b64 v[1:2], 3, v[1:2]
	v_and_b32_e32 v6, 15, v5
	s_waitcnt lgkmcnt(0)
	s_delay_alu instid0(VALU_DEP_2) | instskip(NEXT) | instid1(VALU_DEP_3)
	v_add_co_u32 v1, vcc_lo, s0, v1
	v_add_co_ci_u32_e32 v2, vcc_lo, s1, v2, vcc_lo
	s_delay_alu instid0(VALU_DEP_3)
	v_cmp_eq_u32_e32 vcc_lo, 0, v6
	s_mov_b32 s0, exec_lo
	global_load_b64 v[3:4], v[1:2], off
	s_waitcnt vmcnt(0)
	v_mov_b32_dpp v7, v3 row_shr:1 row_mask:0xf bank_mask:0xf
	v_mov_b32_dpp v8, v4 row_shr:1 row_mask:0xf bank_mask:0xf
	s_delay_alu instid0(VALU_DEP_2) | instskip(NEXT) | instid1(VALU_DEP_2)
	v_cndmask_b32_e64 v7, v7, 0, vcc_lo
	v_cndmask_b32_e64 v8, v8, 0, vcc_lo
	v_cmp_lt_u32_e32 vcc_lo, 1, v6
	s_delay_alu instid0(VALU_DEP_3) | instskip(NEXT) | instid1(VALU_DEP_1)
	v_add_nc_u32_e32 v3, v7, v3
	v_mov_b32_dpp v7, v3 row_shr:2 row_mask:0xf bank_mask:0xf
	s_delay_alu instid0(VALU_DEP_1) | instskip(NEXT) | instid1(VALU_DEP_1)
	v_cndmask_b32_e32 v7, 0, v7, vcc_lo
	v_add_nc_u32_e32 v3, v3, v7
	s_delay_alu instid0(VALU_DEP_1) | instskip(SKIP_1) | instid1(VALU_DEP_1)
	v_mov_b32_dpp v7, v3 row_shr:4 row_mask:0xf bank_mask:0xf
	v_add_nc_u32_e32 v4, v8, v4
	v_mov_b32_dpp v8, v4 row_shr:2 row_mask:0xf bank_mask:0xf
	s_delay_alu instid0(VALU_DEP_1) | instskip(SKIP_2) | instid1(VALU_DEP_1)
	v_cndmask_b32_e32 v8, 0, v8, vcc_lo
	v_cmp_lt_u32_e32 vcc_lo, 3, v6
	v_cndmask_b32_e32 v7, 0, v7, vcc_lo
	v_add_nc_u32_e32 v3, v3, v7
	s_delay_alu instid0(VALU_DEP_1) | instskip(SKIP_1) | instid1(VALU_DEP_1)
	v_mov_b32_dpp v7, v3 row_shr:8 row_mask:0xf bank_mask:0xf
	v_add_nc_u32_e32 v4, v4, v8
	v_mov_b32_dpp v8, v4 row_shr:4 row_mask:0xf bank_mask:0xf
	s_delay_alu instid0(VALU_DEP_1) | instskip(SKIP_1) | instid1(VALU_DEP_2)
	v_cndmask_b32_e32 v8, 0, v8, vcc_lo
	v_cmp_lt_u32_e32 vcc_lo, 7, v6
	v_dual_cndmask_b32 v7, 0, v7 :: v_dual_add_nc_u32 v4, v4, v8
	s_delay_alu instid0(VALU_DEP_1) | instskip(NEXT) | instid1(VALU_DEP_2)
	v_add_nc_u32_e32 v3, v3, v7
	v_mov_b32_dpp v8, v4 row_shr:8 row_mask:0xf bank_mask:0xf
	s_delay_alu instid0(VALU_DEP_1) | instskip(SKIP_1) | instid1(VALU_DEP_2)
	v_cndmask_b32_e32 v6, 0, v8, vcc_lo
	v_bfe_i32 v8, v5, 4, 1
	v_add_nc_u32_e32 v4, v4, v6
	ds_swizzle_b32 v6, v3 offset:swizzle(BROADCAST,32,15)
	ds_swizzle_b32 v7, v4 offset:swizzle(BROADCAST,32,15)
	s_waitcnt lgkmcnt(1)
	v_and_b32_e32 v9, v8, v6
	v_lshrrev_b32_e32 v6, 5, v0
	s_waitcnt lgkmcnt(0)
	v_and_b32_e32 v7, v8, v7
	v_or_b32_e32 v8, 31, v0
	v_add_nc_u32_e32 v3, v3, v9
	s_delay_alu instid0(VALU_DEP_3) | instskip(NEXT) | instid1(VALU_DEP_3)
	v_add_nc_u32_e32 v4, v4, v7
	v_cmpx_eq_u32_e64 v8, v0
	s_cbranch_execz .LBB159_2
; %bb.1:
	v_lshlrev_b32_e32 v7, 3, v6
	ds_store_2addr_b32 v7, v3, v4 offset1:1
.LBB159_2:
	s_or_b32 exec_lo, exec_lo, s0
	s_delay_alu instid0(SALU_CYCLE_1)
	s_mov_b32 s0, exec_lo
	s_waitcnt lgkmcnt(0)
	s_barrier
	buffer_gl0_inv
	v_cmpx_gt_u32_e32 2, v0
	s_cbranch_execz .LBB159_4
; %bb.3:
	v_lshlrev_b32_e32 v9, 3, v0
	v_bfe_i32 v5, v5, 0, 1
	ds_load_2addr_b32 v[7:8], v9 offset1:1
	s_waitcnt lgkmcnt(0)
	v_mov_b32_dpp v10, v7 row_shr:1 row_mask:0xf bank_mask:0xf
	v_mov_b32_dpp v11, v8 row_shr:1 row_mask:0xf bank_mask:0xf
	s_delay_alu instid0(VALU_DEP_2) | instskip(NEXT) | instid1(VALU_DEP_2)
	v_and_b32_e32 v10, v5, v10
	v_and_b32_e32 v5, v5, v11
	s_delay_alu instid0(VALU_DEP_2) | instskip(NEXT) | instid1(VALU_DEP_2)
	v_add_nc_u32_e32 v7, v10, v7
	v_add_nc_u32_e32 v5, v5, v8
	ds_store_2addr_b32 v9, v7, v5 offset1:1
.LBB159_4:
	s_or_b32 exec_lo, exec_lo, s0
	s_delay_alu instid0(SALU_CYCLE_1)
	s_mov_b32 s0, exec_lo
	s_waitcnt lgkmcnt(0)
	s_barrier
	buffer_gl0_inv
	v_cmpx_lt_u32_e32 31, v0
	s_cbranch_execz .LBB159_6
; %bb.5:
	v_lshl_add_u32 v0, v6, 3, -8
	ds_load_2addr_b32 v[5:6], v0 offset1:1
	s_waitcnt lgkmcnt(0)
	v_add_nc_u32_e32 v3, v3, v5
	v_add_nc_u32_e32 v4, v4, v6
.LBB159_6:
	s_or_b32 exec_lo, exec_lo, s0
	global_store_b64 v[1:2], v[3:4], off
	s_nop 0
	s_sendmsg sendmsg(MSG_DEALLOC_VGPRS)
	s_endpgm
	.section	.rodata,"a",@progbits
	.p2align	6, 0x0
	.amdhsa_kernel _Z21inclusive_scan_kernelILj64ELN6hipcub18BlockScanAlgorithmE0EN10test_utils16custom_test_typeIjEEEvPT1_
		.amdhsa_group_segment_fixed_size 16
		.amdhsa_private_segment_fixed_size 0
		.amdhsa_kernarg_size 8
		.amdhsa_user_sgpr_count 15
		.amdhsa_user_sgpr_dispatch_ptr 0
		.amdhsa_user_sgpr_queue_ptr 0
		.amdhsa_user_sgpr_kernarg_segment_ptr 1
		.amdhsa_user_sgpr_dispatch_id 0
		.amdhsa_user_sgpr_private_segment_size 0
		.amdhsa_wavefront_size32 1
		.amdhsa_uses_dynamic_stack 0
		.amdhsa_enable_private_segment 0
		.amdhsa_system_sgpr_workgroup_id_x 1
		.amdhsa_system_sgpr_workgroup_id_y 0
		.amdhsa_system_sgpr_workgroup_id_z 0
		.amdhsa_system_sgpr_workgroup_info 0
		.amdhsa_system_vgpr_workitem_id 0
		.amdhsa_next_free_vgpr 12
		.amdhsa_next_free_sgpr 16
		.amdhsa_reserve_vcc 1
		.amdhsa_float_round_mode_32 0
		.amdhsa_float_round_mode_16_64 0
		.amdhsa_float_denorm_mode_32 3
		.amdhsa_float_denorm_mode_16_64 3
		.amdhsa_dx10_clamp 1
		.amdhsa_ieee_mode 1
		.amdhsa_fp16_overflow 0
		.amdhsa_workgroup_processor_mode 1
		.amdhsa_memory_ordered 1
		.amdhsa_forward_progress 0
		.amdhsa_shared_vgpr_count 0
		.amdhsa_exception_fp_ieee_invalid_op 0
		.amdhsa_exception_fp_denorm_src 0
		.amdhsa_exception_fp_ieee_div_zero 0
		.amdhsa_exception_fp_ieee_overflow 0
		.amdhsa_exception_fp_ieee_underflow 0
		.amdhsa_exception_fp_ieee_inexact 0
		.amdhsa_exception_int_div_zero 0
	.end_amdhsa_kernel
	.section	.text._Z21inclusive_scan_kernelILj64ELN6hipcub18BlockScanAlgorithmE0EN10test_utils16custom_test_typeIjEEEvPT1_,"axG",@progbits,_Z21inclusive_scan_kernelILj64ELN6hipcub18BlockScanAlgorithmE0EN10test_utils16custom_test_typeIjEEEvPT1_,comdat
.Lfunc_end159:
	.size	_Z21inclusive_scan_kernelILj64ELN6hipcub18BlockScanAlgorithmE0EN10test_utils16custom_test_typeIjEEEvPT1_, .Lfunc_end159-_Z21inclusive_scan_kernelILj64ELN6hipcub18BlockScanAlgorithmE0EN10test_utils16custom_test_typeIjEEEvPT1_
                                        ; -- End function
	.section	.AMDGPU.csdata,"",@progbits
; Kernel info:
; codeLenInByte = 552
; NumSgprs: 18
; NumVgprs: 12
; ScratchSize: 0
; MemoryBound: 0
; FloatMode: 240
; IeeeMode: 1
; LDSByteSize: 16 bytes/workgroup (compile time only)
; SGPRBlocks: 2
; VGPRBlocks: 1
; NumSGPRsForWavesPerEU: 18
; NumVGPRsForWavesPerEU: 12
; Occupancy: 16
; WaveLimiterHint : 0
; COMPUTE_PGM_RSRC2:SCRATCH_EN: 0
; COMPUTE_PGM_RSRC2:USER_SGPR: 15
; COMPUTE_PGM_RSRC2:TRAP_HANDLER: 0
; COMPUTE_PGM_RSRC2:TGID_X_EN: 1
; COMPUTE_PGM_RSRC2:TGID_Y_EN: 0
; COMPUTE_PGM_RSRC2:TGID_Z_EN: 0
; COMPUTE_PGM_RSRC2:TIDIG_COMP_CNT: 0
	.section	.text._Z21inclusive_scan_kernelILj255ELN6hipcub18BlockScanAlgorithmE0EN10test_utils16custom_test_typeIiEEEvPT1_,"axG",@progbits,_Z21inclusive_scan_kernelILj255ELN6hipcub18BlockScanAlgorithmE0EN10test_utils16custom_test_typeIiEEEvPT1_,comdat
	.protected	_Z21inclusive_scan_kernelILj255ELN6hipcub18BlockScanAlgorithmE0EN10test_utils16custom_test_typeIiEEEvPT1_ ; -- Begin function _Z21inclusive_scan_kernelILj255ELN6hipcub18BlockScanAlgorithmE0EN10test_utils16custom_test_typeIiEEEvPT1_
	.globl	_Z21inclusive_scan_kernelILj255ELN6hipcub18BlockScanAlgorithmE0EN10test_utils16custom_test_typeIiEEEvPT1_
	.p2align	8
	.type	_Z21inclusive_scan_kernelILj255ELN6hipcub18BlockScanAlgorithmE0EN10test_utils16custom_test_typeIiEEEvPT1_,@function
_Z21inclusive_scan_kernelILj255ELN6hipcub18BlockScanAlgorithmE0EN10test_utils16custom_test_typeIiEEEvPT1_: ; @_Z21inclusive_scan_kernelILj255ELN6hipcub18BlockScanAlgorithmE0EN10test_utils16custom_test_typeIiEEEvPT1_
; %bb.0:
	s_load_b64 s[0:1], s[0:1], 0x0
	v_mad_u64_u32 v[1:2], null, 0xff, s15, v[0:1]
	v_mov_b32_e32 v2, 0
	v_mbcnt_lo_u32_b32 v5, -1, 0
	s_delay_alu instid0(VALU_DEP_1) | instskip(NEXT) | instid1(VALU_DEP_3)
	v_and_b32_e32 v6, 15, v5
	v_lshlrev_b64 v[1:2], 3, v[1:2]
	v_bfe_i32 v9, v5, 4, 1
	s_waitcnt lgkmcnt(0)
	s_delay_alu instid0(VALU_DEP_2) | instskip(NEXT) | instid1(VALU_DEP_3)
	v_add_co_u32 v1, vcc_lo, s0, v1
	v_add_co_ci_u32_e32 v2, vcc_lo, s1, v2, vcc_lo
	v_cmp_eq_u32_e32 vcc_lo, 0, v6
	s_mov_b32 s0, exec_lo
	global_load_b64 v[3:4], v[1:2], off
	s_waitcnt vmcnt(0)
	v_mov_b32_dpp v7, v3 row_shr:1 row_mask:0xf bank_mask:0xf
	v_mov_b32_dpp v8, v4 row_shr:1 row_mask:0xf bank_mask:0xf
	s_delay_alu instid0(VALU_DEP_2) | instskip(NEXT) | instid1(VALU_DEP_2)
	v_cndmask_b32_e64 v7, v7, 0, vcc_lo
	v_cndmask_b32_e64 v8, v8, 0, vcc_lo
	v_cmp_lt_u32_e32 vcc_lo, 1, v6
	s_delay_alu instid0(VALU_DEP_3) | instskip(NEXT) | instid1(VALU_DEP_1)
	v_add_nc_u32_e32 v3, v7, v3
	v_mov_b32_dpp v7, v3 row_shr:2 row_mask:0xf bank_mask:0xf
	s_delay_alu instid0(VALU_DEP_1) | instskip(NEXT) | instid1(VALU_DEP_1)
	v_cndmask_b32_e32 v7, 0, v7, vcc_lo
	v_add_nc_u32_e32 v3, v3, v7
	s_delay_alu instid0(VALU_DEP_1) | instskip(SKIP_1) | instid1(VALU_DEP_1)
	v_mov_b32_dpp v7, v3 row_shr:4 row_mask:0xf bank_mask:0xf
	v_add_nc_u32_e32 v4, v8, v4
	v_mov_b32_dpp v8, v4 row_shr:2 row_mask:0xf bank_mask:0xf
	s_delay_alu instid0(VALU_DEP_1) | instskip(SKIP_2) | instid1(VALU_DEP_1)
	v_cndmask_b32_e32 v8, 0, v8, vcc_lo
	v_cmp_lt_u32_e32 vcc_lo, 3, v6
	v_cndmask_b32_e32 v7, 0, v7, vcc_lo
	v_add_nc_u32_e32 v3, v3, v7
	s_delay_alu instid0(VALU_DEP_1) | instskip(SKIP_1) | instid1(VALU_DEP_1)
	v_mov_b32_dpp v7, v3 row_shr:8 row_mask:0xf bank_mask:0xf
	v_add_nc_u32_e32 v4, v4, v8
	v_mov_b32_dpp v8, v4 row_shr:4 row_mask:0xf bank_mask:0xf
	s_delay_alu instid0(VALU_DEP_1) | instskip(SKIP_1) | instid1(VALU_DEP_2)
	v_cndmask_b32_e32 v8, 0, v8, vcc_lo
	v_cmp_lt_u32_e32 vcc_lo, 7, v6
	v_dual_cndmask_b32 v7, 0, v7 :: v_dual_add_nc_u32 v4, v4, v8
	s_delay_alu instid0(VALU_DEP_1) | instskip(NEXT) | instid1(VALU_DEP_2)
	v_add_nc_u32_e32 v3, v3, v7
	v_mov_b32_dpp v8, v4 row_shr:8 row_mask:0xf bank_mask:0xf
	s_delay_alu instid0(VALU_DEP_1) | instskip(SKIP_1) | instid1(VALU_DEP_2)
	v_cndmask_b32_e32 v6, 0, v8, vcc_lo
	v_and_b32_e32 v8, 0xe0, v0
	v_add_nc_u32_e32 v4, v4, v6
	ds_swizzle_b32 v6, v3 offset:swizzle(BROADCAST,32,15)
	v_min_u32_e32 v8, 0xdf, v8
	ds_swizzle_b32 v7, v4 offset:swizzle(BROADCAST,32,15)
	v_add_nc_u32_e32 v8, 31, v8
	s_waitcnt lgkmcnt(1)
	v_and_b32_e32 v10, v9, v6
	v_lshrrev_b32_e32 v6, 5, v0
	s_waitcnt lgkmcnt(0)
	v_and_b32_e32 v7, v9, v7
	s_delay_alu instid0(VALU_DEP_3) | instskip(NEXT) | instid1(VALU_DEP_2)
	v_add_nc_u32_e32 v3, v3, v10
	v_add_nc_u32_e32 v4, v4, v7
	v_cmpx_eq_u32_e64 v8, v0
	s_cbranch_execz .LBB160_2
; %bb.1:
	v_lshlrev_b32_e32 v7, 3, v6
	ds_store_2addr_b32 v7, v3, v4 offset1:1
.LBB160_2:
	s_or_b32 exec_lo, exec_lo, s0
	s_delay_alu instid0(SALU_CYCLE_1)
	s_mov_b32 s0, exec_lo
	s_waitcnt lgkmcnt(0)
	s_barrier
	buffer_gl0_inv
	v_cmpx_gt_u32_e32 8, v0
	s_cbranch_execz .LBB160_4
; %bb.3:
	v_lshlrev_b32_e32 v9, 3, v0
	v_and_b32_e32 v5, 7, v5
	ds_load_2addr_b32 v[7:8], v9 offset1:1
	v_cmp_eq_u32_e32 vcc_lo, 0, v5
	s_waitcnt lgkmcnt(0)
	v_mov_b32_dpp v10, v7 row_shr:1 row_mask:0xf bank_mask:0xf
	v_mov_b32_dpp v11, v8 row_shr:1 row_mask:0xf bank_mask:0xf
	s_delay_alu instid0(VALU_DEP_2) | instskip(NEXT) | instid1(VALU_DEP_2)
	v_cndmask_b32_e64 v10, v10, 0, vcc_lo
	v_cndmask_b32_e64 v11, v11, 0, vcc_lo
	v_cmp_lt_u32_e32 vcc_lo, 1, v5
	s_delay_alu instid0(VALU_DEP_3) | instskip(NEXT) | instid1(VALU_DEP_3)
	v_add_nc_u32_e32 v7, v10, v7
	v_add_nc_u32_e32 v8, v11, v8
	s_delay_alu instid0(VALU_DEP_2) | instskip(NEXT) | instid1(VALU_DEP_2)
	v_mov_b32_dpp v10, v7 row_shr:2 row_mask:0xf bank_mask:0xf
	v_mov_b32_dpp v11, v8 row_shr:2 row_mask:0xf bank_mask:0xf
	s_delay_alu instid0(VALU_DEP_1) | instskip(SKIP_1) | instid1(VALU_DEP_2)
	v_dual_cndmask_b32 v10, 0, v10 :: v_dual_cndmask_b32 v11, 0, v11
	v_cmp_lt_u32_e32 vcc_lo, 3, v5
	v_add_nc_u32_e32 v7, v10, v7
	s_delay_alu instid0(VALU_DEP_1) | instskip(NEXT) | instid1(VALU_DEP_1)
	v_mov_b32_dpp v10, v7 row_shr:4 row_mask:0xf bank_mask:0xf
	v_dual_cndmask_b32 v5, 0, v10 :: v_dual_add_nc_u32 v8, v11, v8
	s_delay_alu instid0(VALU_DEP_1) | instskip(NEXT) | instid1(VALU_DEP_2)
	v_mov_b32_dpp v11, v8 row_shr:4 row_mask:0xf bank_mask:0xf
	v_add_nc_u32_e32 v5, v5, v7
	s_delay_alu instid0(VALU_DEP_2) | instskip(NEXT) | instid1(VALU_DEP_1)
	v_cndmask_b32_e32 v10, 0, v11, vcc_lo
	v_add_nc_u32_e32 v7, v10, v8
	ds_store_2addr_b32 v9, v5, v7 offset1:1
.LBB160_4:
	s_or_b32 exec_lo, exec_lo, s0
	s_delay_alu instid0(SALU_CYCLE_1)
	s_mov_b32 s0, exec_lo
	s_waitcnt lgkmcnt(0)
	s_barrier
	buffer_gl0_inv
	v_cmpx_lt_u32_e32 31, v0
	s_cbranch_execz .LBB160_6
; %bb.5:
	v_lshl_add_u32 v0, v6, 3, -8
	ds_load_2addr_b32 v[5:6], v0 offset1:1
	s_waitcnt lgkmcnt(0)
	v_add_nc_u32_e32 v3, v3, v5
	v_add_nc_u32_e32 v4, v4, v6
.LBB160_6:
	s_or_b32 exec_lo, exec_lo, s0
	global_store_b64 v[1:2], v[3:4], off
	s_nop 0
	s_sendmsg sendmsg(MSG_DEALLOC_VGPRS)
	s_endpgm
	.section	.rodata,"a",@progbits
	.p2align	6, 0x0
	.amdhsa_kernel _Z21inclusive_scan_kernelILj255ELN6hipcub18BlockScanAlgorithmE0EN10test_utils16custom_test_typeIiEEEvPT1_
		.amdhsa_group_segment_fixed_size 64
		.amdhsa_private_segment_fixed_size 0
		.amdhsa_kernarg_size 8
		.amdhsa_user_sgpr_count 15
		.amdhsa_user_sgpr_dispatch_ptr 0
		.amdhsa_user_sgpr_queue_ptr 0
		.amdhsa_user_sgpr_kernarg_segment_ptr 1
		.amdhsa_user_sgpr_dispatch_id 0
		.amdhsa_user_sgpr_private_segment_size 0
		.amdhsa_wavefront_size32 1
		.amdhsa_uses_dynamic_stack 0
		.amdhsa_enable_private_segment 0
		.amdhsa_system_sgpr_workgroup_id_x 1
		.amdhsa_system_sgpr_workgroup_id_y 0
		.amdhsa_system_sgpr_workgroup_id_z 0
		.amdhsa_system_sgpr_workgroup_info 0
		.amdhsa_system_vgpr_workitem_id 0
		.amdhsa_next_free_vgpr 12
		.amdhsa_next_free_sgpr 16
		.amdhsa_reserve_vcc 1
		.amdhsa_float_round_mode_32 0
		.amdhsa_float_round_mode_16_64 0
		.amdhsa_float_denorm_mode_32 3
		.amdhsa_float_denorm_mode_16_64 3
		.amdhsa_dx10_clamp 1
		.amdhsa_ieee_mode 1
		.amdhsa_fp16_overflow 0
		.amdhsa_workgroup_processor_mode 1
		.amdhsa_memory_ordered 1
		.amdhsa_forward_progress 0
		.amdhsa_shared_vgpr_count 0
		.amdhsa_exception_fp_ieee_invalid_op 0
		.amdhsa_exception_fp_denorm_src 0
		.amdhsa_exception_fp_ieee_div_zero 0
		.amdhsa_exception_fp_ieee_overflow 0
		.amdhsa_exception_fp_ieee_underflow 0
		.amdhsa_exception_fp_ieee_inexact 0
		.amdhsa_exception_int_div_zero 0
	.end_amdhsa_kernel
	.section	.text._Z21inclusive_scan_kernelILj255ELN6hipcub18BlockScanAlgorithmE0EN10test_utils16custom_test_typeIiEEEvPT1_,"axG",@progbits,_Z21inclusive_scan_kernelILj255ELN6hipcub18BlockScanAlgorithmE0EN10test_utils16custom_test_typeIiEEEvPT1_,comdat
.Lfunc_end160:
	.size	_Z21inclusive_scan_kernelILj255ELN6hipcub18BlockScanAlgorithmE0EN10test_utils16custom_test_typeIiEEEvPT1_, .Lfunc_end160-_Z21inclusive_scan_kernelILj255ELN6hipcub18BlockScanAlgorithmE0EN10test_utils16custom_test_typeIiEEEvPT1_
                                        ; -- End function
	.section	.AMDGPU.csdata,"",@progbits
; Kernel info:
; codeLenInByte = 668
; NumSgprs: 18
; NumVgprs: 12
; ScratchSize: 0
; MemoryBound: 0
; FloatMode: 240
; IeeeMode: 1
; LDSByteSize: 64 bytes/workgroup (compile time only)
; SGPRBlocks: 2
; VGPRBlocks: 1
; NumSGPRsForWavesPerEU: 18
; NumVGPRsForWavesPerEU: 12
; Occupancy: 16
; WaveLimiterHint : 0
; COMPUTE_PGM_RSRC2:SCRATCH_EN: 0
; COMPUTE_PGM_RSRC2:USER_SGPR: 15
; COMPUTE_PGM_RSRC2:TRAP_HANDLER: 0
; COMPUTE_PGM_RSRC2:TGID_X_EN: 1
; COMPUTE_PGM_RSRC2:TGID_Y_EN: 0
; COMPUTE_PGM_RSRC2:TGID_Z_EN: 0
; COMPUTE_PGM_RSRC2:TIDIG_COMP_CNT: 0
	.section	.text._Z21inclusive_scan_kernelILj162ELN6hipcub18BlockScanAlgorithmE0EN10test_utils16custom_test_typeIiEEEvPT1_,"axG",@progbits,_Z21inclusive_scan_kernelILj162ELN6hipcub18BlockScanAlgorithmE0EN10test_utils16custom_test_typeIiEEEvPT1_,comdat
	.protected	_Z21inclusive_scan_kernelILj162ELN6hipcub18BlockScanAlgorithmE0EN10test_utils16custom_test_typeIiEEEvPT1_ ; -- Begin function _Z21inclusive_scan_kernelILj162ELN6hipcub18BlockScanAlgorithmE0EN10test_utils16custom_test_typeIiEEEvPT1_
	.globl	_Z21inclusive_scan_kernelILj162ELN6hipcub18BlockScanAlgorithmE0EN10test_utils16custom_test_typeIiEEEvPT1_
	.p2align	8
	.type	_Z21inclusive_scan_kernelILj162ELN6hipcub18BlockScanAlgorithmE0EN10test_utils16custom_test_typeIiEEEvPT1_,@function
_Z21inclusive_scan_kernelILj162ELN6hipcub18BlockScanAlgorithmE0EN10test_utils16custom_test_typeIiEEEvPT1_: ; @_Z21inclusive_scan_kernelILj162ELN6hipcub18BlockScanAlgorithmE0EN10test_utils16custom_test_typeIiEEEvPT1_
; %bb.0:
	s_load_b64 s[0:1], s[0:1], 0x0
	v_mad_u64_u32 v[1:2], null, 0xa2, s15, v[0:1]
	v_mov_b32_e32 v2, 0
	v_mbcnt_lo_u32_b32 v5, -1, 0
	s_delay_alu instid0(VALU_DEP_1) | instskip(NEXT) | instid1(VALU_DEP_3)
	v_and_b32_e32 v6, 15, v5
	v_lshlrev_b64 v[1:2], 3, v[1:2]
	v_bfe_i32 v9, v5, 4, 1
	s_waitcnt lgkmcnt(0)
	s_delay_alu instid0(VALU_DEP_2) | instskip(NEXT) | instid1(VALU_DEP_3)
	v_add_co_u32 v1, vcc_lo, s0, v1
	v_add_co_ci_u32_e32 v2, vcc_lo, s1, v2, vcc_lo
	v_cmp_eq_u32_e32 vcc_lo, 0, v6
	s_mov_b32 s0, exec_lo
	global_load_b64 v[3:4], v[1:2], off
	s_waitcnt vmcnt(0)
	v_mov_b32_dpp v7, v3 row_shr:1 row_mask:0xf bank_mask:0xf
	v_mov_b32_dpp v8, v4 row_shr:1 row_mask:0xf bank_mask:0xf
	s_delay_alu instid0(VALU_DEP_2) | instskip(NEXT) | instid1(VALU_DEP_2)
	v_cndmask_b32_e64 v7, v7, 0, vcc_lo
	v_cndmask_b32_e64 v8, v8, 0, vcc_lo
	v_cmp_lt_u32_e32 vcc_lo, 1, v6
	s_delay_alu instid0(VALU_DEP_3) | instskip(NEXT) | instid1(VALU_DEP_1)
	v_add_nc_u32_e32 v3, v7, v3
	v_mov_b32_dpp v7, v3 row_shr:2 row_mask:0xf bank_mask:0xf
	s_delay_alu instid0(VALU_DEP_1) | instskip(NEXT) | instid1(VALU_DEP_1)
	v_cndmask_b32_e32 v7, 0, v7, vcc_lo
	v_add_nc_u32_e32 v3, v3, v7
	s_delay_alu instid0(VALU_DEP_1) | instskip(SKIP_1) | instid1(VALU_DEP_1)
	v_mov_b32_dpp v7, v3 row_shr:4 row_mask:0xf bank_mask:0xf
	v_add_nc_u32_e32 v4, v8, v4
	v_mov_b32_dpp v8, v4 row_shr:2 row_mask:0xf bank_mask:0xf
	s_delay_alu instid0(VALU_DEP_1) | instskip(SKIP_2) | instid1(VALU_DEP_1)
	v_cndmask_b32_e32 v8, 0, v8, vcc_lo
	v_cmp_lt_u32_e32 vcc_lo, 3, v6
	v_cndmask_b32_e32 v7, 0, v7, vcc_lo
	v_add_nc_u32_e32 v3, v3, v7
	s_delay_alu instid0(VALU_DEP_1) | instskip(SKIP_1) | instid1(VALU_DEP_1)
	v_mov_b32_dpp v7, v3 row_shr:8 row_mask:0xf bank_mask:0xf
	v_add_nc_u32_e32 v4, v4, v8
	v_mov_b32_dpp v8, v4 row_shr:4 row_mask:0xf bank_mask:0xf
	s_delay_alu instid0(VALU_DEP_1) | instskip(SKIP_1) | instid1(VALU_DEP_2)
	v_cndmask_b32_e32 v8, 0, v8, vcc_lo
	v_cmp_lt_u32_e32 vcc_lo, 7, v6
	v_dual_cndmask_b32 v7, 0, v7 :: v_dual_add_nc_u32 v4, v4, v8
	s_delay_alu instid0(VALU_DEP_1) | instskip(NEXT) | instid1(VALU_DEP_2)
	v_add_nc_u32_e32 v3, v3, v7
	v_mov_b32_dpp v8, v4 row_shr:8 row_mask:0xf bank_mask:0xf
	s_delay_alu instid0(VALU_DEP_1) | instskip(SKIP_1) | instid1(VALU_DEP_2)
	v_cndmask_b32_e32 v6, 0, v8, vcc_lo
	v_and_b32_e32 v8, 0xe0, v0
	v_add_nc_u32_e32 v4, v4, v6
	ds_swizzle_b32 v6, v3 offset:swizzle(BROADCAST,32,15)
	v_min_u32_e32 v8, 0x82, v8
	ds_swizzle_b32 v7, v4 offset:swizzle(BROADCAST,32,15)
	v_add_nc_u32_e32 v8, 31, v8
	s_waitcnt lgkmcnt(1)
	v_and_b32_e32 v10, v9, v6
	v_lshrrev_b32_e32 v6, 5, v0
	s_waitcnt lgkmcnt(0)
	v_and_b32_e32 v7, v9, v7
	s_delay_alu instid0(VALU_DEP_3) | instskip(NEXT) | instid1(VALU_DEP_2)
	v_add_nc_u32_e32 v3, v3, v10
	v_add_nc_u32_e32 v4, v4, v7
	v_cmpx_eq_u32_e64 v8, v0
	s_cbranch_execz .LBB161_2
; %bb.1:
	v_lshlrev_b32_e32 v7, 3, v6
	ds_store_2addr_b32 v7, v3, v4 offset1:1
.LBB161_2:
	s_or_b32 exec_lo, exec_lo, s0
	s_delay_alu instid0(SALU_CYCLE_1)
	s_mov_b32 s0, exec_lo
	s_waitcnt lgkmcnt(0)
	s_barrier
	buffer_gl0_inv
	v_cmpx_gt_u32_e32 6, v0
	s_cbranch_execz .LBB161_4
; %bb.3:
	v_lshlrev_b32_e32 v9, 3, v0
	v_and_b32_e32 v5, 7, v5
	ds_load_2addr_b32 v[7:8], v9 offset1:1
	v_cmp_eq_u32_e32 vcc_lo, 0, v5
	s_waitcnt lgkmcnt(0)
	v_mov_b32_dpp v10, v7 row_shr:1 row_mask:0xf bank_mask:0xf
	v_mov_b32_dpp v11, v8 row_shr:1 row_mask:0xf bank_mask:0xf
	s_delay_alu instid0(VALU_DEP_2) | instskip(NEXT) | instid1(VALU_DEP_2)
	v_cndmask_b32_e64 v10, v10, 0, vcc_lo
	v_cndmask_b32_e64 v11, v11, 0, vcc_lo
	v_cmp_lt_u32_e32 vcc_lo, 1, v5
	s_delay_alu instid0(VALU_DEP_3) | instskip(NEXT) | instid1(VALU_DEP_3)
	v_add_nc_u32_e32 v7, v10, v7
	v_add_nc_u32_e32 v8, v11, v8
	s_delay_alu instid0(VALU_DEP_2) | instskip(NEXT) | instid1(VALU_DEP_2)
	v_mov_b32_dpp v10, v7 row_shr:2 row_mask:0xf bank_mask:0xf
	v_mov_b32_dpp v11, v8 row_shr:2 row_mask:0xf bank_mask:0xf
	s_delay_alu instid0(VALU_DEP_1) | instskip(SKIP_1) | instid1(VALU_DEP_2)
	v_dual_cndmask_b32 v10, 0, v10 :: v_dual_cndmask_b32 v11, 0, v11
	v_cmp_lt_u32_e32 vcc_lo, 3, v5
	v_add_nc_u32_e32 v7, v10, v7
	s_delay_alu instid0(VALU_DEP_1) | instskip(NEXT) | instid1(VALU_DEP_1)
	v_mov_b32_dpp v10, v7 row_shr:4 row_mask:0xf bank_mask:0xf
	v_dual_cndmask_b32 v5, 0, v10 :: v_dual_add_nc_u32 v8, v11, v8
	s_delay_alu instid0(VALU_DEP_1) | instskip(NEXT) | instid1(VALU_DEP_2)
	v_mov_b32_dpp v11, v8 row_shr:4 row_mask:0xf bank_mask:0xf
	v_add_nc_u32_e32 v5, v5, v7
	s_delay_alu instid0(VALU_DEP_2) | instskip(NEXT) | instid1(VALU_DEP_1)
	v_cndmask_b32_e32 v10, 0, v11, vcc_lo
	v_add_nc_u32_e32 v7, v10, v8
	ds_store_2addr_b32 v9, v5, v7 offset1:1
.LBB161_4:
	s_or_b32 exec_lo, exec_lo, s0
	s_delay_alu instid0(SALU_CYCLE_1)
	s_mov_b32 s0, exec_lo
	s_waitcnt lgkmcnt(0)
	s_barrier
	buffer_gl0_inv
	v_cmpx_lt_u32_e32 31, v0
	s_cbranch_execz .LBB161_6
; %bb.5:
	v_lshl_add_u32 v0, v6, 3, -8
	ds_load_2addr_b32 v[5:6], v0 offset1:1
	s_waitcnt lgkmcnt(0)
	v_add_nc_u32_e32 v3, v3, v5
	v_add_nc_u32_e32 v4, v4, v6
.LBB161_6:
	s_or_b32 exec_lo, exec_lo, s0
	global_store_b64 v[1:2], v[3:4], off
	s_nop 0
	s_sendmsg sendmsg(MSG_DEALLOC_VGPRS)
	s_endpgm
	.section	.rodata,"a",@progbits
	.p2align	6, 0x0
	.amdhsa_kernel _Z21inclusive_scan_kernelILj162ELN6hipcub18BlockScanAlgorithmE0EN10test_utils16custom_test_typeIiEEEvPT1_
		.amdhsa_group_segment_fixed_size 48
		.amdhsa_private_segment_fixed_size 0
		.amdhsa_kernarg_size 8
		.amdhsa_user_sgpr_count 15
		.amdhsa_user_sgpr_dispatch_ptr 0
		.amdhsa_user_sgpr_queue_ptr 0
		.amdhsa_user_sgpr_kernarg_segment_ptr 1
		.amdhsa_user_sgpr_dispatch_id 0
		.amdhsa_user_sgpr_private_segment_size 0
		.amdhsa_wavefront_size32 1
		.amdhsa_uses_dynamic_stack 0
		.amdhsa_enable_private_segment 0
		.amdhsa_system_sgpr_workgroup_id_x 1
		.amdhsa_system_sgpr_workgroup_id_y 0
		.amdhsa_system_sgpr_workgroup_id_z 0
		.amdhsa_system_sgpr_workgroup_info 0
		.amdhsa_system_vgpr_workitem_id 0
		.amdhsa_next_free_vgpr 12
		.amdhsa_next_free_sgpr 16
		.amdhsa_reserve_vcc 1
		.amdhsa_float_round_mode_32 0
		.amdhsa_float_round_mode_16_64 0
		.amdhsa_float_denorm_mode_32 3
		.amdhsa_float_denorm_mode_16_64 3
		.amdhsa_dx10_clamp 1
		.amdhsa_ieee_mode 1
		.amdhsa_fp16_overflow 0
		.amdhsa_workgroup_processor_mode 1
		.amdhsa_memory_ordered 1
		.amdhsa_forward_progress 0
		.amdhsa_shared_vgpr_count 0
		.amdhsa_exception_fp_ieee_invalid_op 0
		.amdhsa_exception_fp_denorm_src 0
		.amdhsa_exception_fp_ieee_div_zero 0
		.amdhsa_exception_fp_ieee_overflow 0
		.amdhsa_exception_fp_ieee_underflow 0
		.amdhsa_exception_fp_ieee_inexact 0
		.amdhsa_exception_int_div_zero 0
	.end_amdhsa_kernel
	.section	.text._Z21inclusive_scan_kernelILj162ELN6hipcub18BlockScanAlgorithmE0EN10test_utils16custom_test_typeIiEEEvPT1_,"axG",@progbits,_Z21inclusive_scan_kernelILj162ELN6hipcub18BlockScanAlgorithmE0EN10test_utils16custom_test_typeIiEEEvPT1_,comdat
.Lfunc_end161:
	.size	_Z21inclusive_scan_kernelILj162ELN6hipcub18BlockScanAlgorithmE0EN10test_utils16custom_test_typeIiEEEvPT1_, .Lfunc_end161-_Z21inclusive_scan_kernelILj162ELN6hipcub18BlockScanAlgorithmE0EN10test_utils16custom_test_typeIiEEEvPT1_
                                        ; -- End function
	.section	.AMDGPU.csdata,"",@progbits
; Kernel info:
; codeLenInByte = 668
; NumSgprs: 18
; NumVgprs: 12
; ScratchSize: 0
; MemoryBound: 0
; FloatMode: 240
; IeeeMode: 1
; LDSByteSize: 48 bytes/workgroup (compile time only)
; SGPRBlocks: 2
; VGPRBlocks: 1
; NumSGPRsForWavesPerEU: 18
; NumVGPRsForWavesPerEU: 12
; Occupancy: 15
; WaveLimiterHint : 0
; COMPUTE_PGM_RSRC2:SCRATCH_EN: 0
; COMPUTE_PGM_RSRC2:USER_SGPR: 15
; COMPUTE_PGM_RSRC2:TRAP_HANDLER: 0
; COMPUTE_PGM_RSRC2:TGID_X_EN: 1
; COMPUTE_PGM_RSRC2:TGID_Y_EN: 0
; COMPUTE_PGM_RSRC2:TGID_Z_EN: 0
; COMPUTE_PGM_RSRC2:TIDIG_COMP_CNT: 0
	.section	.text._Z21inclusive_scan_kernelILj37ELN6hipcub18BlockScanAlgorithmE0EN10test_utils16custom_test_typeIiEEEvPT1_,"axG",@progbits,_Z21inclusive_scan_kernelILj37ELN6hipcub18BlockScanAlgorithmE0EN10test_utils16custom_test_typeIiEEEvPT1_,comdat
	.protected	_Z21inclusive_scan_kernelILj37ELN6hipcub18BlockScanAlgorithmE0EN10test_utils16custom_test_typeIiEEEvPT1_ ; -- Begin function _Z21inclusive_scan_kernelILj37ELN6hipcub18BlockScanAlgorithmE0EN10test_utils16custom_test_typeIiEEEvPT1_
	.globl	_Z21inclusive_scan_kernelILj37ELN6hipcub18BlockScanAlgorithmE0EN10test_utils16custom_test_typeIiEEEvPT1_
	.p2align	8
	.type	_Z21inclusive_scan_kernelILj37ELN6hipcub18BlockScanAlgorithmE0EN10test_utils16custom_test_typeIiEEEvPT1_,@function
_Z21inclusive_scan_kernelILj37ELN6hipcub18BlockScanAlgorithmE0EN10test_utils16custom_test_typeIiEEEvPT1_: ; @_Z21inclusive_scan_kernelILj37ELN6hipcub18BlockScanAlgorithmE0EN10test_utils16custom_test_typeIiEEEvPT1_
; %bb.0:
	s_load_b64 s[0:1], s[0:1], 0x0
	v_mad_u64_u32 v[1:2], null, s15, 37, v[0:1]
	v_mov_b32_e32 v2, 0
	v_mbcnt_lo_u32_b32 v5, -1, 0
	s_delay_alu instid0(VALU_DEP_1) | instskip(NEXT) | instid1(VALU_DEP_3)
	v_and_b32_e32 v6, 15, v5
	v_lshlrev_b64 v[1:2], 3, v[1:2]
	v_bfe_i32 v9, v5, 4, 1
	s_waitcnt lgkmcnt(0)
	s_delay_alu instid0(VALU_DEP_2) | instskip(NEXT) | instid1(VALU_DEP_3)
	v_add_co_u32 v1, vcc_lo, s0, v1
	v_add_co_ci_u32_e32 v2, vcc_lo, s1, v2, vcc_lo
	v_cmp_eq_u32_e32 vcc_lo, 0, v6
	s_mov_b32 s0, exec_lo
	global_load_b64 v[3:4], v[1:2], off
	s_waitcnt vmcnt(0)
	v_mov_b32_dpp v7, v3 row_shr:1 row_mask:0xf bank_mask:0xf
	v_mov_b32_dpp v8, v4 row_shr:1 row_mask:0xf bank_mask:0xf
	s_delay_alu instid0(VALU_DEP_2) | instskip(NEXT) | instid1(VALU_DEP_2)
	v_cndmask_b32_e64 v7, v7, 0, vcc_lo
	v_cndmask_b32_e64 v8, v8, 0, vcc_lo
	v_cmp_lt_u32_e32 vcc_lo, 1, v6
	s_delay_alu instid0(VALU_DEP_3) | instskip(NEXT) | instid1(VALU_DEP_1)
	v_add_nc_u32_e32 v3, v7, v3
	v_mov_b32_dpp v7, v3 row_shr:2 row_mask:0xf bank_mask:0xf
	s_delay_alu instid0(VALU_DEP_1) | instskip(NEXT) | instid1(VALU_DEP_1)
	v_cndmask_b32_e32 v7, 0, v7, vcc_lo
	v_add_nc_u32_e32 v3, v3, v7
	s_delay_alu instid0(VALU_DEP_1) | instskip(SKIP_1) | instid1(VALU_DEP_1)
	v_mov_b32_dpp v7, v3 row_shr:4 row_mask:0xf bank_mask:0xf
	v_add_nc_u32_e32 v4, v8, v4
	v_mov_b32_dpp v8, v4 row_shr:2 row_mask:0xf bank_mask:0xf
	s_delay_alu instid0(VALU_DEP_1) | instskip(SKIP_2) | instid1(VALU_DEP_1)
	v_cndmask_b32_e32 v8, 0, v8, vcc_lo
	v_cmp_lt_u32_e32 vcc_lo, 3, v6
	v_cndmask_b32_e32 v7, 0, v7, vcc_lo
	v_add_nc_u32_e32 v3, v3, v7
	s_delay_alu instid0(VALU_DEP_1) | instskip(SKIP_1) | instid1(VALU_DEP_1)
	v_mov_b32_dpp v7, v3 row_shr:8 row_mask:0xf bank_mask:0xf
	v_add_nc_u32_e32 v4, v4, v8
	v_mov_b32_dpp v8, v4 row_shr:4 row_mask:0xf bank_mask:0xf
	s_delay_alu instid0(VALU_DEP_1) | instskip(SKIP_1) | instid1(VALU_DEP_2)
	v_cndmask_b32_e32 v8, 0, v8, vcc_lo
	v_cmp_lt_u32_e32 vcc_lo, 7, v6
	v_dual_cndmask_b32 v7, 0, v7 :: v_dual_add_nc_u32 v4, v4, v8
	s_delay_alu instid0(VALU_DEP_1) | instskip(NEXT) | instid1(VALU_DEP_2)
	v_add_nc_u32_e32 v3, v3, v7
	v_mov_b32_dpp v8, v4 row_shr:8 row_mask:0xf bank_mask:0xf
	s_delay_alu instid0(VALU_DEP_1) | instskip(SKIP_1) | instid1(VALU_DEP_2)
	v_cndmask_b32_e32 v6, 0, v8, vcc_lo
	v_and_b32_e32 v8, 32, v0
	v_add_nc_u32_e32 v4, v4, v6
	ds_swizzle_b32 v6, v3 offset:swizzle(BROADCAST,32,15)
	v_min_u32_e32 v8, 5, v8
	ds_swizzle_b32 v7, v4 offset:swizzle(BROADCAST,32,15)
	v_add_nc_u32_e32 v8, 31, v8
	s_waitcnt lgkmcnt(1)
	v_and_b32_e32 v10, v9, v6
	v_lshrrev_b32_e32 v6, 5, v0
	s_waitcnt lgkmcnt(0)
	v_and_b32_e32 v7, v9, v7
	s_delay_alu instid0(VALU_DEP_3) | instskip(NEXT) | instid1(VALU_DEP_2)
	v_add_nc_u32_e32 v3, v3, v10
	v_add_nc_u32_e32 v4, v4, v7
	v_cmpx_eq_u32_e64 v8, v0
	s_cbranch_execz .LBB162_2
; %bb.1:
	v_lshlrev_b32_e32 v7, 3, v6
	ds_store_2addr_b32 v7, v3, v4 offset1:1
.LBB162_2:
	s_or_b32 exec_lo, exec_lo, s0
	s_delay_alu instid0(SALU_CYCLE_1)
	s_mov_b32 s0, exec_lo
	s_waitcnt lgkmcnt(0)
	s_barrier
	buffer_gl0_inv
	v_cmpx_gt_u32_e32 2, v0
	s_cbranch_execz .LBB162_4
; %bb.3:
	v_lshlrev_b32_e32 v9, 3, v0
	v_bfe_i32 v5, v5, 0, 1
	ds_load_2addr_b32 v[7:8], v9 offset1:1
	s_waitcnt lgkmcnt(0)
	v_mov_b32_dpp v10, v7 row_shr:1 row_mask:0xf bank_mask:0xf
	v_mov_b32_dpp v11, v8 row_shr:1 row_mask:0xf bank_mask:0xf
	s_delay_alu instid0(VALU_DEP_2) | instskip(NEXT) | instid1(VALU_DEP_2)
	v_and_b32_e32 v10, v5, v10
	v_and_b32_e32 v5, v5, v11
	s_delay_alu instid0(VALU_DEP_2) | instskip(NEXT) | instid1(VALU_DEP_2)
	v_add_nc_u32_e32 v7, v10, v7
	v_add_nc_u32_e32 v5, v5, v8
	ds_store_2addr_b32 v9, v7, v5 offset1:1
.LBB162_4:
	s_or_b32 exec_lo, exec_lo, s0
	s_delay_alu instid0(SALU_CYCLE_1)
	s_mov_b32 s0, exec_lo
	s_waitcnt lgkmcnt(0)
	s_barrier
	buffer_gl0_inv
	v_cmpx_lt_u32_e32 31, v0
	s_cbranch_execz .LBB162_6
; %bb.5:
	v_lshl_add_u32 v0, v6, 3, -8
	ds_load_2addr_b32 v[5:6], v0 offset1:1
	s_waitcnt lgkmcnt(0)
	v_add_nc_u32_e32 v3, v3, v5
	v_add_nc_u32_e32 v4, v4, v6
.LBB162_6:
	s_or_b32 exec_lo, exec_lo, s0
	global_store_b64 v[1:2], v[3:4], off
	s_nop 0
	s_sendmsg sendmsg(MSG_DEALLOC_VGPRS)
	s_endpgm
	.section	.rodata,"a",@progbits
	.p2align	6, 0x0
	.amdhsa_kernel _Z21inclusive_scan_kernelILj37ELN6hipcub18BlockScanAlgorithmE0EN10test_utils16custom_test_typeIiEEEvPT1_
		.amdhsa_group_segment_fixed_size 16
		.amdhsa_private_segment_fixed_size 0
		.amdhsa_kernarg_size 8
		.amdhsa_user_sgpr_count 15
		.amdhsa_user_sgpr_dispatch_ptr 0
		.amdhsa_user_sgpr_queue_ptr 0
		.amdhsa_user_sgpr_kernarg_segment_ptr 1
		.amdhsa_user_sgpr_dispatch_id 0
		.amdhsa_user_sgpr_private_segment_size 0
		.amdhsa_wavefront_size32 1
		.amdhsa_uses_dynamic_stack 0
		.amdhsa_enable_private_segment 0
		.amdhsa_system_sgpr_workgroup_id_x 1
		.amdhsa_system_sgpr_workgroup_id_y 0
		.amdhsa_system_sgpr_workgroup_id_z 0
		.amdhsa_system_sgpr_workgroup_info 0
		.amdhsa_system_vgpr_workitem_id 0
		.amdhsa_next_free_vgpr 12
		.amdhsa_next_free_sgpr 16
		.amdhsa_reserve_vcc 1
		.amdhsa_float_round_mode_32 0
		.amdhsa_float_round_mode_16_64 0
		.amdhsa_float_denorm_mode_32 3
		.amdhsa_float_denorm_mode_16_64 3
		.amdhsa_dx10_clamp 1
		.amdhsa_ieee_mode 1
		.amdhsa_fp16_overflow 0
		.amdhsa_workgroup_processor_mode 1
		.amdhsa_memory_ordered 1
		.amdhsa_forward_progress 0
		.amdhsa_shared_vgpr_count 0
		.amdhsa_exception_fp_ieee_invalid_op 0
		.amdhsa_exception_fp_denorm_src 0
		.amdhsa_exception_fp_ieee_div_zero 0
		.amdhsa_exception_fp_ieee_overflow 0
		.amdhsa_exception_fp_ieee_underflow 0
		.amdhsa_exception_fp_ieee_inexact 0
		.amdhsa_exception_int_div_zero 0
	.end_amdhsa_kernel
	.section	.text._Z21inclusive_scan_kernelILj37ELN6hipcub18BlockScanAlgorithmE0EN10test_utils16custom_test_typeIiEEEvPT1_,"axG",@progbits,_Z21inclusive_scan_kernelILj37ELN6hipcub18BlockScanAlgorithmE0EN10test_utils16custom_test_typeIiEEEvPT1_,comdat
.Lfunc_end162:
	.size	_Z21inclusive_scan_kernelILj37ELN6hipcub18BlockScanAlgorithmE0EN10test_utils16custom_test_typeIiEEEvPT1_, .Lfunc_end162-_Z21inclusive_scan_kernelILj37ELN6hipcub18BlockScanAlgorithmE0EN10test_utils16custom_test_typeIiEEEvPT1_
                                        ; -- End function
	.section	.AMDGPU.csdata,"",@progbits
; Kernel info:
; codeLenInByte = 556
; NumSgprs: 18
; NumVgprs: 12
; ScratchSize: 0
; MemoryBound: 0
; FloatMode: 240
; IeeeMode: 1
; LDSByteSize: 16 bytes/workgroup (compile time only)
; SGPRBlocks: 2
; VGPRBlocks: 1
; NumSGPRsForWavesPerEU: 18
; NumVGPRsForWavesPerEU: 12
; Occupancy: 16
; WaveLimiterHint : 0
; COMPUTE_PGM_RSRC2:SCRATCH_EN: 0
; COMPUTE_PGM_RSRC2:USER_SGPR: 15
; COMPUTE_PGM_RSRC2:TRAP_HANDLER: 0
; COMPUTE_PGM_RSRC2:TGID_X_EN: 1
; COMPUTE_PGM_RSRC2:TGID_Y_EN: 0
; COMPUTE_PGM_RSRC2:TGID_Z_EN: 0
; COMPUTE_PGM_RSRC2:TIDIG_COMP_CNT: 0
	.section	.text._Z21inclusive_scan_kernelILj65ELN6hipcub18BlockScanAlgorithmE0EN10test_utils16custom_test_typeIiEEEvPT1_,"axG",@progbits,_Z21inclusive_scan_kernelILj65ELN6hipcub18BlockScanAlgorithmE0EN10test_utils16custom_test_typeIiEEEvPT1_,comdat
	.protected	_Z21inclusive_scan_kernelILj65ELN6hipcub18BlockScanAlgorithmE0EN10test_utils16custom_test_typeIiEEEvPT1_ ; -- Begin function _Z21inclusive_scan_kernelILj65ELN6hipcub18BlockScanAlgorithmE0EN10test_utils16custom_test_typeIiEEEvPT1_
	.globl	_Z21inclusive_scan_kernelILj65ELN6hipcub18BlockScanAlgorithmE0EN10test_utils16custom_test_typeIiEEEvPT1_
	.p2align	8
	.type	_Z21inclusive_scan_kernelILj65ELN6hipcub18BlockScanAlgorithmE0EN10test_utils16custom_test_typeIiEEEvPT1_,@function
_Z21inclusive_scan_kernelILj65ELN6hipcub18BlockScanAlgorithmE0EN10test_utils16custom_test_typeIiEEEvPT1_: ; @_Z21inclusive_scan_kernelILj65ELN6hipcub18BlockScanAlgorithmE0EN10test_utils16custom_test_typeIiEEEvPT1_
; %bb.0:
	s_load_b64 s[0:1], s[0:1], 0x0
	v_mad_u64_u32 v[1:2], null, 0x41, s15, v[0:1]
	v_mov_b32_e32 v2, 0
	v_mbcnt_lo_u32_b32 v5, -1, 0
	s_delay_alu instid0(VALU_DEP_1) | instskip(NEXT) | instid1(VALU_DEP_3)
	v_and_b32_e32 v6, 15, v5
	v_lshlrev_b64 v[1:2], 3, v[1:2]
	v_bfe_i32 v9, v5, 4, 1
	s_waitcnt lgkmcnt(0)
	s_delay_alu instid0(VALU_DEP_2) | instskip(NEXT) | instid1(VALU_DEP_3)
	v_add_co_u32 v1, vcc_lo, s0, v1
	v_add_co_ci_u32_e32 v2, vcc_lo, s1, v2, vcc_lo
	v_cmp_eq_u32_e32 vcc_lo, 0, v6
	s_mov_b32 s0, exec_lo
	global_load_b64 v[3:4], v[1:2], off
	s_waitcnt vmcnt(0)
	v_mov_b32_dpp v7, v3 row_shr:1 row_mask:0xf bank_mask:0xf
	v_mov_b32_dpp v8, v4 row_shr:1 row_mask:0xf bank_mask:0xf
	s_delay_alu instid0(VALU_DEP_2) | instskip(NEXT) | instid1(VALU_DEP_2)
	v_cndmask_b32_e64 v7, v7, 0, vcc_lo
	v_cndmask_b32_e64 v8, v8, 0, vcc_lo
	v_cmp_lt_u32_e32 vcc_lo, 1, v6
	s_delay_alu instid0(VALU_DEP_3) | instskip(NEXT) | instid1(VALU_DEP_1)
	v_add_nc_u32_e32 v3, v7, v3
	v_mov_b32_dpp v7, v3 row_shr:2 row_mask:0xf bank_mask:0xf
	s_delay_alu instid0(VALU_DEP_1) | instskip(NEXT) | instid1(VALU_DEP_1)
	v_cndmask_b32_e32 v7, 0, v7, vcc_lo
	v_add_nc_u32_e32 v3, v3, v7
	s_delay_alu instid0(VALU_DEP_1) | instskip(SKIP_1) | instid1(VALU_DEP_1)
	v_mov_b32_dpp v7, v3 row_shr:4 row_mask:0xf bank_mask:0xf
	v_add_nc_u32_e32 v4, v8, v4
	v_mov_b32_dpp v8, v4 row_shr:2 row_mask:0xf bank_mask:0xf
	s_delay_alu instid0(VALU_DEP_1) | instskip(SKIP_2) | instid1(VALU_DEP_1)
	v_cndmask_b32_e32 v8, 0, v8, vcc_lo
	v_cmp_lt_u32_e32 vcc_lo, 3, v6
	v_cndmask_b32_e32 v7, 0, v7, vcc_lo
	v_add_nc_u32_e32 v3, v3, v7
	s_delay_alu instid0(VALU_DEP_1) | instskip(SKIP_1) | instid1(VALU_DEP_1)
	v_mov_b32_dpp v7, v3 row_shr:8 row_mask:0xf bank_mask:0xf
	v_add_nc_u32_e32 v4, v4, v8
	v_mov_b32_dpp v8, v4 row_shr:4 row_mask:0xf bank_mask:0xf
	s_delay_alu instid0(VALU_DEP_1) | instskip(SKIP_1) | instid1(VALU_DEP_2)
	v_cndmask_b32_e32 v8, 0, v8, vcc_lo
	v_cmp_lt_u32_e32 vcc_lo, 7, v6
	v_dual_cndmask_b32 v7, 0, v7 :: v_dual_add_nc_u32 v4, v4, v8
	s_delay_alu instid0(VALU_DEP_1) | instskip(NEXT) | instid1(VALU_DEP_2)
	v_add_nc_u32_e32 v3, v3, v7
	v_mov_b32_dpp v8, v4 row_shr:8 row_mask:0xf bank_mask:0xf
	s_delay_alu instid0(VALU_DEP_1) | instskip(SKIP_1) | instid1(VALU_DEP_2)
	v_cndmask_b32_e32 v6, 0, v8, vcc_lo
	v_and_b32_e32 v8, 0x60, v0
	v_add_nc_u32_e32 v4, v4, v6
	ds_swizzle_b32 v6, v3 offset:swizzle(BROADCAST,32,15)
	v_min_u32_e32 v8, 33, v8
	ds_swizzle_b32 v7, v4 offset:swizzle(BROADCAST,32,15)
	v_add_nc_u32_e32 v8, 31, v8
	s_waitcnt lgkmcnt(1)
	v_and_b32_e32 v10, v9, v6
	v_lshrrev_b32_e32 v6, 5, v0
	s_waitcnt lgkmcnt(0)
	v_and_b32_e32 v7, v9, v7
	s_delay_alu instid0(VALU_DEP_3) | instskip(NEXT) | instid1(VALU_DEP_2)
	v_add_nc_u32_e32 v3, v3, v10
	v_add_nc_u32_e32 v4, v4, v7
	v_cmpx_eq_u32_e64 v8, v0
	s_cbranch_execz .LBB163_2
; %bb.1:
	v_lshlrev_b32_e32 v7, 3, v6
	ds_store_2addr_b32 v7, v3, v4 offset1:1
.LBB163_2:
	s_or_b32 exec_lo, exec_lo, s0
	s_delay_alu instid0(SALU_CYCLE_1)
	s_mov_b32 s0, exec_lo
	s_waitcnt lgkmcnt(0)
	s_barrier
	buffer_gl0_inv
	v_cmpx_gt_u32_e32 3, v0
	s_cbranch_execz .LBB163_4
; %bb.3:
	v_lshlrev_b32_e32 v9, 3, v0
	v_and_b32_e32 v5, 3, v5
	ds_load_2addr_b32 v[7:8], v9 offset1:1
	v_cmp_eq_u32_e32 vcc_lo, 0, v5
	s_waitcnt lgkmcnt(0)
	v_mov_b32_dpp v10, v7 row_shr:1 row_mask:0xf bank_mask:0xf
	v_mov_b32_dpp v11, v8 row_shr:1 row_mask:0xf bank_mask:0xf
	s_delay_alu instid0(VALU_DEP_2) | instskip(NEXT) | instid1(VALU_DEP_2)
	v_cndmask_b32_e64 v10, v10, 0, vcc_lo
	v_cndmask_b32_e64 v11, v11, 0, vcc_lo
	v_cmp_lt_u32_e32 vcc_lo, 1, v5
	s_delay_alu instid0(VALU_DEP_3) | instskip(NEXT) | instid1(VALU_DEP_1)
	v_add_nc_u32_e32 v7, v10, v7
	v_mov_b32_dpp v10, v7 row_shr:2 row_mask:0xf bank_mask:0xf
	s_delay_alu instid0(VALU_DEP_1) | instskip(NEXT) | instid1(VALU_DEP_1)
	v_dual_cndmask_b32 v5, 0, v10 :: v_dual_add_nc_u32 v8, v11, v8
	v_mov_b32_dpp v11, v8 row_shr:2 row_mask:0xf bank_mask:0xf
	s_delay_alu instid0(VALU_DEP_2) | instskip(NEXT) | instid1(VALU_DEP_2)
	v_add_nc_u32_e32 v5, v5, v7
	v_cndmask_b32_e32 v10, 0, v11, vcc_lo
	s_delay_alu instid0(VALU_DEP_1)
	v_add_nc_u32_e32 v7, v10, v8
	ds_store_2addr_b32 v9, v5, v7 offset1:1
.LBB163_4:
	s_or_b32 exec_lo, exec_lo, s0
	s_delay_alu instid0(SALU_CYCLE_1)
	s_mov_b32 s0, exec_lo
	s_waitcnt lgkmcnt(0)
	s_barrier
	buffer_gl0_inv
	v_cmpx_lt_u32_e32 31, v0
	s_cbranch_execz .LBB163_6
; %bb.5:
	v_lshl_add_u32 v0, v6, 3, -8
	ds_load_2addr_b32 v[5:6], v0 offset1:1
	s_waitcnt lgkmcnt(0)
	v_add_nc_u32_e32 v3, v3, v5
	v_add_nc_u32_e32 v4, v4, v6
.LBB163_6:
	s_or_b32 exec_lo, exec_lo, s0
	global_store_b64 v[1:2], v[3:4], off
	s_nop 0
	s_sendmsg sendmsg(MSG_DEALLOC_VGPRS)
	s_endpgm
	.section	.rodata,"a",@progbits
	.p2align	6, 0x0
	.amdhsa_kernel _Z21inclusive_scan_kernelILj65ELN6hipcub18BlockScanAlgorithmE0EN10test_utils16custom_test_typeIiEEEvPT1_
		.amdhsa_group_segment_fixed_size 24
		.amdhsa_private_segment_fixed_size 0
		.amdhsa_kernarg_size 8
		.amdhsa_user_sgpr_count 15
		.amdhsa_user_sgpr_dispatch_ptr 0
		.amdhsa_user_sgpr_queue_ptr 0
		.amdhsa_user_sgpr_kernarg_segment_ptr 1
		.amdhsa_user_sgpr_dispatch_id 0
		.amdhsa_user_sgpr_private_segment_size 0
		.amdhsa_wavefront_size32 1
		.amdhsa_uses_dynamic_stack 0
		.amdhsa_enable_private_segment 0
		.amdhsa_system_sgpr_workgroup_id_x 1
		.amdhsa_system_sgpr_workgroup_id_y 0
		.amdhsa_system_sgpr_workgroup_id_z 0
		.amdhsa_system_sgpr_workgroup_info 0
		.amdhsa_system_vgpr_workitem_id 0
		.amdhsa_next_free_vgpr 12
		.amdhsa_next_free_sgpr 16
		.amdhsa_reserve_vcc 1
		.amdhsa_float_round_mode_32 0
		.amdhsa_float_round_mode_16_64 0
		.amdhsa_float_denorm_mode_32 3
		.amdhsa_float_denorm_mode_16_64 3
		.amdhsa_dx10_clamp 1
		.amdhsa_ieee_mode 1
		.amdhsa_fp16_overflow 0
		.amdhsa_workgroup_processor_mode 1
		.amdhsa_memory_ordered 1
		.amdhsa_forward_progress 0
		.amdhsa_shared_vgpr_count 0
		.amdhsa_exception_fp_ieee_invalid_op 0
		.amdhsa_exception_fp_denorm_src 0
		.amdhsa_exception_fp_ieee_div_zero 0
		.amdhsa_exception_fp_ieee_overflow 0
		.amdhsa_exception_fp_ieee_underflow 0
		.amdhsa_exception_fp_ieee_inexact 0
		.amdhsa_exception_int_div_zero 0
	.end_amdhsa_kernel
	.section	.text._Z21inclusive_scan_kernelILj65ELN6hipcub18BlockScanAlgorithmE0EN10test_utils16custom_test_typeIiEEEvPT1_,"axG",@progbits,_Z21inclusive_scan_kernelILj65ELN6hipcub18BlockScanAlgorithmE0EN10test_utils16custom_test_typeIiEEEvPT1_,comdat
.Lfunc_end163:
	.size	_Z21inclusive_scan_kernelILj65ELN6hipcub18BlockScanAlgorithmE0EN10test_utils16custom_test_typeIiEEEvPT1_, .Lfunc_end163-_Z21inclusive_scan_kernelILj65ELN6hipcub18BlockScanAlgorithmE0EN10test_utils16custom_test_typeIiEEEvPT1_
                                        ; -- End function
	.section	.AMDGPU.csdata,"",@progbits
; Kernel info:
; codeLenInByte = 620
; NumSgprs: 18
; NumVgprs: 12
; ScratchSize: 0
; MemoryBound: 0
; FloatMode: 240
; IeeeMode: 1
; LDSByteSize: 24 bytes/workgroup (compile time only)
; SGPRBlocks: 2
; VGPRBlocks: 1
; NumSGPRsForWavesPerEU: 18
; NumVGPRsForWavesPerEU: 12
; Occupancy: 16
; WaveLimiterHint : 0
; COMPUTE_PGM_RSRC2:SCRATCH_EN: 0
; COMPUTE_PGM_RSRC2:USER_SGPR: 15
; COMPUTE_PGM_RSRC2:TRAP_HANDLER: 0
; COMPUTE_PGM_RSRC2:TGID_X_EN: 1
; COMPUTE_PGM_RSRC2:TGID_Y_EN: 0
; COMPUTE_PGM_RSRC2:TGID_Z_EN: 0
; COMPUTE_PGM_RSRC2:TIDIG_COMP_CNT: 0
	.section	.text._Z21inclusive_scan_kernelILj512ELN6hipcub18BlockScanAlgorithmE0EN10test_utils16custom_test_typeIiEEEvPT1_,"axG",@progbits,_Z21inclusive_scan_kernelILj512ELN6hipcub18BlockScanAlgorithmE0EN10test_utils16custom_test_typeIiEEEvPT1_,comdat
	.protected	_Z21inclusive_scan_kernelILj512ELN6hipcub18BlockScanAlgorithmE0EN10test_utils16custom_test_typeIiEEEvPT1_ ; -- Begin function _Z21inclusive_scan_kernelILj512ELN6hipcub18BlockScanAlgorithmE0EN10test_utils16custom_test_typeIiEEEvPT1_
	.globl	_Z21inclusive_scan_kernelILj512ELN6hipcub18BlockScanAlgorithmE0EN10test_utils16custom_test_typeIiEEEvPT1_
	.p2align	8
	.type	_Z21inclusive_scan_kernelILj512ELN6hipcub18BlockScanAlgorithmE0EN10test_utils16custom_test_typeIiEEEvPT1_,@function
_Z21inclusive_scan_kernelILj512ELN6hipcub18BlockScanAlgorithmE0EN10test_utils16custom_test_typeIiEEEvPT1_: ; @_Z21inclusive_scan_kernelILj512ELN6hipcub18BlockScanAlgorithmE0EN10test_utils16custom_test_typeIiEEEvPT1_
; %bb.0:
	s_load_b64 s[0:1], s[0:1], 0x0
	v_mov_b32_e32 v2, 0
	v_lshl_or_b32 v1, s15, 9, v0
	v_mbcnt_lo_u32_b32 v5, -1, 0
	s_mov_b32 s4, exec_lo
	s_delay_alu instid0(VALU_DEP_2) | instskip(NEXT) | instid1(VALU_DEP_2)
	v_lshlrev_b64 v[1:2], 3, v[1:2]
	v_and_b32_e32 v6, 15, v5
	v_bfe_i32 v5, v5, 4, 1
	s_delay_alu instid0(VALU_DEP_2) | instskip(SKIP_1) | instid1(VALU_DEP_4)
	v_cmp_lt_u32_e64 s2, 7, v6
	s_waitcnt lgkmcnt(0)
	v_add_co_u32 v1, vcc_lo, s0, v1
	v_add_co_ci_u32_e32 v2, vcc_lo, s1, v2, vcc_lo
	v_cmp_eq_u32_e32 vcc_lo, 0, v6
	v_cmp_lt_u32_e64 s0, 1, v6
	v_cmp_lt_u32_e64 s1, 3, v6
	global_load_b64 v[3:4], v[1:2], off
	s_waitcnt vmcnt(0)
	v_mov_b32_dpp v7, v3 row_shr:1 row_mask:0xf bank_mask:0xf
	v_mov_b32_dpp v8, v4 row_shr:1 row_mask:0xf bank_mask:0xf
	s_delay_alu instid0(VALU_DEP_2) | instskip(NEXT) | instid1(VALU_DEP_2)
	v_cndmask_b32_e64 v7, v7, 0, vcc_lo
	v_cndmask_b32_e64 v8, v8, 0, vcc_lo
	s_delay_alu instid0(VALU_DEP_2) | instskip(NEXT) | instid1(VALU_DEP_2)
	v_add_nc_u32_e32 v3, v7, v3
	v_add_nc_u32_e32 v4, v8, v4
	s_delay_alu instid0(VALU_DEP_2) | instskip(NEXT) | instid1(VALU_DEP_2)
	v_mov_b32_dpp v7, v3 row_shr:2 row_mask:0xf bank_mask:0xf
	v_mov_b32_dpp v8, v4 row_shr:2 row_mask:0xf bank_mask:0xf
	s_delay_alu instid0(VALU_DEP_2) | instskip(NEXT) | instid1(VALU_DEP_2)
	v_cndmask_b32_e64 v7, 0, v7, s0
	v_cndmask_b32_e64 v8, 0, v8, s0
	s_delay_alu instid0(VALU_DEP_2) | instskip(NEXT) | instid1(VALU_DEP_2)
	v_add_nc_u32_e32 v3, v3, v7
	v_add_nc_u32_e32 v4, v4, v8
	s_delay_alu instid0(VALU_DEP_2) | instskip(NEXT) | instid1(VALU_DEP_2)
	v_mov_b32_dpp v7, v3 row_shr:4 row_mask:0xf bank_mask:0xf
	v_mov_b32_dpp v8, v4 row_shr:4 row_mask:0xf bank_mask:0xf
	s_delay_alu instid0(VALU_DEP_2) | instskip(NEXT) | instid1(VALU_DEP_2)
	v_cndmask_b32_e64 v7, 0, v7, s1
	v_cndmask_b32_e64 v8, 0, v8, s1
	;; [unrolled: 9-line block ×3, first 2 shown]
	v_or_b32_e32 v8, 31, v0
	s_delay_alu instid0(VALU_DEP_3) | instskip(NEXT) | instid1(VALU_DEP_3)
	v_add_nc_u32_e32 v3, v3, v7
	v_add_nc_u32_e32 v4, v4, v6
	ds_swizzle_b32 v6, v3 offset:swizzle(BROADCAST,32,15)
	ds_swizzle_b32 v7, v4 offset:swizzle(BROADCAST,32,15)
	s_waitcnt lgkmcnt(1)
	v_and_b32_e32 v6, v5, v6
	s_waitcnt lgkmcnt(0)
	v_and_b32_e32 v7, v5, v7
	v_lshrrev_b32_e32 v5, 5, v0
	s_delay_alu instid0(VALU_DEP_3) | instskip(NEXT) | instid1(VALU_DEP_3)
	v_add_nc_u32_e32 v3, v3, v6
	v_add_nc_u32_e32 v4, v4, v7
	v_cmpx_eq_u32_e64 v8, v0
	s_cbranch_execz .LBB164_2
; %bb.1:
	v_lshlrev_b32_e32 v6, 3, v5
	ds_store_2addr_b32 v6, v3, v4 offset1:1
.LBB164_2:
	s_or_b32 exec_lo, exec_lo, s4
	s_delay_alu instid0(SALU_CYCLE_1)
	s_mov_b32 s4, exec_lo
	s_waitcnt lgkmcnt(0)
	s_barrier
	buffer_gl0_inv
	v_cmpx_gt_u32_e32 16, v0
	s_cbranch_execz .LBB164_4
; %bb.3:
	v_lshlrev_b32_e32 v8, 3, v0
	ds_load_2addr_b32 v[6:7], v8 offset1:1
	s_waitcnt lgkmcnt(0)
	v_mov_b32_dpp v9, v6 row_shr:1 row_mask:0xf bank_mask:0xf
	v_mov_b32_dpp v10, v7 row_shr:1 row_mask:0xf bank_mask:0xf
	s_delay_alu instid0(VALU_DEP_2) | instskip(NEXT) | instid1(VALU_DEP_2)
	v_cndmask_b32_e64 v9, v9, 0, vcc_lo
	v_cndmask_b32_e64 v10, v10, 0, vcc_lo
	s_delay_alu instid0(VALU_DEP_2) | instskip(NEXT) | instid1(VALU_DEP_2)
	v_add_nc_u32_e32 v6, v9, v6
	v_add_nc_u32_e32 v7, v10, v7
	s_delay_alu instid0(VALU_DEP_2) | instskip(NEXT) | instid1(VALU_DEP_2)
	v_mov_b32_dpp v9, v6 row_shr:2 row_mask:0xf bank_mask:0xf
	v_mov_b32_dpp v10, v7 row_shr:2 row_mask:0xf bank_mask:0xf
	s_delay_alu instid0(VALU_DEP_2) | instskip(NEXT) | instid1(VALU_DEP_2)
	v_cndmask_b32_e64 v9, 0, v9, s0
	v_cndmask_b32_e64 v10, 0, v10, s0
	s_delay_alu instid0(VALU_DEP_2) | instskip(NEXT) | instid1(VALU_DEP_2)
	v_add_nc_u32_e32 v6, v9, v6
	v_add_nc_u32_e32 v7, v10, v7
	s_delay_alu instid0(VALU_DEP_2) | instskip(NEXT) | instid1(VALU_DEP_2)
	v_mov_b32_dpp v9, v6 row_shr:4 row_mask:0xf bank_mask:0xf
	v_mov_b32_dpp v10, v7 row_shr:4 row_mask:0xf bank_mask:0xf
	s_delay_alu instid0(VALU_DEP_2) | instskip(NEXT) | instid1(VALU_DEP_2)
	v_cndmask_b32_e64 v9, 0, v9, s1
	v_cndmask_b32_e64 v10, 0, v10, s1
	;; [unrolled: 9-line block ×3, first 2 shown]
	s_delay_alu instid0(VALU_DEP_2) | instskip(NEXT) | instid1(VALU_DEP_2)
	v_add_nc_u32_e32 v6, v9, v6
	v_add_nc_u32_e32 v7, v10, v7
	ds_store_2addr_b32 v8, v6, v7 offset1:1
.LBB164_4:
	s_or_b32 exec_lo, exec_lo, s4
	s_delay_alu instid0(SALU_CYCLE_1)
	s_mov_b32 s0, exec_lo
	s_waitcnt lgkmcnt(0)
	s_barrier
	buffer_gl0_inv
	v_cmpx_lt_u32_e32 31, v0
	s_cbranch_execz .LBB164_6
; %bb.5:
	v_lshl_add_u32 v0, v5, 3, -8
	ds_load_2addr_b32 v[5:6], v0 offset1:1
	s_waitcnt lgkmcnt(0)
	v_add_nc_u32_e32 v3, v3, v5
	v_add_nc_u32_e32 v4, v4, v6
.LBB164_6:
	s_or_b32 exec_lo, exec_lo, s0
	global_store_b64 v[1:2], v[3:4], off
	s_nop 0
	s_sendmsg sendmsg(MSG_DEALLOC_VGPRS)
	s_endpgm
	.section	.rodata,"a",@progbits
	.p2align	6, 0x0
	.amdhsa_kernel _Z21inclusive_scan_kernelILj512ELN6hipcub18BlockScanAlgorithmE0EN10test_utils16custom_test_typeIiEEEvPT1_
		.amdhsa_group_segment_fixed_size 128
		.amdhsa_private_segment_fixed_size 0
		.amdhsa_kernarg_size 8
		.amdhsa_user_sgpr_count 15
		.amdhsa_user_sgpr_dispatch_ptr 0
		.amdhsa_user_sgpr_queue_ptr 0
		.amdhsa_user_sgpr_kernarg_segment_ptr 1
		.amdhsa_user_sgpr_dispatch_id 0
		.amdhsa_user_sgpr_private_segment_size 0
		.amdhsa_wavefront_size32 1
		.amdhsa_uses_dynamic_stack 0
		.amdhsa_enable_private_segment 0
		.amdhsa_system_sgpr_workgroup_id_x 1
		.amdhsa_system_sgpr_workgroup_id_y 0
		.amdhsa_system_sgpr_workgroup_id_z 0
		.amdhsa_system_sgpr_workgroup_info 0
		.amdhsa_system_vgpr_workitem_id 0
		.amdhsa_next_free_vgpr 11
		.amdhsa_next_free_sgpr 16
		.amdhsa_reserve_vcc 1
		.amdhsa_float_round_mode_32 0
		.amdhsa_float_round_mode_16_64 0
		.amdhsa_float_denorm_mode_32 3
		.amdhsa_float_denorm_mode_16_64 3
		.amdhsa_dx10_clamp 1
		.amdhsa_ieee_mode 1
		.amdhsa_fp16_overflow 0
		.amdhsa_workgroup_processor_mode 1
		.amdhsa_memory_ordered 1
		.amdhsa_forward_progress 0
		.amdhsa_shared_vgpr_count 0
		.amdhsa_exception_fp_ieee_invalid_op 0
		.amdhsa_exception_fp_denorm_src 0
		.amdhsa_exception_fp_ieee_div_zero 0
		.amdhsa_exception_fp_ieee_overflow 0
		.amdhsa_exception_fp_ieee_underflow 0
		.amdhsa_exception_fp_ieee_inexact 0
		.amdhsa_exception_int_div_zero 0
	.end_amdhsa_kernel
	.section	.text._Z21inclusive_scan_kernelILj512ELN6hipcub18BlockScanAlgorithmE0EN10test_utils16custom_test_typeIiEEEvPT1_,"axG",@progbits,_Z21inclusive_scan_kernelILj512ELN6hipcub18BlockScanAlgorithmE0EN10test_utils16custom_test_typeIiEEEvPT1_,comdat
.Lfunc_end164:
	.size	_Z21inclusive_scan_kernelILj512ELN6hipcub18BlockScanAlgorithmE0EN10test_utils16custom_test_typeIiEEEvPT1_, .Lfunc_end164-_Z21inclusive_scan_kernelILj512ELN6hipcub18BlockScanAlgorithmE0EN10test_utils16custom_test_typeIiEEEvPT1_
                                        ; -- End function
	.section	.AMDGPU.csdata,"",@progbits
; Kernel info:
; codeLenInByte = 748
; NumSgprs: 18
; NumVgprs: 11
; ScratchSize: 0
; MemoryBound: 0
; FloatMode: 240
; IeeeMode: 1
; LDSByteSize: 128 bytes/workgroup (compile time only)
; SGPRBlocks: 2
; VGPRBlocks: 1
; NumSGPRsForWavesPerEU: 18
; NumVGPRsForWavesPerEU: 11
; Occupancy: 16
; WaveLimiterHint : 0
; COMPUTE_PGM_RSRC2:SCRATCH_EN: 0
; COMPUTE_PGM_RSRC2:USER_SGPR: 15
; COMPUTE_PGM_RSRC2:TRAP_HANDLER: 0
; COMPUTE_PGM_RSRC2:TGID_X_EN: 1
; COMPUTE_PGM_RSRC2:TGID_Y_EN: 0
; COMPUTE_PGM_RSRC2:TGID_Z_EN: 0
; COMPUTE_PGM_RSRC2:TIDIG_COMP_CNT: 0
	.section	.text._Z21inclusive_scan_kernelILj256ELN6hipcub18BlockScanAlgorithmE0EN10test_utils16custom_test_typeIiEEEvPT1_,"axG",@progbits,_Z21inclusive_scan_kernelILj256ELN6hipcub18BlockScanAlgorithmE0EN10test_utils16custom_test_typeIiEEEvPT1_,comdat
	.protected	_Z21inclusive_scan_kernelILj256ELN6hipcub18BlockScanAlgorithmE0EN10test_utils16custom_test_typeIiEEEvPT1_ ; -- Begin function _Z21inclusive_scan_kernelILj256ELN6hipcub18BlockScanAlgorithmE0EN10test_utils16custom_test_typeIiEEEvPT1_
	.globl	_Z21inclusive_scan_kernelILj256ELN6hipcub18BlockScanAlgorithmE0EN10test_utils16custom_test_typeIiEEEvPT1_
	.p2align	8
	.type	_Z21inclusive_scan_kernelILj256ELN6hipcub18BlockScanAlgorithmE0EN10test_utils16custom_test_typeIiEEEvPT1_,@function
_Z21inclusive_scan_kernelILj256ELN6hipcub18BlockScanAlgorithmE0EN10test_utils16custom_test_typeIiEEEvPT1_: ; @_Z21inclusive_scan_kernelILj256ELN6hipcub18BlockScanAlgorithmE0EN10test_utils16custom_test_typeIiEEEvPT1_
; %bb.0:
	s_load_b64 s[0:1], s[0:1], 0x0
	v_mov_b32_e32 v2, 0
	v_lshl_or_b32 v1, s15, 8, v0
	v_mbcnt_lo_u32_b32 v5, -1, 0
	s_delay_alu instid0(VALU_DEP_2) | instskip(NEXT) | instid1(VALU_DEP_2)
	v_lshlrev_b64 v[1:2], 3, v[1:2]
	v_and_b32_e32 v6, 15, v5
	s_waitcnt lgkmcnt(0)
	s_delay_alu instid0(VALU_DEP_2) | instskip(NEXT) | instid1(VALU_DEP_3)
	v_add_co_u32 v1, vcc_lo, s0, v1
	v_add_co_ci_u32_e32 v2, vcc_lo, s1, v2, vcc_lo
	s_delay_alu instid0(VALU_DEP_3)
	v_cmp_eq_u32_e32 vcc_lo, 0, v6
	s_mov_b32 s0, exec_lo
	global_load_b64 v[3:4], v[1:2], off
	s_waitcnt vmcnt(0)
	v_mov_b32_dpp v7, v3 row_shr:1 row_mask:0xf bank_mask:0xf
	v_mov_b32_dpp v8, v4 row_shr:1 row_mask:0xf bank_mask:0xf
	s_delay_alu instid0(VALU_DEP_2) | instskip(NEXT) | instid1(VALU_DEP_2)
	v_cndmask_b32_e64 v7, v7, 0, vcc_lo
	v_cndmask_b32_e64 v8, v8, 0, vcc_lo
	v_cmp_lt_u32_e32 vcc_lo, 1, v6
	s_delay_alu instid0(VALU_DEP_3) | instskip(NEXT) | instid1(VALU_DEP_1)
	v_add_nc_u32_e32 v3, v7, v3
	v_mov_b32_dpp v7, v3 row_shr:2 row_mask:0xf bank_mask:0xf
	s_delay_alu instid0(VALU_DEP_1) | instskip(NEXT) | instid1(VALU_DEP_1)
	v_cndmask_b32_e32 v7, 0, v7, vcc_lo
	v_add_nc_u32_e32 v3, v3, v7
	s_delay_alu instid0(VALU_DEP_1) | instskip(SKIP_1) | instid1(VALU_DEP_1)
	v_mov_b32_dpp v7, v3 row_shr:4 row_mask:0xf bank_mask:0xf
	v_add_nc_u32_e32 v4, v8, v4
	v_mov_b32_dpp v8, v4 row_shr:2 row_mask:0xf bank_mask:0xf
	s_delay_alu instid0(VALU_DEP_1) | instskip(SKIP_2) | instid1(VALU_DEP_1)
	v_cndmask_b32_e32 v8, 0, v8, vcc_lo
	v_cmp_lt_u32_e32 vcc_lo, 3, v6
	v_cndmask_b32_e32 v7, 0, v7, vcc_lo
	v_add_nc_u32_e32 v3, v3, v7
	s_delay_alu instid0(VALU_DEP_1) | instskip(SKIP_1) | instid1(VALU_DEP_1)
	v_mov_b32_dpp v7, v3 row_shr:8 row_mask:0xf bank_mask:0xf
	v_add_nc_u32_e32 v4, v4, v8
	v_mov_b32_dpp v8, v4 row_shr:4 row_mask:0xf bank_mask:0xf
	s_delay_alu instid0(VALU_DEP_1) | instskip(SKIP_1) | instid1(VALU_DEP_2)
	v_cndmask_b32_e32 v8, 0, v8, vcc_lo
	v_cmp_lt_u32_e32 vcc_lo, 7, v6
	v_dual_cndmask_b32 v7, 0, v7 :: v_dual_add_nc_u32 v4, v4, v8
	s_delay_alu instid0(VALU_DEP_1) | instskip(NEXT) | instid1(VALU_DEP_2)
	v_add_nc_u32_e32 v3, v3, v7
	v_mov_b32_dpp v8, v4 row_shr:8 row_mask:0xf bank_mask:0xf
	s_delay_alu instid0(VALU_DEP_1) | instskip(SKIP_1) | instid1(VALU_DEP_2)
	v_cndmask_b32_e32 v6, 0, v8, vcc_lo
	v_bfe_i32 v8, v5, 4, 1
	v_add_nc_u32_e32 v4, v4, v6
	ds_swizzle_b32 v6, v3 offset:swizzle(BROADCAST,32,15)
	ds_swizzle_b32 v7, v4 offset:swizzle(BROADCAST,32,15)
	s_waitcnt lgkmcnt(1)
	v_and_b32_e32 v9, v8, v6
	v_lshrrev_b32_e32 v6, 5, v0
	s_waitcnt lgkmcnt(0)
	v_and_b32_e32 v7, v8, v7
	v_or_b32_e32 v8, 31, v0
	v_add_nc_u32_e32 v3, v3, v9
	s_delay_alu instid0(VALU_DEP_3) | instskip(NEXT) | instid1(VALU_DEP_3)
	v_add_nc_u32_e32 v4, v4, v7
	v_cmpx_eq_u32_e64 v8, v0
	s_cbranch_execz .LBB165_2
; %bb.1:
	v_lshlrev_b32_e32 v7, 3, v6
	ds_store_2addr_b32 v7, v3, v4 offset1:1
.LBB165_2:
	s_or_b32 exec_lo, exec_lo, s0
	s_delay_alu instid0(SALU_CYCLE_1)
	s_mov_b32 s0, exec_lo
	s_waitcnt lgkmcnt(0)
	s_barrier
	buffer_gl0_inv
	v_cmpx_gt_u32_e32 8, v0
	s_cbranch_execz .LBB165_4
; %bb.3:
	v_lshlrev_b32_e32 v9, 3, v0
	v_and_b32_e32 v5, 7, v5
	ds_load_2addr_b32 v[7:8], v9 offset1:1
	v_cmp_eq_u32_e32 vcc_lo, 0, v5
	s_waitcnt lgkmcnt(0)
	v_mov_b32_dpp v10, v7 row_shr:1 row_mask:0xf bank_mask:0xf
	v_mov_b32_dpp v11, v8 row_shr:1 row_mask:0xf bank_mask:0xf
	s_delay_alu instid0(VALU_DEP_2) | instskip(NEXT) | instid1(VALU_DEP_2)
	v_cndmask_b32_e64 v10, v10, 0, vcc_lo
	v_cndmask_b32_e64 v11, v11, 0, vcc_lo
	v_cmp_lt_u32_e32 vcc_lo, 1, v5
	s_delay_alu instid0(VALU_DEP_3) | instskip(NEXT) | instid1(VALU_DEP_3)
	v_add_nc_u32_e32 v7, v10, v7
	v_add_nc_u32_e32 v8, v11, v8
	s_delay_alu instid0(VALU_DEP_2) | instskip(NEXT) | instid1(VALU_DEP_2)
	v_mov_b32_dpp v10, v7 row_shr:2 row_mask:0xf bank_mask:0xf
	v_mov_b32_dpp v11, v8 row_shr:2 row_mask:0xf bank_mask:0xf
	s_delay_alu instid0(VALU_DEP_1) | instskip(SKIP_1) | instid1(VALU_DEP_2)
	v_dual_cndmask_b32 v10, 0, v10 :: v_dual_cndmask_b32 v11, 0, v11
	v_cmp_lt_u32_e32 vcc_lo, 3, v5
	v_add_nc_u32_e32 v7, v10, v7
	s_delay_alu instid0(VALU_DEP_1) | instskip(NEXT) | instid1(VALU_DEP_1)
	v_mov_b32_dpp v10, v7 row_shr:4 row_mask:0xf bank_mask:0xf
	v_dual_cndmask_b32 v5, 0, v10 :: v_dual_add_nc_u32 v8, v11, v8
	s_delay_alu instid0(VALU_DEP_1) | instskip(NEXT) | instid1(VALU_DEP_2)
	v_mov_b32_dpp v11, v8 row_shr:4 row_mask:0xf bank_mask:0xf
	v_add_nc_u32_e32 v5, v5, v7
	s_delay_alu instid0(VALU_DEP_2) | instskip(NEXT) | instid1(VALU_DEP_1)
	v_cndmask_b32_e32 v10, 0, v11, vcc_lo
	v_add_nc_u32_e32 v7, v10, v8
	ds_store_2addr_b32 v9, v5, v7 offset1:1
.LBB165_4:
	s_or_b32 exec_lo, exec_lo, s0
	s_delay_alu instid0(SALU_CYCLE_1)
	s_mov_b32 s0, exec_lo
	s_waitcnt lgkmcnt(0)
	s_barrier
	buffer_gl0_inv
	v_cmpx_lt_u32_e32 31, v0
	s_cbranch_execz .LBB165_6
; %bb.5:
	v_lshl_add_u32 v0, v6, 3, -8
	ds_load_2addr_b32 v[5:6], v0 offset1:1
	s_waitcnt lgkmcnt(0)
	v_add_nc_u32_e32 v3, v3, v5
	v_add_nc_u32_e32 v4, v4, v6
.LBB165_6:
	s_or_b32 exec_lo, exec_lo, s0
	global_store_b64 v[1:2], v[3:4], off
	s_nop 0
	s_sendmsg sendmsg(MSG_DEALLOC_VGPRS)
	s_endpgm
	.section	.rodata,"a",@progbits
	.p2align	6, 0x0
	.amdhsa_kernel _Z21inclusive_scan_kernelILj256ELN6hipcub18BlockScanAlgorithmE0EN10test_utils16custom_test_typeIiEEEvPT1_
		.amdhsa_group_segment_fixed_size 64
		.amdhsa_private_segment_fixed_size 0
		.amdhsa_kernarg_size 8
		.amdhsa_user_sgpr_count 15
		.amdhsa_user_sgpr_dispatch_ptr 0
		.amdhsa_user_sgpr_queue_ptr 0
		.amdhsa_user_sgpr_kernarg_segment_ptr 1
		.amdhsa_user_sgpr_dispatch_id 0
		.amdhsa_user_sgpr_private_segment_size 0
		.amdhsa_wavefront_size32 1
		.amdhsa_uses_dynamic_stack 0
		.amdhsa_enable_private_segment 0
		.amdhsa_system_sgpr_workgroup_id_x 1
		.amdhsa_system_sgpr_workgroup_id_y 0
		.amdhsa_system_sgpr_workgroup_id_z 0
		.amdhsa_system_sgpr_workgroup_info 0
		.amdhsa_system_vgpr_workitem_id 0
		.amdhsa_next_free_vgpr 12
		.amdhsa_next_free_sgpr 16
		.amdhsa_reserve_vcc 1
		.amdhsa_float_round_mode_32 0
		.amdhsa_float_round_mode_16_64 0
		.amdhsa_float_denorm_mode_32 3
		.amdhsa_float_denorm_mode_16_64 3
		.amdhsa_dx10_clamp 1
		.amdhsa_ieee_mode 1
		.amdhsa_fp16_overflow 0
		.amdhsa_workgroup_processor_mode 1
		.amdhsa_memory_ordered 1
		.amdhsa_forward_progress 0
		.amdhsa_shared_vgpr_count 0
		.amdhsa_exception_fp_ieee_invalid_op 0
		.amdhsa_exception_fp_denorm_src 0
		.amdhsa_exception_fp_ieee_div_zero 0
		.amdhsa_exception_fp_ieee_overflow 0
		.amdhsa_exception_fp_ieee_underflow 0
		.amdhsa_exception_fp_ieee_inexact 0
		.amdhsa_exception_int_div_zero 0
	.end_amdhsa_kernel
	.section	.text._Z21inclusive_scan_kernelILj256ELN6hipcub18BlockScanAlgorithmE0EN10test_utils16custom_test_typeIiEEEvPT1_,"axG",@progbits,_Z21inclusive_scan_kernelILj256ELN6hipcub18BlockScanAlgorithmE0EN10test_utils16custom_test_typeIiEEEvPT1_,comdat
.Lfunc_end165:
	.size	_Z21inclusive_scan_kernelILj256ELN6hipcub18BlockScanAlgorithmE0EN10test_utils16custom_test_typeIiEEEvPT1_, .Lfunc_end165-_Z21inclusive_scan_kernelILj256ELN6hipcub18BlockScanAlgorithmE0EN10test_utils16custom_test_typeIiEEEvPT1_
                                        ; -- End function
	.section	.AMDGPU.csdata,"",@progbits
; Kernel info:
; codeLenInByte = 652
; NumSgprs: 18
; NumVgprs: 12
; ScratchSize: 0
; MemoryBound: 0
; FloatMode: 240
; IeeeMode: 1
; LDSByteSize: 64 bytes/workgroup (compile time only)
; SGPRBlocks: 2
; VGPRBlocks: 1
; NumSGPRsForWavesPerEU: 18
; NumVGPRsForWavesPerEU: 12
; Occupancy: 16
; WaveLimiterHint : 0
; COMPUTE_PGM_RSRC2:SCRATCH_EN: 0
; COMPUTE_PGM_RSRC2:USER_SGPR: 15
; COMPUTE_PGM_RSRC2:TRAP_HANDLER: 0
; COMPUTE_PGM_RSRC2:TGID_X_EN: 1
; COMPUTE_PGM_RSRC2:TGID_Y_EN: 0
; COMPUTE_PGM_RSRC2:TGID_Z_EN: 0
; COMPUTE_PGM_RSRC2:TIDIG_COMP_CNT: 0
	.section	.text._Z21inclusive_scan_kernelILj128ELN6hipcub18BlockScanAlgorithmE0EN10test_utils16custom_test_typeIiEEEvPT1_,"axG",@progbits,_Z21inclusive_scan_kernelILj128ELN6hipcub18BlockScanAlgorithmE0EN10test_utils16custom_test_typeIiEEEvPT1_,comdat
	.protected	_Z21inclusive_scan_kernelILj128ELN6hipcub18BlockScanAlgorithmE0EN10test_utils16custom_test_typeIiEEEvPT1_ ; -- Begin function _Z21inclusive_scan_kernelILj128ELN6hipcub18BlockScanAlgorithmE0EN10test_utils16custom_test_typeIiEEEvPT1_
	.globl	_Z21inclusive_scan_kernelILj128ELN6hipcub18BlockScanAlgorithmE0EN10test_utils16custom_test_typeIiEEEvPT1_
	.p2align	8
	.type	_Z21inclusive_scan_kernelILj128ELN6hipcub18BlockScanAlgorithmE0EN10test_utils16custom_test_typeIiEEEvPT1_,@function
_Z21inclusive_scan_kernelILj128ELN6hipcub18BlockScanAlgorithmE0EN10test_utils16custom_test_typeIiEEEvPT1_: ; @_Z21inclusive_scan_kernelILj128ELN6hipcub18BlockScanAlgorithmE0EN10test_utils16custom_test_typeIiEEEvPT1_
; %bb.0:
	s_load_b64 s[0:1], s[0:1], 0x0
	v_mov_b32_e32 v2, 0
	v_lshl_or_b32 v1, s15, 7, v0
	v_mbcnt_lo_u32_b32 v5, -1, 0
	s_delay_alu instid0(VALU_DEP_2) | instskip(NEXT) | instid1(VALU_DEP_2)
	v_lshlrev_b64 v[1:2], 3, v[1:2]
	v_and_b32_e32 v6, 15, v5
	s_waitcnt lgkmcnt(0)
	s_delay_alu instid0(VALU_DEP_2) | instskip(NEXT) | instid1(VALU_DEP_3)
	v_add_co_u32 v1, vcc_lo, s0, v1
	v_add_co_ci_u32_e32 v2, vcc_lo, s1, v2, vcc_lo
	s_delay_alu instid0(VALU_DEP_3)
	v_cmp_eq_u32_e32 vcc_lo, 0, v6
	s_mov_b32 s0, exec_lo
	global_load_b64 v[3:4], v[1:2], off
	s_waitcnt vmcnt(0)
	v_mov_b32_dpp v7, v3 row_shr:1 row_mask:0xf bank_mask:0xf
	v_mov_b32_dpp v8, v4 row_shr:1 row_mask:0xf bank_mask:0xf
	s_delay_alu instid0(VALU_DEP_2) | instskip(NEXT) | instid1(VALU_DEP_2)
	v_cndmask_b32_e64 v7, v7, 0, vcc_lo
	v_cndmask_b32_e64 v8, v8, 0, vcc_lo
	v_cmp_lt_u32_e32 vcc_lo, 1, v6
	s_delay_alu instid0(VALU_DEP_3) | instskip(NEXT) | instid1(VALU_DEP_1)
	v_add_nc_u32_e32 v3, v7, v3
	v_mov_b32_dpp v7, v3 row_shr:2 row_mask:0xf bank_mask:0xf
	s_delay_alu instid0(VALU_DEP_1) | instskip(NEXT) | instid1(VALU_DEP_1)
	v_cndmask_b32_e32 v7, 0, v7, vcc_lo
	v_add_nc_u32_e32 v3, v3, v7
	s_delay_alu instid0(VALU_DEP_1) | instskip(SKIP_1) | instid1(VALU_DEP_1)
	v_mov_b32_dpp v7, v3 row_shr:4 row_mask:0xf bank_mask:0xf
	v_add_nc_u32_e32 v4, v8, v4
	v_mov_b32_dpp v8, v4 row_shr:2 row_mask:0xf bank_mask:0xf
	s_delay_alu instid0(VALU_DEP_1) | instskip(SKIP_2) | instid1(VALU_DEP_1)
	v_cndmask_b32_e32 v8, 0, v8, vcc_lo
	v_cmp_lt_u32_e32 vcc_lo, 3, v6
	v_cndmask_b32_e32 v7, 0, v7, vcc_lo
	v_add_nc_u32_e32 v3, v3, v7
	s_delay_alu instid0(VALU_DEP_1) | instskip(SKIP_1) | instid1(VALU_DEP_1)
	v_mov_b32_dpp v7, v3 row_shr:8 row_mask:0xf bank_mask:0xf
	v_add_nc_u32_e32 v4, v4, v8
	v_mov_b32_dpp v8, v4 row_shr:4 row_mask:0xf bank_mask:0xf
	s_delay_alu instid0(VALU_DEP_1) | instskip(SKIP_1) | instid1(VALU_DEP_2)
	v_cndmask_b32_e32 v8, 0, v8, vcc_lo
	v_cmp_lt_u32_e32 vcc_lo, 7, v6
	v_dual_cndmask_b32 v7, 0, v7 :: v_dual_add_nc_u32 v4, v4, v8
	s_delay_alu instid0(VALU_DEP_1) | instskip(NEXT) | instid1(VALU_DEP_2)
	v_add_nc_u32_e32 v3, v3, v7
	v_mov_b32_dpp v8, v4 row_shr:8 row_mask:0xf bank_mask:0xf
	s_delay_alu instid0(VALU_DEP_1) | instskip(SKIP_1) | instid1(VALU_DEP_2)
	v_cndmask_b32_e32 v6, 0, v8, vcc_lo
	v_bfe_i32 v8, v5, 4, 1
	v_add_nc_u32_e32 v4, v4, v6
	ds_swizzle_b32 v6, v3 offset:swizzle(BROADCAST,32,15)
	ds_swizzle_b32 v7, v4 offset:swizzle(BROADCAST,32,15)
	s_waitcnt lgkmcnt(1)
	v_and_b32_e32 v9, v8, v6
	v_lshrrev_b32_e32 v6, 5, v0
	s_waitcnt lgkmcnt(0)
	v_and_b32_e32 v7, v8, v7
	v_or_b32_e32 v8, 31, v0
	v_add_nc_u32_e32 v3, v3, v9
	s_delay_alu instid0(VALU_DEP_3) | instskip(NEXT) | instid1(VALU_DEP_3)
	v_add_nc_u32_e32 v4, v4, v7
	v_cmpx_eq_u32_e64 v8, v0
	s_cbranch_execz .LBB166_2
; %bb.1:
	v_lshlrev_b32_e32 v7, 3, v6
	ds_store_2addr_b32 v7, v3, v4 offset1:1
.LBB166_2:
	s_or_b32 exec_lo, exec_lo, s0
	s_delay_alu instid0(SALU_CYCLE_1)
	s_mov_b32 s0, exec_lo
	s_waitcnt lgkmcnt(0)
	s_barrier
	buffer_gl0_inv
	v_cmpx_gt_u32_e32 4, v0
	s_cbranch_execz .LBB166_4
; %bb.3:
	v_lshlrev_b32_e32 v9, 3, v0
	v_and_b32_e32 v5, 3, v5
	ds_load_2addr_b32 v[7:8], v9 offset1:1
	v_cmp_eq_u32_e32 vcc_lo, 0, v5
	s_waitcnt lgkmcnt(0)
	v_mov_b32_dpp v10, v7 row_shr:1 row_mask:0xf bank_mask:0xf
	v_mov_b32_dpp v11, v8 row_shr:1 row_mask:0xf bank_mask:0xf
	s_delay_alu instid0(VALU_DEP_2) | instskip(NEXT) | instid1(VALU_DEP_2)
	v_cndmask_b32_e64 v10, v10, 0, vcc_lo
	v_cndmask_b32_e64 v11, v11, 0, vcc_lo
	v_cmp_lt_u32_e32 vcc_lo, 1, v5
	s_delay_alu instid0(VALU_DEP_3) | instskip(NEXT) | instid1(VALU_DEP_1)
	v_add_nc_u32_e32 v7, v10, v7
	v_mov_b32_dpp v10, v7 row_shr:2 row_mask:0xf bank_mask:0xf
	s_delay_alu instid0(VALU_DEP_1) | instskip(NEXT) | instid1(VALU_DEP_1)
	v_dual_cndmask_b32 v5, 0, v10 :: v_dual_add_nc_u32 v8, v11, v8
	v_mov_b32_dpp v11, v8 row_shr:2 row_mask:0xf bank_mask:0xf
	s_delay_alu instid0(VALU_DEP_2) | instskip(NEXT) | instid1(VALU_DEP_2)
	v_add_nc_u32_e32 v5, v5, v7
	v_cndmask_b32_e32 v10, 0, v11, vcc_lo
	s_delay_alu instid0(VALU_DEP_1)
	v_add_nc_u32_e32 v7, v10, v8
	ds_store_2addr_b32 v9, v5, v7 offset1:1
.LBB166_4:
	s_or_b32 exec_lo, exec_lo, s0
	s_delay_alu instid0(SALU_CYCLE_1)
	s_mov_b32 s0, exec_lo
	s_waitcnt lgkmcnt(0)
	s_barrier
	buffer_gl0_inv
	v_cmpx_lt_u32_e32 31, v0
	s_cbranch_execz .LBB166_6
; %bb.5:
	v_lshl_add_u32 v0, v6, 3, -8
	ds_load_2addr_b32 v[5:6], v0 offset1:1
	s_waitcnt lgkmcnt(0)
	v_add_nc_u32_e32 v3, v3, v5
	v_add_nc_u32_e32 v4, v4, v6
.LBB166_6:
	s_or_b32 exec_lo, exec_lo, s0
	global_store_b64 v[1:2], v[3:4], off
	s_nop 0
	s_sendmsg sendmsg(MSG_DEALLOC_VGPRS)
	s_endpgm
	.section	.rodata,"a",@progbits
	.p2align	6, 0x0
	.amdhsa_kernel _Z21inclusive_scan_kernelILj128ELN6hipcub18BlockScanAlgorithmE0EN10test_utils16custom_test_typeIiEEEvPT1_
		.amdhsa_group_segment_fixed_size 32
		.amdhsa_private_segment_fixed_size 0
		.amdhsa_kernarg_size 8
		.amdhsa_user_sgpr_count 15
		.amdhsa_user_sgpr_dispatch_ptr 0
		.amdhsa_user_sgpr_queue_ptr 0
		.amdhsa_user_sgpr_kernarg_segment_ptr 1
		.amdhsa_user_sgpr_dispatch_id 0
		.amdhsa_user_sgpr_private_segment_size 0
		.amdhsa_wavefront_size32 1
		.amdhsa_uses_dynamic_stack 0
		.amdhsa_enable_private_segment 0
		.amdhsa_system_sgpr_workgroup_id_x 1
		.amdhsa_system_sgpr_workgroup_id_y 0
		.amdhsa_system_sgpr_workgroup_id_z 0
		.amdhsa_system_sgpr_workgroup_info 0
		.amdhsa_system_vgpr_workitem_id 0
		.amdhsa_next_free_vgpr 12
		.amdhsa_next_free_sgpr 16
		.amdhsa_reserve_vcc 1
		.amdhsa_float_round_mode_32 0
		.amdhsa_float_round_mode_16_64 0
		.amdhsa_float_denorm_mode_32 3
		.amdhsa_float_denorm_mode_16_64 3
		.amdhsa_dx10_clamp 1
		.amdhsa_ieee_mode 1
		.amdhsa_fp16_overflow 0
		.amdhsa_workgroup_processor_mode 1
		.amdhsa_memory_ordered 1
		.amdhsa_forward_progress 0
		.amdhsa_shared_vgpr_count 0
		.amdhsa_exception_fp_ieee_invalid_op 0
		.amdhsa_exception_fp_denorm_src 0
		.amdhsa_exception_fp_ieee_div_zero 0
		.amdhsa_exception_fp_ieee_overflow 0
		.amdhsa_exception_fp_ieee_underflow 0
		.amdhsa_exception_fp_ieee_inexact 0
		.amdhsa_exception_int_div_zero 0
	.end_amdhsa_kernel
	.section	.text._Z21inclusive_scan_kernelILj128ELN6hipcub18BlockScanAlgorithmE0EN10test_utils16custom_test_typeIiEEEvPT1_,"axG",@progbits,_Z21inclusive_scan_kernelILj128ELN6hipcub18BlockScanAlgorithmE0EN10test_utils16custom_test_typeIiEEEvPT1_,comdat
.Lfunc_end166:
	.size	_Z21inclusive_scan_kernelILj128ELN6hipcub18BlockScanAlgorithmE0EN10test_utils16custom_test_typeIiEEEvPT1_, .Lfunc_end166-_Z21inclusive_scan_kernelILj128ELN6hipcub18BlockScanAlgorithmE0EN10test_utils16custom_test_typeIiEEEvPT1_
                                        ; -- End function
	.section	.AMDGPU.csdata,"",@progbits
; Kernel info:
; codeLenInByte = 608
; NumSgprs: 18
; NumVgprs: 12
; ScratchSize: 0
; MemoryBound: 0
; FloatMode: 240
; IeeeMode: 1
; LDSByteSize: 32 bytes/workgroup (compile time only)
; SGPRBlocks: 2
; VGPRBlocks: 1
; NumSGPRsForWavesPerEU: 18
; NumVGPRsForWavesPerEU: 12
; Occupancy: 16
; WaveLimiterHint : 0
; COMPUTE_PGM_RSRC2:SCRATCH_EN: 0
; COMPUTE_PGM_RSRC2:USER_SGPR: 15
; COMPUTE_PGM_RSRC2:TRAP_HANDLER: 0
; COMPUTE_PGM_RSRC2:TGID_X_EN: 1
; COMPUTE_PGM_RSRC2:TGID_Y_EN: 0
; COMPUTE_PGM_RSRC2:TGID_Z_EN: 0
; COMPUTE_PGM_RSRC2:TIDIG_COMP_CNT: 0
	.section	.text._Z21inclusive_scan_kernelILj64ELN6hipcub18BlockScanAlgorithmE0EN10test_utils16custom_test_typeIiEEEvPT1_,"axG",@progbits,_Z21inclusive_scan_kernelILj64ELN6hipcub18BlockScanAlgorithmE0EN10test_utils16custom_test_typeIiEEEvPT1_,comdat
	.protected	_Z21inclusive_scan_kernelILj64ELN6hipcub18BlockScanAlgorithmE0EN10test_utils16custom_test_typeIiEEEvPT1_ ; -- Begin function _Z21inclusive_scan_kernelILj64ELN6hipcub18BlockScanAlgorithmE0EN10test_utils16custom_test_typeIiEEEvPT1_
	.globl	_Z21inclusive_scan_kernelILj64ELN6hipcub18BlockScanAlgorithmE0EN10test_utils16custom_test_typeIiEEEvPT1_
	.p2align	8
	.type	_Z21inclusive_scan_kernelILj64ELN6hipcub18BlockScanAlgorithmE0EN10test_utils16custom_test_typeIiEEEvPT1_,@function
_Z21inclusive_scan_kernelILj64ELN6hipcub18BlockScanAlgorithmE0EN10test_utils16custom_test_typeIiEEEvPT1_: ; @_Z21inclusive_scan_kernelILj64ELN6hipcub18BlockScanAlgorithmE0EN10test_utils16custom_test_typeIiEEEvPT1_
; %bb.0:
	s_load_b64 s[0:1], s[0:1], 0x0
	v_mov_b32_e32 v2, 0
	v_lshl_or_b32 v1, s15, 6, v0
	v_mbcnt_lo_u32_b32 v5, -1, 0
	s_delay_alu instid0(VALU_DEP_2) | instskip(NEXT) | instid1(VALU_DEP_2)
	v_lshlrev_b64 v[1:2], 3, v[1:2]
	v_and_b32_e32 v6, 15, v5
	s_waitcnt lgkmcnt(0)
	s_delay_alu instid0(VALU_DEP_2) | instskip(NEXT) | instid1(VALU_DEP_3)
	v_add_co_u32 v1, vcc_lo, s0, v1
	v_add_co_ci_u32_e32 v2, vcc_lo, s1, v2, vcc_lo
	s_delay_alu instid0(VALU_DEP_3)
	v_cmp_eq_u32_e32 vcc_lo, 0, v6
	s_mov_b32 s0, exec_lo
	global_load_b64 v[3:4], v[1:2], off
	s_waitcnt vmcnt(0)
	v_mov_b32_dpp v7, v3 row_shr:1 row_mask:0xf bank_mask:0xf
	v_mov_b32_dpp v8, v4 row_shr:1 row_mask:0xf bank_mask:0xf
	s_delay_alu instid0(VALU_DEP_2) | instskip(NEXT) | instid1(VALU_DEP_2)
	v_cndmask_b32_e64 v7, v7, 0, vcc_lo
	v_cndmask_b32_e64 v8, v8, 0, vcc_lo
	v_cmp_lt_u32_e32 vcc_lo, 1, v6
	s_delay_alu instid0(VALU_DEP_3) | instskip(NEXT) | instid1(VALU_DEP_1)
	v_add_nc_u32_e32 v3, v7, v3
	v_mov_b32_dpp v7, v3 row_shr:2 row_mask:0xf bank_mask:0xf
	s_delay_alu instid0(VALU_DEP_1) | instskip(NEXT) | instid1(VALU_DEP_1)
	v_cndmask_b32_e32 v7, 0, v7, vcc_lo
	v_add_nc_u32_e32 v3, v3, v7
	s_delay_alu instid0(VALU_DEP_1) | instskip(SKIP_1) | instid1(VALU_DEP_1)
	v_mov_b32_dpp v7, v3 row_shr:4 row_mask:0xf bank_mask:0xf
	v_add_nc_u32_e32 v4, v8, v4
	v_mov_b32_dpp v8, v4 row_shr:2 row_mask:0xf bank_mask:0xf
	s_delay_alu instid0(VALU_DEP_1) | instskip(SKIP_2) | instid1(VALU_DEP_1)
	v_cndmask_b32_e32 v8, 0, v8, vcc_lo
	v_cmp_lt_u32_e32 vcc_lo, 3, v6
	v_cndmask_b32_e32 v7, 0, v7, vcc_lo
	v_add_nc_u32_e32 v3, v3, v7
	s_delay_alu instid0(VALU_DEP_1) | instskip(SKIP_1) | instid1(VALU_DEP_1)
	v_mov_b32_dpp v7, v3 row_shr:8 row_mask:0xf bank_mask:0xf
	v_add_nc_u32_e32 v4, v4, v8
	v_mov_b32_dpp v8, v4 row_shr:4 row_mask:0xf bank_mask:0xf
	s_delay_alu instid0(VALU_DEP_1) | instskip(SKIP_1) | instid1(VALU_DEP_2)
	v_cndmask_b32_e32 v8, 0, v8, vcc_lo
	v_cmp_lt_u32_e32 vcc_lo, 7, v6
	v_dual_cndmask_b32 v7, 0, v7 :: v_dual_add_nc_u32 v4, v4, v8
	s_delay_alu instid0(VALU_DEP_1) | instskip(NEXT) | instid1(VALU_DEP_2)
	v_add_nc_u32_e32 v3, v3, v7
	v_mov_b32_dpp v8, v4 row_shr:8 row_mask:0xf bank_mask:0xf
	s_delay_alu instid0(VALU_DEP_1) | instskip(SKIP_1) | instid1(VALU_DEP_2)
	v_cndmask_b32_e32 v6, 0, v8, vcc_lo
	v_bfe_i32 v8, v5, 4, 1
	v_add_nc_u32_e32 v4, v4, v6
	ds_swizzle_b32 v6, v3 offset:swizzle(BROADCAST,32,15)
	ds_swizzle_b32 v7, v4 offset:swizzle(BROADCAST,32,15)
	s_waitcnt lgkmcnt(1)
	v_and_b32_e32 v9, v8, v6
	v_lshrrev_b32_e32 v6, 5, v0
	s_waitcnt lgkmcnt(0)
	v_and_b32_e32 v7, v8, v7
	v_or_b32_e32 v8, 31, v0
	v_add_nc_u32_e32 v3, v3, v9
	s_delay_alu instid0(VALU_DEP_3) | instskip(NEXT) | instid1(VALU_DEP_3)
	v_add_nc_u32_e32 v4, v4, v7
	v_cmpx_eq_u32_e64 v8, v0
	s_cbranch_execz .LBB167_2
; %bb.1:
	v_lshlrev_b32_e32 v7, 3, v6
	ds_store_2addr_b32 v7, v3, v4 offset1:1
.LBB167_2:
	s_or_b32 exec_lo, exec_lo, s0
	s_delay_alu instid0(SALU_CYCLE_1)
	s_mov_b32 s0, exec_lo
	s_waitcnt lgkmcnt(0)
	s_barrier
	buffer_gl0_inv
	v_cmpx_gt_u32_e32 2, v0
	s_cbranch_execz .LBB167_4
; %bb.3:
	v_lshlrev_b32_e32 v9, 3, v0
	v_bfe_i32 v5, v5, 0, 1
	ds_load_2addr_b32 v[7:8], v9 offset1:1
	s_waitcnt lgkmcnt(0)
	v_mov_b32_dpp v10, v7 row_shr:1 row_mask:0xf bank_mask:0xf
	v_mov_b32_dpp v11, v8 row_shr:1 row_mask:0xf bank_mask:0xf
	s_delay_alu instid0(VALU_DEP_2) | instskip(NEXT) | instid1(VALU_DEP_2)
	v_and_b32_e32 v10, v5, v10
	v_and_b32_e32 v5, v5, v11
	s_delay_alu instid0(VALU_DEP_2) | instskip(NEXT) | instid1(VALU_DEP_2)
	v_add_nc_u32_e32 v7, v10, v7
	v_add_nc_u32_e32 v5, v5, v8
	ds_store_2addr_b32 v9, v7, v5 offset1:1
.LBB167_4:
	s_or_b32 exec_lo, exec_lo, s0
	s_delay_alu instid0(SALU_CYCLE_1)
	s_mov_b32 s0, exec_lo
	s_waitcnt lgkmcnt(0)
	s_barrier
	buffer_gl0_inv
	v_cmpx_lt_u32_e32 31, v0
	s_cbranch_execz .LBB167_6
; %bb.5:
	v_lshl_add_u32 v0, v6, 3, -8
	ds_load_2addr_b32 v[5:6], v0 offset1:1
	s_waitcnt lgkmcnt(0)
	v_add_nc_u32_e32 v3, v3, v5
	v_add_nc_u32_e32 v4, v4, v6
.LBB167_6:
	s_or_b32 exec_lo, exec_lo, s0
	global_store_b64 v[1:2], v[3:4], off
	s_nop 0
	s_sendmsg sendmsg(MSG_DEALLOC_VGPRS)
	s_endpgm
	.section	.rodata,"a",@progbits
	.p2align	6, 0x0
	.amdhsa_kernel _Z21inclusive_scan_kernelILj64ELN6hipcub18BlockScanAlgorithmE0EN10test_utils16custom_test_typeIiEEEvPT1_
		.amdhsa_group_segment_fixed_size 16
		.amdhsa_private_segment_fixed_size 0
		.amdhsa_kernarg_size 8
		.amdhsa_user_sgpr_count 15
		.amdhsa_user_sgpr_dispatch_ptr 0
		.amdhsa_user_sgpr_queue_ptr 0
		.amdhsa_user_sgpr_kernarg_segment_ptr 1
		.amdhsa_user_sgpr_dispatch_id 0
		.amdhsa_user_sgpr_private_segment_size 0
		.amdhsa_wavefront_size32 1
		.amdhsa_uses_dynamic_stack 0
		.amdhsa_enable_private_segment 0
		.amdhsa_system_sgpr_workgroup_id_x 1
		.amdhsa_system_sgpr_workgroup_id_y 0
		.amdhsa_system_sgpr_workgroup_id_z 0
		.amdhsa_system_sgpr_workgroup_info 0
		.amdhsa_system_vgpr_workitem_id 0
		.amdhsa_next_free_vgpr 12
		.amdhsa_next_free_sgpr 16
		.amdhsa_reserve_vcc 1
		.amdhsa_float_round_mode_32 0
		.amdhsa_float_round_mode_16_64 0
		.amdhsa_float_denorm_mode_32 3
		.amdhsa_float_denorm_mode_16_64 3
		.amdhsa_dx10_clamp 1
		.amdhsa_ieee_mode 1
		.amdhsa_fp16_overflow 0
		.amdhsa_workgroup_processor_mode 1
		.amdhsa_memory_ordered 1
		.amdhsa_forward_progress 0
		.amdhsa_shared_vgpr_count 0
		.amdhsa_exception_fp_ieee_invalid_op 0
		.amdhsa_exception_fp_denorm_src 0
		.amdhsa_exception_fp_ieee_div_zero 0
		.amdhsa_exception_fp_ieee_overflow 0
		.amdhsa_exception_fp_ieee_underflow 0
		.amdhsa_exception_fp_ieee_inexact 0
		.amdhsa_exception_int_div_zero 0
	.end_amdhsa_kernel
	.section	.text._Z21inclusive_scan_kernelILj64ELN6hipcub18BlockScanAlgorithmE0EN10test_utils16custom_test_typeIiEEEvPT1_,"axG",@progbits,_Z21inclusive_scan_kernelILj64ELN6hipcub18BlockScanAlgorithmE0EN10test_utils16custom_test_typeIiEEEvPT1_,comdat
.Lfunc_end167:
	.size	_Z21inclusive_scan_kernelILj64ELN6hipcub18BlockScanAlgorithmE0EN10test_utils16custom_test_typeIiEEEvPT1_, .Lfunc_end167-_Z21inclusive_scan_kernelILj64ELN6hipcub18BlockScanAlgorithmE0EN10test_utils16custom_test_typeIiEEEvPT1_
                                        ; -- End function
	.section	.AMDGPU.csdata,"",@progbits
; Kernel info:
; codeLenInByte = 552
; NumSgprs: 18
; NumVgprs: 12
; ScratchSize: 0
; MemoryBound: 0
; FloatMode: 240
; IeeeMode: 1
; LDSByteSize: 16 bytes/workgroup (compile time only)
; SGPRBlocks: 2
; VGPRBlocks: 1
; NumSGPRsForWavesPerEU: 18
; NumVGPRsForWavesPerEU: 12
; Occupancy: 16
; WaveLimiterHint : 0
; COMPUTE_PGM_RSRC2:SCRATCH_EN: 0
; COMPUTE_PGM_RSRC2:USER_SGPR: 15
; COMPUTE_PGM_RSRC2:TRAP_HANDLER: 0
; COMPUTE_PGM_RSRC2:TGID_X_EN: 1
; COMPUTE_PGM_RSRC2:TGID_Y_EN: 0
; COMPUTE_PGM_RSRC2:TGID_Z_EN: 0
; COMPUTE_PGM_RSRC2:TIDIG_COMP_CNT: 0
	.section	.text._Z27inclusive_scan_array_kernelILj16ELj5ELN6hipcub18BlockScanAlgorithmE1E12hip_bfloat16EvPT2_,"axG",@progbits,_Z27inclusive_scan_array_kernelILj16ELj5ELN6hipcub18BlockScanAlgorithmE1E12hip_bfloat16EvPT2_,comdat
	.protected	_Z27inclusive_scan_array_kernelILj16ELj5ELN6hipcub18BlockScanAlgorithmE1E12hip_bfloat16EvPT2_ ; -- Begin function _Z27inclusive_scan_array_kernelILj16ELj5ELN6hipcub18BlockScanAlgorithmE1E12hip_bfloat16EvPT2_
	.globl	_Z27inclusive_scan_array_kernelILj16ELj5ELN6hipcub18BlockScanAlgorithmE1E12hip_bfloat16EvPT2_
	.p2align	8
	.type	_Z27inclusive_scan_array_kernelILj16ELj5ELN6hipcub18BlockScanAlgorithmE1E12hip_bfloat16EvPT2_,@function
_Z27inclusive_scan_array_kernelILj16ELj5ELN6hipcub18BlockScanAlgorithmE1E12hip_bfloat16EvPT2_: ; @_Z27inclusive_scan_array_kernelILj16ELj5ELN6hipcub18BlockScanAlgorithmE1E12hip_bfloat16EvPT2_
; %bb.0:
	v_lshl_or_b32 v1, s15, 4, v0
	s_load_b64 s[0:1], s[0:1], 0x0
	s_delay_alu instid0(VALU_DEP_1) | instskip(SKIP_1) | instid1(VALU_DEP_2)
	v_lshl_add_u32 v8, v1, 2, v1
	v_mov_b32_e32 v9, 0
	v_add_nc_u32_e32 v1, 1, v8
	s_delay_alu instid0(VALU_DEP_2)
	v_lshlrev_b64 v[10:11], 1, v[8:9]
	v_add_nc_u32_e32 v15, 2, v8
	v_add_nc_u32_e32 v3, 3, v8
	;; [unrolled: 1-line block ×3, first 2 shown]
	v_mov_b32_e32 v2, v9
	v_mov_b32_e32 v4, v9
	v_mov_b32_e32 v16, v9
	s_delay_alu instid0(VALU_DEP_4) | instskip(NEXT) | instid1(VALU_DEP_4)
	v_lshlrev_b64 v[5:6], 1, v[8:9]
	v_lshlrev_b64 v[1:2], 1, v[1:2]
	s_delay_alu instid0(VALU_DEP_4) | instskip(SKIP_1) | instid1(VALU_DEP_2)
	v_lshlrev_b64 v[3:4], 1, v[3:4]
	s_waitcnt lgkmcnt(0)
	v_add_co_u32 v1, vcc_lo, s0, v1
	s_delay_alu instid0(VALU_DEP_3) | instskip(NEXT) | instid1(VALU_DEP_3)
	v_add_co_ci_u32_e32 v2, vcc_lo, s1, v2, vcc_lo
	v_add_co_u32 v3, vcc_lo, s0, v3
	s_delay_alu instid0(VALU_DEP_4)
	v_add_co_ci_u32_e32 v4, vcc_lo, s1, v4, vcc_lo
	v_add_co_u32 v5, vcc_lo, s0, v5
	v_add_co_ci_u32_e32 v6, vcc_lo, s1, v6, vcc_lo
	v_add_co_u32 v7, vcc_lo, s0, v10
	v_add_co_ci_u32_e32 v8, vcc_lo, s1, v11, vcc_lo
	s_clause 0x3
	global_load_u16 v13, v[3:4], off
	global_load_u16 v14, v[5:6], off
	global_load_u16 v17, v[1:2], off
	global_load_u16 v11, v[7:8], off
	v_lshlrev_b64 v[9:10], 1, v[15:16]
	s_delay_alu instid0(VALU_DEP_1) | instskip(NEXT) | instid1(VALU_DEP_2)
	v_add_co_u32 v9, vcc_lo, s0, v9
	v_add_co_ci_u32_e32 v10, vcc_lo, s1, v10, vcc_lo
	global_load_u16 v12, v[9:10], off
	s_waitcnt vmcnt(2)
	v_lshlrev_b32_e32 v15, 16, v17
	s_waitcnt vmcnt(1)
	v_lshlrev_b32_e32 v17, 16, v11
	s_delay_alu instid0(VALU_DEP_1) | instskip(NEXT) | instid1(VALU_DEP_1)
	v_add_f32_e32 v16, v17, v15
	v_and_b32_e32 v18, 0x7f800000, v16
	s_delay_alu instid0(VALU_DEP_1) | instskip(SKIP_1) | instid1(SALU_CYCLE_1)
	v_cmp_ne_u32_e32 vcc_lo, 0x7f800000, v18
                                        ; implicit-def: $vgpr18
	s_and_saveexec_b32 s0, vcc_lo
	s_xor_b32 s0, exec_lo, s0
; %bb.1:
	v_bfe_u32 v18, v16, 16, 1
	s_delay_alu instid0(VALU_DEP_1)
	v_add3_u32 v18, v16, v18, 0x7fff
; %bb.2:
	s_and_not1_saveexec_b32 s0, s0
; %bb.3:
	v_and_b32_e32 v18, 0xffff, v16
	v_or_b32_e32 v19, 0x10000, v16
	s_delay_alu instid0(VALU_DEP_2) | instskip(NEXT) | instid1(VALU_DEP_2)
	v_cmp_eq_u32_e32 vcc_lo, 0, v18
	v_cndmask_b32_e32 v18, v19, v16, vcc_lo
; %bb.4:
	s_or_b32 exec_lo, exec_lo, s0
	s_delay_alu instid0(VALU_DEP_1) | instskip(SKIP_2) | instid1(VALU_DEP_1)
	v_and_b32_e32 v18, 0xffff0000, v18
	s_waitcnt vmcnt(0)
	v_lshlrev_b32_e32 v12, 16, v12
	v_add_f32_e32 v18, v18, v12
	s_delay_alu instid0(VALU_DEP_1) | instskip(NEXT) | instid1(VALU_DEP_1)
	v_and_b32_e32 v19, 0x7f800000, v18
	v_cmp_ne_u32_e32 vcc_lo, 0x7f800000, v19
                                        ; implicit-def: $vgpr19
	s_and_saveexec_b32 s0, vcc_lo
	s_delay_alu instid0(SALU_CYCLE_1)
	s_xor_b32 s0, exec_lo, s0
; %bb.5:
	v_bfe_u32 v19, v18, 16, 1
	s_delay_alu instid0(VALU_DEP_1)
	v_add3_u32 v19, v18, v19, 0x7fff
                                        ; implicit-def: $vgpr18
; %bb.6:
	s_and_not1_saveexec_b32 s0, s0
; %bb.7:
	v_and_b32_e32 v19, 0xffff, v18
	v_or_b32_e32 v20, 0x10000, v18
	s_delay_alu instid0(VALU_DEP_2) | instskip(NEXT) | instid1(VALU_DEP_2)
	v_cmp_eq_u32_e32 vcc_lo, 0, v19
	v_cndmask_b32_e32 v19, v20, v18, vcc_lo
; %bb.8:
	s_or_b32 exec_lo, exec_lo, s0
	s_delay_alu instid0(VALU_DEP_1) | instskip(SKIP_1) | instid1(VALU_DEP_1)
	v_and_b32_e32 v18, 0xffff0000, v19
	v_lshlrev_b32_e32 v13, 16, v13
	v_add_f32_e32 v18, v18, v13
	s_delay_alu instid0(VALU_DEP_1) | instskip(NEXT) | instid1(VALU_DEP_1)
	v_and_b32_e32 v19, 0x7f800000, v18
	v_cmp_ne_u32_e32 vcc_lo, 0x7f800000, v19
                                        ; implicit-def: $vgpr19
	s_and_saveexec_b32 s0, vcc_lo
	s_delay_alu instid0(SALU_CYCLE_1)
	s_xor_b32 s0, exec_lo, s0
; %bb.9:
	v_bfe_u32 v19, v18, 16, 1
	s_delay_alu instid0(VALU_DEP_1)
	v_add3_u32 v19, v18, v19, 0x7fff
                                        ; implicit-def: $vgpr18
; %bb.10:
	s_and_not1_saveexec_b32 s0, s0
; %bb.11:
	v_and_b32_e32 v19, 0xffff, v18
	v_or_b32_e32 v20, 0x10000, v18
	s_delay_alu instid0(VALU_DEP_2) | instskip(NEXT) | instid1(VALU_DEP_2)
	v_cmp_eq_u32_e32 vcc_lo, 0, v19
	v_cndmask_b32_e32 v19, v20, v18, vcc_lo
; %bb.12:
	s_or_b32 exec_lo, exec_lo, s0
	s_delay_alu instid0(VALU_DEP_1) | instskip(SKIP_1) | instid1(VALU_DEP_1)
	v_and_b32_e32 v18, 0xffff0000, v19
	v_lshlrev_b32_e32 v14, 16, v14
	v_add_f32_e32 v18, v18, v14
	s_delay_alu instid0(VALU_DEP_1) | instskip(NEXT) | instid1(VALU_DEP_1)
	v_and_b32_e32 v19, 0x7f800000, v18
	v_cmp_ne_u32_e32 vcc_lo, 0x7f800000, v19
                                        ; implicit-def: $vgpr19
	s_and_saveexec_b32 s0, vcc_lo
	s_delay_alu instid0(SALU_CYCLE_1)
	s_xor_b32 s0, exec_lo, s0
; %bb.13:
	v_bfe_u32 v19, v18, 16, 1
	s_delay_alu instid0(VALU_DEP_1)
	v_add3_u32 v19, v18, v19, 0x7fff
                                        ; implicit-def: $vgpr18
; %bb.14:
	s_and_not1_saveexec_b32 s0, s0
; %bb.15:
	v_and_b32_e32 v19, 0xffff, v18
	v_or_b32_e32 v20, 0x10000, v18
	s_delay_alu instid0(VALU_DEP_2) | instskip(NEXT) | instid1(VALU_DEP_2)
	v_cmp_eq_u32_e32 vcc_lo, 0, v19
	v_cndmask_b32_e32 v19, v20, v18, vcc_lo
; %bb.16:
	s_or_b32 exec_lo, exec_lo, s0
	s_delay_alu instid0(VALU_DEP_1) | instskip(SKIP_2) | instid1(VALU_DEP_2)
	v_lshrrev_b32_e32 v21, 16, v19
	v_and_b32_e32 v20, 0xffff0000, v19
	s_mov_b32 s0, exec_lo
                                        ; implicit-def: $vgpr22
	v_mov_b32_dpp v18, v21 row_shr:1 row_mask:0xf bank_mask:0xf
	s_delay_alu instid0(VALU_DEP_1) | instskip(NEXT) | instid1(VALU_DEP_1)
	v_lshlrev_b32_e32 v18, 16, v18
	v_add_f32_e32 v18, v20, v18
	s_delay_alu instid0(VALU_DEP_1) | instskip(NEXT) | instid1(VALU_DEP_1)
	v_and_b32_e32 v19, 0x7f800000, v18
	v_cmpx_ne_u32_e32 0x7f800000, v19
	s_xor_b32 s0, exec_lo, s0
; %bb.17:
	v_bfe_u32 v19, v18, 16, 1
	s_delay_alu instid0(VALU_DEP_1)
	v_add3_u32 v22, v18, v19, 0x7fff
                                        ; implicit-def: $vgpr18
; %bb.18:
	s_and_not1_saveexec_b32 s0, s0
; %bb.19:
	v_and_b32_e32 v19, 0xffff, v18
	v_or_b32_e32 v22, 0x10000, v18
	s_delay_alu instid0(VALU_DEP_2) | instskip(NEXT) | instid1(VALU_DEP_2)
	v_cmp_eq_u32_e32 vcc_lo, 0, v19
	v_cndmask_b32_e32 v22, v22, v18, vcc_lo
; %bb.20:
	s_or_b32 exec_lo, exec_lo, s0
	v_mbcnt_lo_u32_b32 v18, -1, 0
	s_delay_alu instid0(VALU_DEP_2) | instskip(SKIP_1) | instid1(VALU_DEP_3)
	v_lshrrev_b32_e32 v23, 16, v22
	v_and_b32_e32 v22, 0xffff0000, v22
	v_and_b32_e32 v19, 15, v18
	s_delay_alu instid0(VALU_DEP_1) | instskip(NEXT) | instid1(VALU_DEP_3)
	v_cmp_eq_u32_e32 vcc_lo, 0, v19
	v_dual_cndmask_b32 v20, v22, v20 :: v_dual_cndmask_b32 v21, v23, v21
	s_delay_alu instid0(VALU_DEP_1) | instskip(NEXT) | instid1(VALU_DEP_1)
	v_mov_b32_dpp v23, v21 row_shr:2 row_mask:0xf bank_mask:0xf
	v_lshlrev_b32_e32 v22, 16, v23
	s_delay_alu instid0(VALU_DEP_1) | instskip(NEXT) | instid1(VALU_DEP_1)
	v_add_f32_e32 v23, v20, v22
	v_and_b32_e32 v22, 0x7f800000, v23
	s_delay_alu instid0(VALU_DEP_1) | instskip(SKIP_1) | instid1(SALU_CYCLE_1)
	v_cmp_ne_u32_e32 vcc_lo, 0x7f800000, v22
                                        ; implicit-def: $vgpr22
	s_and_saveexec_b32 s0, vcc_lo
	s_xor_b32 s0, exec_lo, s0
; %bb.21:
	v_bfe_u32 v22, v23, 16, 1
	s_delay_alu instid0(VALU_DEP_1)
	v_add3_u32 v22, v23, v22, 0x7fff
                                        ; implicit-def: $vgpr23
; %bb.22:
	s_and_not1_saveexec_b32 s0, s0
; %bb.23:
	v_and_b32_e32 v22, 0xffff, v23
	v_or_b32_e32 v24, 0x10000, v23
	s_delay_alu instid0(VALU_DEP_2) | instskip(NEXT) | instid1(VALU_DEP_2)
	v_cmp_eq_u32_e32 vcc_lo, 0, v22
	v_cndmask_b32_e32 v22, v24, v23, vcc_lo
; %bb.24:
	s_or_b32 exec_lo, exec_lo, s0
	s_delay_alu instid0(VALU_DEP_1) | instskip(SKIP_1) | instid1(VALU_DEP_2)
	v_lshrrev_b32_e32 v23, 16, v22
	v_cmp_lt_u32_e32 vcc_lo, 1, v19
	v_dual_cndmask_b32 v21, v21, v23 :: v_dual_and_b32 v22, 0xffff0000, v22
	s_delay_alu instid0(VALU_DEP_1) | instskip(NEXT) | instid1(VALU_DEP_2)
	v_cndmask_b32_e32 v20, v20, v22, vcc_lo
	v_mov_b32_dpp v23, v21 row_shr:4 row_mask:0xf bank_mask:0xf
	s_delay_alu instid0(VALU_DEP_1) | instskip(NEXT) | instid1(VALU_DEP_1)
	v_lshlrev_b32_e32 v22, 16, v23
	v_add_f32_e32 v23, v20, v22
	s_delay_alu instid0(VALU_DEP_1) | instskip(NEXT) | instid1(VALU_DEP_1)
	v_and_b32_e32 v22, 0x7f800000, v23
	v_cmp_ne_u32_e32 vcc_lo, 0x7f800000, v22
                                        ; implicit-def: $vgpr22
	s_and_saveexec_b32 s0, vcc_lo
	s_delay_alu instid0(SALU_CYCLE_1)
	s_xor_b32 s0, exec_lo, s0
; %bb.25:
	v_bfe_u32 v22, v23, 16, 1
	s_delay_alu instid0(VALU_DEP_1)
	v_add3_u32 v22, v23, v22, 0x7fff
                                        ; implicit-def: $vgpr23
; %bb.26:
	s_and_not1_saveexec_b32 s0, s0
; %bb.27:
	v_and_b32_e32 v22, 0xffff, v23
	v_or_b32_e32 v24, 0x10000, v23
	s_delay_alu instid0(VALU_DEP_2) | instskip(NEXT) | instid1(VALU_DEP_2)
	v_cmp_eq_u32_e32 vcc_lo, 0, v22
	v_cndmask_b32_e32 v22, v24, v23, vcc_lo
; %bb.28:
	s_or_b32 exec_lo, exec_lo, s0
	s_delay_alu instid0(VALU_DEP_1) | instskip(SKIP_1) | instid1(VALU_DEP_2)
	v_lshrrev_b32_e32 v23, 16, v22
	v_cmp_lt_u32_e32 vcc_lo, 3, v19
	v_dual_cndmask_b32 v21, v21, v23 :: v_dual_and_b32 v22, 0xffff0000, v22
	s_delay_alu instid0(VALU_DEP_1) | instskip(NEXT) | instid1(VALU_DEP_2)
	v_cndmask_b32_e32 v20, v20, v22, vcc_lo
	v_mov_b32_dpp v23, v21 row_shr:8 row_mask:0xf bank_mask:0xf
	s_delay_alu instid0(VALU_DEP_1) | instskip(NEXT) | instid1(VALU_DEP_1)
	v_lshlrev_b32_e32 v22, 16, v23
	v_add_f32_e32 v20, v20, v22
	s_delay_alu instid0(VALU_DEP_1) | instskip(NEXT) | instid1(VALU_DEP_1)
	v_and_b32_e32 v22, 0x7f800000, v20
	v_cmp_ne_u32_e32 vcc_lo, 0x7f800000, v22
                                        ; implicit-def: $vgpr22
	s_and_saveexec_b32 s0, vcc_lo
	s_delay_alu instid0(SALU_CYCLE_1)
	s_xor_b32 s0, exec_lo, s0
; %bb.29:
	v_bfe_u32 v22, v20, 16, 1
	s_delay_alu instid0(VALU_DEP_1)
	v_add3_u32 v22, v20, v22, 0x7fff
                                        ; implicit-def: $vgpr20
; %bb.30:
	s_and_not1_saveexec_b32 s0, s0
; %bb.31:
	v_and_b32_e32 v22, 0xffff, v20
	v_or_b32_e32 v23, 0x10000, v20
	s_delay_alu instid0(VALU_DEP_2) | instskip(NEXT) | instid1(VALU_DEP_2)
	v_cmp_eq_u32_e32 vcc_lo, 0, v22
	v_cndmask_b32_e32 v22, v23, v20, vcc_lo
; %bb.32:
	s_or_b32 exec_lo, exec_lo, s0
	s_delay_alu instid0(VALU_DEP_1) | instskip(SKIP_2) | instid1(VALU_DEP_2)
	v_lshrrev_b32_e32 v20, 16, v22
	v_cmp_lt_u32_e32 vcc_lo, 7, v19
	s_mov_b32 s0, exec_lo
	v_cndmask_b32_e32 v19, v21, v20, vcc_lo
	v_cmpx_eq_u32_e32 15, v0
	s_cbranch_execz .LBB168_34
; %bb.33:
	v_mov_b32_e32 v20, 0
	ds_store_b16 v20, v19
.LBB168_34:
	s_or_b32 exec_lo, exec_lo, s0
	v_add_nc_u32_e32 v20, -1, v18
	v_and_b32_e32 v21, 16, v18
	s_mov_b32 s0, exec_lo
	s_waitcnt vmcnt(0) lgkmcnt(0)
	s_waitcnt_vscnt null, 0x0
	; wave barrier
	s_waitcnt lgkmcnt(0)
	buffer_gl0_inv
	v_cmp_lt_i32_e32 vcc_lo, v20, v21
	v_cndmask_b32_e32 v18, v20, v18, vcc_lo
	s_delay_alu instid0(VALU_DEP_1)
	v_lshlrev_b32_e32 v18, 2, v18
	ds_bpermute_b32 v18, v18, v19
	v_cmpx_ne_u32_e32 0, v0
	s_cbranch_execz .LBB168_40
; %bb.35:
	s_waitcnt lgkmcnt(0)
	v_lshlrev_b32_e32 v0, 16, v18
	s_delay_alu instid0(VALU_DEP_1) | instskip(NEXT) | instid1(VALU_DEP_1)
	v_add_f32_e32 v11, v17, v0
	v_and_b32_e32 v0, 0x7f800000, v11
	s_delay_alu instid0(VALU_DEP_1) | instskip(SKIP_1) | instid1(SALU_CYCLE_1)
	v_cmp_ne_u32_e32 vcc_lo, 0x7f800000, v0
                                        ; implicit-def: $vgpr0
	s_and_saveexec_b32 s1, vcc_lo
	s_xor_b32 s1, exec_lo, s1
; %bb.36:
	v_bfe_u32 v0, v11, 16, 1
	s_delay_alu instid0(VALU_DEP_1)
	v_add3_u32 v0, v11, v0, 0x7fff
                                        ; implicit-def: $vgpr11
; %bb.37:
	s_and_not1_saveexec_b32 s1, s1
; %bb.38:
	v_and_b32_e32 v0, 0xffff, v11
	v_or_b32_e32 v16, 0x10000, v11
	s_delay_alu instid0(VALU_DEP_2) | instskip(NEXT) | instid1(VALU_DEP_2)
	v_cmp_eq_u32_e32 vcc_lo, 0, v0
	v_cndmask_b32_e32 v0, v16, v11, vcc_lo
; %bb.39:
	s_or_b32 exec_lo, exec_lo, s1
	s_delay_alu instid0(VALU_DEP_1) | instskip(SKIP_1) | instid1(VALU_DEP_2)
	v_and_b32_e32 v16, 0xffff0000, v0
	v_lshrrev_b32_e32 v11, 16, v0
	v_add_f32_e32 v16, v15, v16
.LBB168_40:
	s_or_b32 exec_lo, exec_lo, s0
	s_delay_alu instid0(VALU_DEP_1) | instskip(NEXT) | instid1(VALU_DEP_1)
	v_and_b32_e32 v0, 0x7f800000, v16
	v_cmp_ne_u32_e32 vcc_lo, 0x7f800000, v0
                                        ; implicit-def: $vgpr0
	s_and_saveexec_b32 s0, vcc_lo
	s_delay_alu instid0(SALU_CYCLE_1)
	s_xor_b32 s0, exec_lo, s0
; %bb.41:
	v_bfe_u32 v0, v16, 16, 1
	s_delay_alu instid0(VALU_DEP_1)
	v_add3_u32 v0, v16, v0, 0x7fff
                                        ; implicit-def: $vgpr16
; %bb.42:
	s_and_not1_saveexec_b32 s0, s0
; %bb.43:
	v_and_b32_e32 v0, 0xffff, v16
	v_or_b32_e32 v15, 0x10000, v16
	s_delay_alu instid0(VALU_DEP_2) | instskip(NEXT) | instid1(VALU_DEP_2)
	v_cmp_eq_u32_e32 vcc_lo, 0, v0
	v_cndmask_b32_e32 v0, v15, v16, vcc_lo
; %bb.44:
	s_or_b32 exec_lo, exec_lo, s0
	s_delay_alu instid0(VALU_DEP_1) | instskip(NEXT) | instid1(VALU_DEP_1)
	v_and_b32_e32 v15, 0xffff0000, v0
	v_add_f32_e32 v15, v15, v12
	s_delay_alu instid0(VALU_DEP_1) | instskip(NEXT) | instid1(VALU_DEP_1)
	v_and_b32_e32 v12, 0x7f800000, v15
	v_cmp_ne_u32_e32 vcc_lo, 0x7f800000, v12
                                        ; implicit-def: $vgpr12
	s_and_saveexec_b32 s0, vcc_lo
	s_delay_alu instid0(SALU_CYCLE_1)
	s_xor_b32 s0, exec_lo, s0
; %bb.45:
	v_bfe_u32 v12, v15, 16, 1
	s_delay_alu instid0(VALU_DEP_1)
	v_add3_u32 v12, v15, v12, 0x7fff
                                        ; implicit-def: $vgpr15
; %bb.46:
	s_and_not1_saveexec_b32 s0, s0
; %bb.47:
	v_and_b32_e32 v12, 0xffff, v15
	v_or_b32_e32 v16, 0x10000, v15
	s_delay_alu instid0(VALU_DEP_2) | instskip(NEXT) | instid1(VALU_DEP_2)
	v_cmp_eq_u32_e32 vcc_lo, 0, v12
	v_cndmask_b32_e32 v12, v16, v15, vcc_lo
; %bb.48:
	s_or_b32 exec_lo, exec_lo, s0
	s_delay_alu instid0(VALU_DEP_1) | instskip(NEXT) | instid1(VALU_DEP_1)
	v_and_b32_e32 v15, 0xffff0000, v12
	v_add_f32_e32 v15, v15, v13
	s_delay_alu instid0(VALU_DEP_1) | instskip(NEXT) | instid1(VALU_DEP_1)
	v_and_b32_e32 v13, 0x7f800000, v15
	v_cmp_ne_u32_e32 vcc_lo, 0x7f800000, v13
                                        ; implicit-def: $vgpr13
	s_and_saveexec_b32 s0, vcc_lo
	s_delay_alu instid0(SALU_CYCLE_1)
	s_xor_b32 s0, exec_lo, s0
; %bb.49:
	v_bfe_u32 v13, v15, 16, 1
	s_delay_alu instid0(VALU_DEP_1)
	v_add3_u32 v13, v15, v13, 0x7fff
                                        ; implicit-def: $vgpr15
; %bb.50:
	s_and_not1_saveexec_b32 s0, s0
; %bb.51:
	v_and_b32_e32 v13, 0xffff, v15
	v_or_b32_e32 v16, 0x10000, v15
	s_delay_alu instid0(VALU_DEP_2) | instskip(NEXT) | instid1(VALU_DEP_2)
	v_cmp_eq_u32_e32 vcc_lo, 0, v13
	v_cndmask_b32_e32 v13, v16, v15, vcc_lo
; %bb.52:
	s_or_b32 exec_lo, exec_lo, s0
	s_delay_alu instid0(VALU_DEP_1) | instskip(NEXT) | instid1(VALU_DEP_1)
	v_and_b32_e32 v15, 0xffff0000, v13
	v_add_f32_e32 v15, v15, v14
	s_delay_alu instid0(VALU_DEP_1) | instskip(NEXT) | instid1(VALU_DEP_1)
	v_and_b32_e32 v14, 0x7f800000, v15
	v_cmp_ne_u32_e32 vcc_lo, 0x7f800000, v14
                                        ; implicit-def: $vgpr14
	s_and_saveexec_b32 s0, vcc_lo
	s_delay_alu instid0(SALU_CYCLE_1)
	s_xor_b32 s0, exec_lo, s0
; %bb.53:
	v_bfe_u32 v14, v15, 16, 1
	s_delay_alu instid0(VALU_DEP_1)
	v_add3_u32 v14, v15, v14, 0x7fff
                                        ; implicit-def: $vgpr15
; %bb.54:
	s_and_not1_saveexec_b32 s0, s0
; %bb.55:
	v_and_b32_e32 v14, 0xffff, v15
	v_or_b32_e32 v16, 0x10000, v15
	s_delay_alu instid0(VALU_DEP_2) | instskip(NEXT) | instid1(VALU_DEP_2)
	v_cmp_eq_u32_e32 vcc_lo, 0, v14
	v_cndmask_b32_e32 v14, v16, v15, vcc_lo
; %bb.56:
	s_or_b32 exec_lo, exec_lo, s0
	s_clause 0x4
	global_store_b16 v[7:8], v11, off
	global_store_d16_hi_b16 v[1:2], v0, off
	global_store_d16_hi_b16 v[9:10], v12, off
	;; [unrolled: 1-line block ×4, first 2 shown]
	s_nop 0
	s_sendmsg sendmsg(MSG_DEALLOC_VGPRS)
	s_endpgm
	.section	.rodata,"a",@progbits
	.p2align	6, 0x0
	.amdhsa_kernel _Z27inclusive_scan_array_kernelILj16ELj5ELN6hipcub18BlockScanAlgorithmE1E12hip_bfloat16EvPT2_
		.amdhsa_group_segment_fixed_size 2
		.amdhsa_private_segment_fixed_size 0
		.amdhsa_kernarg_size 8
		.amdhsa_user_sgpr_count 15
		.amdhsa_user_sgpr_dispatch_ptr 0
		.amdhsa_user_sgpr_queue_ptr 0
		.amdhsa_user_sgpr_kernarg_segment_ptr 1
		.amdhsa_user_sgpr_dispatch_id 0
		.amdhsa_user_sgpr_private_segment_size 0
		.amdhsa_wavefront_size32 1
		.amdhsa_uses_dynamic_stack 0
		.amdhsa_enable_private_segment 0
		.amdhsa_system_sgpr_workgroup_id_x 1
		.amdhsa_system_sgpr_workgroup_id_y 0
		.amdhsa_system_sgpr_workgroup_id_z 0
		.amdhsa_system_sgpr_workgroup_info 0
		.amdhsa_system_vgpr_workitem_id 0
		.amdhsa_next_free_vgpr 25
		.amdhsa_next_free_sgpr 16
		.amdhsa_reserve_vcc 1
		.amdhsa_float_round_mode_32 0
		.amdhsa_float_round_mode_16_64 0
		.amdhsa_float_denorm_mode_32 3
		.amdhsa_float_denorm_mode_16_64 3
		.amdhsa_dx10_clamp 1
		.amdhsa_ieee_mode 1
		.amdhsa_fp16_overflow 0
		.amdhsa_workgroup_processor_mode 1
		.amdhsa_memory_ordered 1
		.amdhsa_forward_progress 0
		.amdhsa_shared_vgpr_count 0
		.amdhsa_exception_fp_ieee_invalid_op 0
		.amdhsa_exception_fp_denorm_src 0
		.amdhsa_exception_fp_ieee_div_zero 0
		.amdhsa_exception_fp_ieee_overflow 0
		.amdhsa_exception_fp_ieee_underflow 0
		.amdhsa_exception_fp_ieee_inexact 0
		.amdhsa_exception_int_div_zero 0
	.end_amdhsa_kernel
	.section	.text._Z27inclusive_scan_array_kernelILj16ELj5ELN6hipcub18BlockScanAlgorithmE1E12hip_bfloat16EvPT2_,"axG",@progbits,_Z27inclusive_scan_array_kernelILj16ELj5ELN6hipcub18BlockScanAlgorithmE1E12hip_bfloat16EvPT2_,comdat
.Lfunc_end168:
	.size	_Z27inclusive_scan_array_kernelILj16ELj5ELN6hipcub18BlockScanAlgorithmE1E12hip_bfloat16EvPT2_, .Lfunc_end168-_Z27inclusive_scan_array_kernelILj16ELj5ELN6hipcub18BlockScanAlgorithmE1E12hip_bfloat16EvPT2_
                                        ; -- End function
	.section	.AMDGPU.csdata,"",@progbits
; Kernel info:
; codeLenInByte = 1960
; NumSgprs: 18
; NumVgprs: 25
; ScratchSize: 0
; MemoryBound: 0
; FloatMode: 240
; IeeeMode: 1
; LDSByteSize: 2 bytes/workgroup (compile time only)
; SGPRBlocks: 2
; VGPRBlocks: 3
; NumSGPRsForWavesPerEU: 18
; NumVGPRsForWavesPerEU: 25
; Occupancy: 16
; WaveLimiterHint : 0
; COMPUTE_PGM_RSRC2:SCRATCH_EN: 0
; COMPUTE_PGM_RSRC2:USER_SGPR: 15
; COMPUTE_PGM_RSRC2:TRAP_HANDLER: 0
; COMPUTE_PGM_RSRC2:TGID_X_EN: 1
; COMPUTE_PGM_RSRC2:TGID_Y_EN: 0
; COMPUTE_PGM_RSRC2:TGID_Z_EN: 0
; COMPUTE_PGM_RSRC2:TIDIG_COMP_CNT: 0
	.section	.text._Z27inclusive_scan_array_kernelILj65ELj5ELN6hipcub18BlockScanAlgorithmE1E6__halfEvPT2_,"axG",@progbits,_Z27inclusive_scan_array_kernelILj65ELj5ELN6hipcub18BlockScanAlgorithmE1E6__halfEvPT2_,comdat
	.protected	_Z27inclusive_scan_array_kernelILj65ELj5ELN6hipcub18BlockScanAlgorithmE1E6__halfEvPT2_ ; -- Begin function _Z27inclusive_scan_array_kernelILj65ELj5ELN6hipcub18BlockScanAlgorithmE1E6__halfEvPT2_
	.globl	_Z27inclusive_scan_array_kernelILj65ELj5ELN6hipcub18BlockScanAlgorithmE1E6__halfEvPT2_
	.p2align	8
	.type	_Z27inclusive_scan_array_kernelILj65ELj5ELN6hipcub18BlockScanAlgorithmE1E6__halfEvPT2_,@function
_Z27inclusive_scan_array_kernelILj65ELj5ELN6hipcub18BlockScanAlgorithmE1E6__halfEvPT2_: ; @_Z27inclusive_scan_array_kernelILj65ELj5ELN6hipcub18BlockScanAlgorithmE1E6__halfEvPT2_
; %bb.0:
	v_mad_u64_u32 v[1:2], null, 0x41, s15, v[0:1]
	s_load_b64 s[0:1], s[0:1], 0x0
	v_lshlrev_b32_e32 v17, 1, v0
	s_delay_alu instid0(VALU_DEP_2) | instskip(NEXT) | instid1(VALU_DEP_1)
	v_lshl_add_u32 v1, v1, 2, v1
	v_dual_mov_b32 v2, 0 :: v_dual_add_nc_u32 v3, 1, v1
	s_delay_alu instid0(VALU_DEP_1) | instskip(SKIP_3) | instid1(VALU_DEP_4)
	v_dual_mov_b32 v4, v2 :: v_dual_add_nc_u32 v5, 2, v1
	v_lshlrev_b64 v[9:10], 1, v[1:2]
	v_dual_mov_b32 v6, v2 :: v_dual_add_nc_u32 v7, 3, v1
	v_dual_mov_b32 v8, v2 :: v_dual_add_nc_u32 v1, 4, v1
	v_lshlrev_b64 v[3:4], 1, v[3:4]
	s_delay_alu instid0(VALU_DEP_3) | instskip(NEXT) | instid1(VALU_DEP_3)
	v_lshlrev_b64 v[5:6], 1, v[5:6]
	v_lshlrev_b64 v[7:8], 1, v[7:8]
	s_delay_alu instid0(VALU_DEP_4)
	v_lshlrev_b64 v[14:15], 1, v[1:2]
	s_waitcnt lgkmcnt(0)
	v_add_co_u32 v1, vcc_lo, s0, v9
	v_add_co_ci_u32_e32 v2, vcc_lo, s1, v10, vcc_lo
	v_add_co_u32 v3, vcc_lo, s0, v3
	v_add_co_ci_u32_e32 v4, vcc_lo, s1, v4, vcc_lo
	;; [unrolled: 2-line block ×3, first 2 shown]
	s_clause 0x1
	global_load_u16 v11, v[1:2], off
	global_load_u16 v12, v[3:4], off
	v_add_co_u32 v7, vcc_lo, s0, v7
	v_add_co_ci_u32_e32 v8, vcc_lo, s1, v8, vcc_lo
	global_load_u16 v13, v[5:6], off
	v_add_co_u32 v9, vcc_lo, s0, v14
	v_add_co_ci_u32_e32 v10, vcc_lo, s1, v15, vcc_lo
	s_clause 0x1
	global_load_u16 v14, v[7:8], off
	global_load_u16 v15, v[9:10], off
	s_mov_b32 s0, exec_lo
	s_waitcnt vmcnt(3)
	v_add_f16_e32 v16, v11, v12
	s_waitcnt vmcnt(2)
	s_delay_alu instid0(VALU_DEP_1) | instskip(SKIP_1) | instid1(VALU_DEP_1)
	v_add_f16_e32 v16, v16, v13
	s_waitcnt vmcnt(1)
	v_add_f16_e32 v16, v16, v14
	s_waitcnt vmcnt(0)
	s_delay_alu instid0(VALU_DEP_1)
	v_add_f16_e32 v16, v16, v15
	ds_store_b16 v17, v16
	s_waitcnt lgkmcnt(0)
	s_barrier
	buffer_gl0_inv
	v_cmpx_gt_u32_e32 32, v0
	s_cbranch_execz .LBB169_2
; %bb.1:
	v_mul_u32_u24_e32 v18, 3, v0
	v_mbcnt_lo_u32_b32 v24, -1, 0
	s_delay_alu instid0(VALU_DEP_1) | instskip(NEXT) | instid1(VALU_DEP_3)
	v_add_nc_u32_e32 v26, -1, v24
	v_lshlrev_b32_e32 v18, 1, v18
	ds_load_u16 v19, v18
	ds_load_u16 v20, v18 offset:2
	ds_load_u16 v21, v18 offset:4
	s_waitcnt lgkmcnt(1)
	v_add_f16_e32 v22, v19, v20
	s_waitcnt lgkmcnt(0)
	s_delay_alu instid0(VALU_DEP_1) | instskip(NEXT) | instid1(VALU_DEP_1)
	v_add_f16_e32 v22, v22, v21
	v_and_b32_e32 v23, 0xffff, v22
	s_delay_alu instid0(VALU_DEP_1) | instskip(NEXT) | instid1(VALU_DEP_1)
	v_mov_b32_dpp v23, v23 row_shr:1 row_mask:0xf bank_mask:0xf
	v_add_f16_e32 v23, v22, v23
	v_and_b32_e32 v25, 15, v24
	s_delay_alu instid0(VALU_DEP_1) | instskip(NEXT) | instid1(VALU_DEP_3)
	v_cmp_eq_u32_e32 vcc_lo, 0, v25
	v_cndmask_b32_e32 v22, v23, v22, vcc_lo
	v_cmp_lt_u32_e32 vcc_lo, 1, v25
	s_delay_alu instid0(VALU_DEP_2) | instskip(NEXT) | instid1(VALU_DEP_1)
	v_and_b32_e32 v23, 0xffff, v22
	v_mov_b32_dpp v23, v23 row_shr:2 row_mask:0xf bank_mask:0xf
	s_delay_alu instid0(VALU_DEP_1) | instskip(NEXT) | instid1(VALU_DEP_1)
	v_add_f16_e32 v23, v22, v23
	v_cndmask_b32_e32 v22, v22, v23, vcc_lo
	v_cmp_lt_u32_e32 vcc_lo, 3, v25
	s_delay_alu instid0(VALU_DEP_2) | instskip(NEXT) | instid1(VALU_DEP_1)
	v_and_b32_e32 v23, 0xffff, v22
	v_mov_b32_dpp v23, v23 row_shr:4 row_mask:0xf bank_mask:0xf
	s_delay_alu instid0(VALU_DEP_1) | instskip(NEXT) | instid1(VALU_DEP_1)
	v_add_f16_e32 v23, v22, v23
	v_cndmask_b32_e32 v22, v22, v23, vcc_lo
	v_cmp_lt_u32_e32 vcc_lo, 7, v25
	v_and_b32_e32 v25, 16, v24
	s_delay_alu instid0(VALU_DEP_3) | instskip(NEXT) | instid1(VALU_DEP_1)
	v_and_b32_e32 v23, 0xffff, v22
	v_mov_b32_dpp v23, v23 row_shr:8 row_mask:0xf bank_mask:0xf
	s_delay_alu instid0(VALU_DEP_1) | instskip(NEXT) | instid1(VALU_DEP_1)
	v_add_f16_e32 v23, v22, v23
	v_cndmask_b32_e32 v22, v22, v23, vcc_lo
	v_cmp_eq_u32_e32 vcc_lo, 0, v25
	s_delay_alu instid0(VALU_DEP_2) | instskip(SKIP_3) | instid1(VALU_DEP_1)
	v_and_b32_e32 v23, 0xffff, v22
	ds_swizzle_b32 v23, v23 offset:swizzle(BROADCAST,32,15)
	s_waitcnt lgkmcnt(0)
	v_add_f16_e32 v23, v22, v23
	v_cndmask_b32_e32 v22, v23, v22, vcc_lo
	v_cmp_gt_i32_e32 vcc_lo, 0, v26
	v_cndmask_b32_e32 v23, v26, v24, vcc_lo
	v_cmp_eq_u32_e32 vcc_lo, 0, v0
	s_delay_alu instid0(VALU_DEP_2) | instskip(SKIP_4) | instid1(VALU_DEP_1)
	v_lshlrev_b32_e32 v23, 2, v23
	v_and_b32_e32 v22, 0xffff, v22
	ds_bpermute_b32 v22, v23, v22
	s_waitcnt lgkmcnt(0)
	v_add_f16_e32 v19, v19, v22
	v_cndmask_b32_e32 v19, v19, v16, vcc_lo
	s_delay_alu instid0(VALU_DEP_1) | instskip(NEXT) | instid1(VALU_DEP_1)
	v_add_f16_e32 v20, v20, v19
	v_add_f16_e32 v21, v21, v20
	ds_store_b16 v18, v19
	ds_store_b16 v18, v20 offset:2
	ds_store_b16 v18, v21 offset:4
.LBB169_2:
	s_or_b32 exec_lo, exec_lo, s0
	v_cmp_eq_u32_e32 vcc_lo, 0, v0
	s_mov_b32 s1, exec_lo
	s_waitcnt lgkmcnt(0)
	s_barrier
	buffer_gl0_inv
	v_cmpx_ne_u32_e32 0, v0
	s_cbranch_execz .LBB169_4
; %bb.3:
	v_add_nc_u32_e32 v0, -2, v17
	ds_load_u16 v16, v0
.LBB169_4:
	s_or_b32 exec_lo, exec_lo, s1
	s_waitcnt lgkmcnt(0)
	v_add_f16_e32 v0, v16, v11
	s_delay_alu instid0(VALU_DEP_1) | instskip(NEXT) | instid1(VALU_DEP_1)
	v_cndmask_b32_e32 v0, v0, v11, vcc_lo
	v_add_f16_e32 v11, v0, v12
	s_delay_alu instid0(VALU_DEP_1) | instskip(NEXT) | instid1(VALU_DEP_1)
	v_add_f16_e32 v12, v11, v13
	v_add_f16_e32 v13, v12, v14
	s_delay_alu instid0(VALU_DEP_1)
	v_add_f16_e32 v14, v13, v15
	s_clause 0x4
	global_store_b16 v[1:2], v0, off
	global_store_b16 v[3:4], v11, off
	;; [unrolled: 1-line block ×5, first 2 shown]
	s_nop 0
	s_sendmsg sendmsg(MSG_DEALLOC_VGPRS)
	s_endpgm
	.section	.rodata,"a",@progbits
	.p2align	6, 0x0
	.amdhsa_kernel _Z27inclusive_scan_array_kernelILj65ELj5ELN6hipcub18BlockScanAlgorithmE1E6__halfEvPT2_
		.amdhsa_group_segment_fixed_size 192
		.amdhsa_private_segment_fixed_size 0
		.amdhsa_kernarg_size 8
		.amdhsa_user_sgpr_count 15
		.amdhsa_user_sgpr_dispatch_ptr 0
		.amdhsa_user_sgpr_queue_ptr 0
		.amdhsa_user_sgpr_kernarg_segment_ptr 1
		.amdhsa_user_sgpr_dispatch_id 0
		.amdhsa_user_sgpr_private_segment_size 0
		.amdhsa_wavefront_size32 1
		.amdhsa_uses_dynamic_stack 0
		.amdhsa_enable_private_segment 0
		.amdhsa_system_sgpr_workgroup_id_x 1
		.amdhsa_system_sgpr_workgroup_id_y 0
		.amdhsa_system_sgpr_workgroup_id_z 0
		.amdhsa_system_sgpr_workgroup_info 0
		.amdhsa_system_vgpr_workitem_id 0
		.amdhsa_next_free_vgpr 27
		.amdhsa_next_free_sgpr 16
		.amdhsa_reserve_vcc 1
		.amdhsa_float_round_mode_32 0
		.amdhsa_float_round_mode_16_64 0
		.amdhsa_float_denorm_mode_32 3
		.amdhsa_float_denorm_mode_16_64 3
		.amdhsa_dx10_clamp 1
		.amdhsa_ieee_mode 1
		.amdhsa_fp16_overflow 0
		.amdhsa_workgroup_processor_mode 1
		.amdhsa_memory_ordered 1
		.amdhsa_forward_progress 0
		.amdhsa_shared_vgpr_count 0
		.amdhsa_exception_fp_ieee_invalid_op 0
		.amdhsa_exception_fp_denorm_src 0
		.amdhsa_exception_fp_ieee_div_zero 0
		.amdhsa_exception_fp_ieee_overflow 0
		.amdhsa_exception_fp_ieee_underflow 0
		.amdhsa_exception_fp_ieee_inexact 0
		.amdhsa_exception_int_div_zero 0
	.end_amdhsa_kernel
	.section	.text._Z27inclusive_scan_array_kernelILj65ELj5ELN6hipcub18BlockScanAlgorithmE1E6__halfEvPT2_,"axG",@progbits,_Z27inclusive_scan_array_kernelILj65ELj5ELN6hipcub18BlockScanAlgorithmE1E6__halfEvPT2_,comdat
.Lfunc_end169:
	.size	_Z27inclusive_scan_array_kernelILj65ELj5ELN6hipcub18BlockScanAlgorithmE1E6__halfEvPT2_, .Lfunc_end169-_Z27inclusive_scan_array_kernelILj65ELj5ELN6hipcub18BlockScanAlgorithmE1E6__halfEvPT2_
                                        ; -- End function
	.section	.AMDGPU.csdata,"",@progbits
; Kernel info:
; codeLenInByte = 796
; NumSgprs: 18
; NumVgprs: 27
; ScratchSize: 0
; MemoryBound: 0
; FloatMode: 240
; IeeeMode: 1
; LDSByteSize: 192 bytes/workgroup (compile time only)
; SGPRBlocks: 2
; VGPRBlocks: 3
; NumSGPRsForWavesPerEU: 18
; NumVGPRsForWavesPerEU: 27
; Occupancy: 16
; WaveLimiterHint : 0
; COMPUTE_PGM_RSRC2:SCRATCH_EN: 0
; COMPUTE_PGM_RSRC2:USER_SGPR: 15
; COMPUTE_PGM_RSRC2:TRAP_HANDLER: 0
; COMPUTE_PGM_RSRC2:TGID_X_EN: 1
; COMPUTE_PGM_RSRC2:TGID_Y_EN: 0
; COMPUTE_PGM_RSRC2:TGID_Z_EN: 0
; COMPUTE_PGM_RSRC2:TIDIG_COMP_CNT: 0
	.section	.text._Z27inclusive_scan_array_kernelILj255ELj15ELN6hipcub18BlockScanAlgorithmE1EfEvPT2_,"axG",@progbits,_Z27inclusive_scan_array_kernelILj255ELj15ELN6hipcub18BlockScanAlgorithmE1EfEvPT2_,comdat
	.protected	_Z27inclusive_scan_array_kernelILj255ELj15ELN6hipcub18BlockScanAlgorithmE1EfEvPT2_ ; -- Begin function _Z27inclusive_scan_array_kernelILj255ELj15ELN6hipcub18BlockScanAlgorithmE1EfEvPT2_
	.globl	_Z27inclusive_scan_array_kernelILj255ELj15ELN6hipcub18BlockScanAlgorithmE1EfEvPT2_
	.p2align	8
	.type	_Z27inclusive_scan_array_kernelILj255ELj15ELN6hipcub18BlockScanAlgorithmE1EfEvPT2_,@function
_Z27inclusive_scan_array_kernelILj255ELj15ELN6hipcub18BlockScanAlgorithmE1EfEvPT2_: ; @_Z27inclusive_scan_array_kernelILj255ELj15ELN6hipcub18BlockScanAlgorithmE1EfEvPT2_
; %bb.0:
	v_mad_u64_u32 v[1:2], null, 0xff, s15, v[0:1]
	s_load_b64 s[0:1], s[0:1], 0x0
	v_lshrrev_b32_e32 v47, 5, v0
	s_delay_alu instid0(VALU_DEP_1) | instskip(NEXT) | instid1(VALU_DEP_3)
	v_add_lshl_u32 v47, v47, v0, 2
	v_mul_lo_u32 v27, v1, 15
	s_delay_alu instid0(VALU_DEP_1) | instskip(NEXT) | instid1(VALU_DEP_1)
	v_dual_mov_b32 v28, 0 :: v_dual_add_nc_u32 v1, 1, v27
	v_dual_mov_b32 v2, v28 :: v_dual_add_nc_u32 v3, 2, v27
	v_lshlrev_b64 v[9:10], 2, v[27:28]
	v_dual_mov_b32 v4, v28 :: v_dual_add_nc_u32 v5, 3, v27
	s_delay_alu instid0(VALU_DEP_3) | instskip(SKIP_1) | instid1(VALU_DEP_3)
	v_lshlrev_b64 v[11:12], 2, v[1:2]
	v_dual_mov_b32 v6, v28 :: v_dual_add_nc_u32 v7, 4, v27
	v_lshlrev_b64 v[13:14], 2, v[3:4]
	s_waitcnt lgkmcnt(0)
	v_add_co_u32 v1, vcc_lo, s0, v9
	v_mov_b32_e32 v8, v28
	v_add_co_ci_u32_e32 v2, vcc_lo, s1, v10, vcc_lo
	v_lshlrev_b64 v[15:16], 2, v[5:6]
	v_add_co_u32 v3, vcc_lo, s0, v11
	v_add_nc_u32_e32 v11, 5, v27
	v_add_co_ci_u32_e32 v4, vcc_lo, s1, v12, vcc_lo
	v_lshlrev_b64 v[17:18], 2, v[7:8]
	v_add_co_u32 v5, vcc_lo, s0, v13
	v_add_co_ci_u32_e32 v6, vcc_lo, s1, v14, vcc_lo
	v_add_co_u32 v7, vcc_lo, s0, v15
	v_add_co_ci_u32_e32 v8, vcc_lo, s1, v16, vcc_lo
	v_add_co_u32 v9, vcc_lo, s0, v17
	v_dual_mov_b32 v12, v28 :: v_dual_add_nc_u32 v13, 6, v27
	v_add_co_ci_u32_e32 v10, vcc_lo, s1, v18, vcc_lo
	s_clause 0x4
	global_load_b32 v31, v[1:2], off
	global_load_b32 v32, v[3:4], off
	;; [unrolled: 1-line block ×5, first 2 shown]
	v_dual_mov_b32 v14, v28 :: v_dual_add_nc_u32 v15, 7, v27
	v_lshlrev_b64 v[11:12], 2, v[11:12]
	v_dual_mov_b32 v16, v28 :: v_dual_add_nc_u32 v17, 8, v27
	s_delay_alu instid0(VALU_DEP_3) | instskip(SKIP_1) | instid1(VALU_DEP_4)
	v_lshlrev_b64 v[13:14], 2, v[13:14]
	v_dual_mov_b32 v18, v28 :: v_dual_add_nc_u32 v19, 9, v27
	v_add_co_u32 v11, vcc_lo, s0, v11
	s_delay_alu instid0(VALU_DEP_4)
	v_lshlrev_b64 v[15:16], 2, v[15:16]
	v_add_co_ci_u32_e32 v12, vcc_lo, s1, v12, vcc_lo
	v_add_co_u32 v13, vcc_lo, s0, v13
	v_add_co_ci_u32_e32 v14, vcc_lo, s1, v14, vcc_lo
	v_dual_mov_b32 v20, v28 :: v_dual_add_nc_u32 v21, 10, v27
	v_add_co_u32 v15, vcc_lo, s0, v15
	global_load_b32 v36, v[11:12], off
	v_lshlrev_b64 v[17:18], 2, v[17:18]
	v_add_co_ci_u32_e32 v16, vcc_lo, s1, v16, vcc_lo
	v_lshlrev_b64 v[19:20], 2, v[19:20]
	s_clause 0x1
	global_load_b32 v37, v[13:14], off
	global_load_b32 v38, v[15:16], off
	v_add_co_u32 v17, vcc_lo, s0, v17
	v_dual_mov_b32 v22, v28 :: v_dual_add_nc_u32 v23, 11, v27
	v_add_co_ci_u32_e32 v18, vcc_lo, s1, v18, vcc_lo
	v_add_co_u32 v19, vcc_lo, s0, v19
	v_dual_mov_b32 v24, v28 :: v_dual_add_nc_u32 v25, 12, v27
	v_add_co_ci_u32_e32 v20, vcc_lo, s1, v20, vcc_lo
	v_lshlrev_b64 v[21:22], 2, v[21:22]
	v_dual_mov_b32 v26, v28 :: v_dual_add_nc_u32 v29, 13, v27
	s_clause 0x1
	global_load_b32 v39, v[17:18], off
	global_load_b32 v40, v[19:20], off
	v_lshlrev_b64 v[23:24], 2, v[23:24]
	v_dual_mov_b32 v30, v28 :: v_dual_add_nc_u32 v27, 14, v27
	v_add_co_u32 v21, vcc_lo, s0, v21
	v_lshlrev_b64 v[25:26], 2, v[25:26]
	v_add_co_ci_u32_e32 v22, vcc_lo, s1, v22, vcc_lo
	v_add_co_u32 v23, vcc_lo, s0, v23
	v_add_co_ci_u32_e32 v24, vcc_lo, s1, v24, vcc_lo
	s_delay_alu instid0(VALU_DEP_4)
	v_add_co_u32 v25, vcc_lo, s0, v25
	global_load_b32 v41, v[21:22], off
	v_lshlrev_b64 v[29:30], 2, v[29:30]
	v_add_co_ci_u32_e32 v26, vcc_lo, s1, v26, vcc_lo
	v_lshlrev_b64 v[44:45], 2, v[27:28]
	s_clause 0x1
	global_load_b32 v42, v[23:24], off
	global_load_b32 v43, v[25:26], off
	v_add_co_u32 v27, vcc_lo, s0, v29
	v_add_co_ci_u32_e32 v28, vcc_lo, s1, v30, vcc_lo
	v_add_co_u32 v29, vcc_lo, s0, v44
	v_add_co_ci_u32_e32 v30, vcc_lo, s1, v45, vcc_lo
	s_clause 0x1
	global_load_b32 v45, v[27:28], off
	global_load_b32 v44, v[29:30], off
	s_mov_b32 s0, exec_lo
	s_waitcnt vmcnt(13)
	v_add_f32_e32 v46, v31, v32
	s_waitcnt vmcnt(12)
	s_delay_alu instid0(VALU_DEP_1) | instskip(SKIP_1) | instid1(VALU_DEP_1)
	v_add_f32_e32 v46, v33, v46
	s_waitcnt vmcnt(11)
	v_add_f32_e32 v46, v34, v46
	s_waitcnt vmcnt(10)
	s_delay_alu instid0(VALU_DEP_1) | instskip(SKIP_1) | instid1(VALU_DEP_1)
	v_add_f32_e32 v46, v35, v46
	;; [unrolled: 5-line block ×6, first 2 shown]
	s_waitcnt vmcnt(1)
	v_add_f32_e32 v46, v45, v46
	s_waitcnt vmcnt(0)
	s_delay_alu instid0(VALU_DEP_1)
	v_add_f32_e32 v46, v44, v46
	ds_store_b32 v47, v46
	s_waitcnt lgkmcnt(0)
	s_barrier
	buffer_gl0_inv
	v_cmpx_gt_u32_e32 32, v0
	s_cbranch_execz .LBB170_2
; %bb.1:
	v_and_b32_e32 v47, 0xfc, v0
	v_mbcnt_lo_u32_b32 v57, -1, 0
	s_delay_alu instid0(VALU_DEP_2) | instskip(NEXT) | instid1(VALU_DEP_2)
	v_lshl_or_b32 v55, v0, 5, v47
	v_and_b32_e32 v60, 16, v57
	ds_load_2addr_b32 v[47:48], v55 offset1:1
	ds_load_2addr_b32 v[49:50], v55 offset0:2 offset1:3
	ds_load_2addr_b32 v[51:52], v55 offset0:4 offset1:5
	ds_load_2addr_b32 v[53:54], v55 offset0:6 offset1:7
	v_and_b32_e32 v59, 15, v57
	s_delay_alu instid0(VALU_DEP_1) | instskip(SKIP_3) | instid1(VALU_DEP_1)
	v_cmp_eq_u32_e32 vcc_lo, 0, v59
	s_waitcnt lgkmcnt(3)
	v_add_f32_e32 v56, v47, v48
	s_waitcnt lgkmcnt(2)
	v_add_f32_e32 v56, v56, v49
	s_delay_alu instid0(VALU_DEP_1) | instskip(SKIP_1) | instid1(VALU_DEP_1)
	v_add_f32_e32 v56, v56, v50
	s_waitcnt lgkmcnt(1)
	v_add_f32_e32 v56, v56, v51
	s_delay_alu instid0(VALU_DEP_1) | instskip(SKIP_1) | instid1(VALU_DEP_1)
	v_add_f32_e32 v56, v56, v52
	s_waitcnt lgkmcnt(0)
	v_add_f32_e32 v56, v56, v53
	s_delay_alu instid0(VALU_DEP_1) | instskip(NEXT) | instid1(VALU_DEP_1)
	v_add_f32_e32 v56, v56, v54
	v_mov_b32_dpp v58, v56 row_shr:1 row_mask:0xf bank_mask:0xf
	s_delay_alu instid0(VALU_DEP_1) | instskip(NEXT) | instid1(VALU_DEP_1)
	v_add_f32_e32 v58, v56, v58
	v_cndmask_b32_e32 v56, v58, v56, vcc_lo
	v_cmp_lt_u32_e32 vcc_lo, 1, v59
	s_delay_alu instid0(VALU_DEP_2) | instskip(NEXT) | instid1(VALU_DEP_1)
	v_mov_b32_dpp v58, v56 row_shr:2 row_mask:0xf bank_mask:0xf
	v_add_f32_e32 v58, v56, v58
	s_delay_alu instid0(VALU_DEP_1) | instskip(SKIP_1) | instid1(VALU_DEP_2)
	v_cndmask_b32_e32 v56, v56, v58, vcc_lo
	v_cmp_lt_u32_e32 vcc_lo, 3, v59
	v_mov_b32_dpp v58, v56 row_shr:4 row_mask:0xf bank_mask:0xf
	s_delay_alu instid0(VALU_DEP_1) | instskip(NEXT) | instid1(VALU_DEP_1)
	v_add_f32_e32 v58, v56, v58
	v_cndmask_b32_e32 v56, v56, v58, vcc_lo
	v_cmp_lt_u32_e32 vcc_lo, 7, v59
	v_add_nc_u32_e32 v59, -1, v57
	s_delay_alu instid0(VALU_DEP_3) | instskip(NEXT) | instid1(VALU_DEP_1)
	v_mov_b32_dpp v58, v56 row_shr:8 row_mask:0xf bank_mask:0xf
	v_add_f32_e32 v58, v56, v58
	s_delay_alu instid0(VALU_DEP_1) | instskip(NEXT) | instid1(VALU_DEP_4)
	v_cndmask_b32_e32 v56, v56, v58, vcc_lo
	v_cmp_gt_i32_e32 vcc_lo, 0, v59
	ds_swizzle_b32 v58, v56 offset:swizzle(BROADCAST,32,15)
	v_cndmask_b32_e32 v57, v59, v57, vcc_lo
	v_cmp_eq_u32_e32 vcc_lo, 0, v60
	s_waitcnt lgkmcnt(0)
	s_delay_alu instid0(VALU_DEP_2) | instskip(NEXT) | instid1(VALU_DEP_1)
	v_dual_add_f32 v58, v56, v58 :: v_dual_lshlrev_b32 v57, 2, v57
	v_cndmask_b32_e32 v56, v58, v56, vcc_lo
	v_cmp_eq_u32_e32 vcc_lo, 0, v0
	ds_bpermute_b32 v56, v57, v56
	s_waitcnt lgkmcnt(0)
	v_add_f32_e32 v47, v47, v56
	s_delay_alu instid0(VALU_DEP_1) | instskip(NEXT) | instid1(VALU_DEP_1)
	v_cndmask_b32_e32 v47, v47, v46, vcc_lo
	v_add_f32_e32 v48, v48, v47
	s_delay_alu instid0(VALU_DEP_1) | instskip(NEXT) | instid1(VALU_DEP_1)
	v_add_f32_e32 v49, v49, v48
	v_add_f32_e32 v50, v50, v49
	s_delay_alu instid0(VALU_DEP_1) | instskip(NEXT) | instid1(VALU_DEP_1)
	v_add_f32_e32 v51, v51, v50
	;; [unrolled: 3-line block ×3, first 2 shown]
	v_add_f32_e32 v54, v54, v53
	ds_store_2addr_b32 v55, v47, v48 offset1:1
	ds_store_2addr_b32 v55, v49, v50 offset0:2 offset1:3
	ds_store_2addr_b32 v55, v51, v52 offset0:4 offset1:5
	;; [unrolled: 1-line block ×3, first 2 shown]
.LBB170_2:
	s_or_b32 exec_lo, exec_lo, s0
	v_cmp_eq_u32_e32 vcc_lo, 0, v0
	s_mov_b32 s1, exec_lo
	s_waitcnt lgkmcnt(0)
	s_barrier
	buffer_gl0_inv
	v_cmpx_ne_u32_e32 0, v0
	s_cbranch_execz .LBB170_4
; %bb.3:
	v_add_nc_u32_e32 v0, -1, v0
	s_delay_alu instid0(VALU_DEP_1) | instskip(NEXT) | instid1(VALU_DEP_1)
	v_lshrrev_b32_e32 v46, 5, v0
	v_add_lshl_u32 v0, v46, v0, 2
	ds_load_b32 v46, v0
.LBB170_4:
	s_or_b32 exec_lo, exec_lo, s1
	s_waitcnt lgkmcnt(0)
	v_add_f32_e32 v0, v31, v46
	s_delay_alu instid0(VALU_DEP_1) | instskip(NEXT) | instid1(VALU_DEP_1)
	v_cndmask_b32_e32 v0, v0, v31, vcc_lo
	v_add_f32_e32 v31, v32, v0
	s_delay_alu instid0(VALU_DEP_1) | instskip(NEXT) | instid1(VALU_DEP_1)
	v_add_f32_e32 v32, v33, v31
	v_add_f32_e32 v33, v34, v32
	s_delay_alu instid0(VALU_DEP_1) | instskip(NEXT) | instid1(VALU_DEP_1)
	v_add_f32_e32 v34, v35, v33
	;; [unrolled: 3-line block ×4, first 2 shown]
	v_add_f32_e32 v39, v40, v38
	s_clause 0x7
	global_store_b32 v[1:2], v0, off
	global_store_b32 v[3:4], v31, off
	;; [unrolled: 1-line block ×8, first 2 shown]
	v_add_f32_e32 v40, v41, v39
	s_delay_alu instid0(VALU_DEP_1) | instskip(NEXT) | instid1(VALU_DEP_1)
	v_add_f32_e32 v41, v42, v40
	v_add_f32_e32 v42, v43, v41
	s_delay_alu instid0(VALU_DEP_1) | instskip(NEXT) | instid1(VALU_DEP_1)
	v_add_f32_e32 v43, v45, v42
	v_add_f32_e32 v0, v44, v43
	s_clause 0x6
	global_store_b32 v[17:18], v38, off
	global_store_b32 v[19:20], v39, off
	global_store_b32 v[21:22], v40, off
	global_store_b32 v[23:24], v41, off
	global_store_b32 v[25:26], v42, off
	global_store_b32 v[27:28], v43, off
	global_store_b32 v[29:30], v0, off
	s_nop 0
	s_sendmsg sendmsg(MSG_DEALLOC_VGPRS)
	s_endpgm
	.section	.rodata,"a",@progbits
	.p2align	6, 0x0
	.amdhsa_kernel _Z27inclusive_scan_array_kernelILj255ELj15ELN6hipcub18BlockScanAlgorithmE1EfEvPT2_
		.amdhsa_group_segment_fixed_size 1056
		.amdhsa_private_segment_fixed_size 0
		.amdhsa_kernarg_size 8
		.amdhsa_user_sgpr_count 15
		.amdhsa_user_sgpr_dispatch_ptr 0
		.amdhsa_user_sgpr_queue_ptr 0
		.amdhsa_user_sgpr_kernarg_segment_ptr 1
		.amdhsa_user_sgpr_dispatch_id 0
		.amdhsa_user_sgpr_private_segment_size 0
		.amdhsa_wavefront_size32 1
		.amdhsa_uses_dynamic_stack 0
		.amdhsa_enable_private_segment 0
		.amdhsa_system_sgpr_workgroup_id_x 1
		.amdhsa_system_sgpr_workgroup_id_y 0
		.amdhsa_system_sgpr_workgroup_id_z 0
		.amdhsa_system_sgpr_workgroup_info 0
		.amdhsa_system_vgpr_workitem_id 0
		.amdhsa_next_free_vgpr 61
		.amdhsa_next_free_sgpr 16
		.amdhsa_reserve_vcc 1
		.amdhsa_float_round_mode_32 0
		.amdhsa_float_round_mode_16_64 0
		.amdhsa_float_denorm_mode_32 3
		.amdhsa_float_denorm_mode_16_64 3
		.amdhsa_dx10_clamp 1
		.amdhsa_ieee_mode 1
		.amdhsa_fp16_overflow 0
		.amdhsa_workgroup_processor_mode 1
		.amdhsa_memory_ordered 1
		.amdhsa_forward_progress 0
		.amdhsa_shared_vgpr_count 0
		.amdhsa_exception_fp_ieee_invalid_op 0
		.amdhsa_exception_fp_denorm_src 0
		.amdhsa_exception_fp_ieee_div_zero 0
		.amdhsa_exception_fp_ieee_overflow 0
		.amdhsa_exception_fp_ieee_underflow 0
		.amdhsa_exception_fp_ieee_inexact 0
		.amdhsa_exception_int_div_zero 0
	.end_amdhsa_kernel
	.section	.text._Z27inclusive_scan_array_kernelILj255ELj15ELN6hipcub18BlockScanAlgorithmE1EfEvPT2_,"axG",@progbits,_Z27inclusive_scan_array_kernelILj255ELj15ELN6hipcub18BlockScanAlgorithmE1EfEvPT2_,comdat
.Lfunc_end170:
	.size	_Z27inclusive_scan_array_kernelILj255ELj15ELN6hipcub18BlockScanAlgorithmE1EfEvPT2_, .Lfunc_end170-_Z27inclusive_scan_array_kernelILj255ELj15ELN6hipcub18BlockScanAlgorithmE1EfEvPT2_
                                        ; -- End function
	.section	.AMDGPU.csdata,"",@progbits
; Kernel info:
; codeLenInByte = 1476
; NumSgprs: 18
; NumVgprs: 61
; ScratchSize: 0
; MemoryBound: 0
; FloatMode: 240
; IeeeMode: 1
; LDSByteSize: 1056 bytes/workgroup (compile time only)
; SGPRBlocks: 2
; VGPRBlocks: 7
; NumSGPRsForWavesPerEU: 18
; NumVGPRsForWavesPerEU: 61
; Occupancy: 16
; WaveLimiterHint : 0
; COMPUTE_PGM_RSRC2:SCRATCH_EN: 0
; COMPUTE_PGM_RSRC2:USER_SGPR: 15
; COMPUTE_PGM_RSRC2:TRAP_HANDLER: 0
; COMPUTE_PGM_RSRC2:TGID_X_EN: 1
; COMPUTE_PGM_RSRC2:TGID_Y_EN: 0
; COMPUTE_PGM_RSRC2:TGID_Z_EN: 0
; COMPUTE_PGM_RSRC2:TIDIG_COMP_CNT: 0
	.section	.text._Z27inclusive_scan_array_kernelILj162ELj7ELN6hipcub18BlockScanAlgorithmE1EfEvPT2_,"axG",@progbits,_Z27inclusive_scan_array_kernelILj162ELj7ELN6hipcub18BlockScanAlgorithmE1EfEvPT2_,comdat
	.protected	_Z27inclusive_scan_array_kernelILj162ELj7ELN6hipcub18BlockScanAlgorithmE1EfEvPT2_ ; -- Begin function _Z27inclusive_scan_array_kernelILj162ELj7ELN6hipcub18BlockScanAlgorithmE1EfEvPT2_
	.globl	_Z27inclusive_scan_array_kernelILj162ELj7ELN6hipcub18BlockScanAlgorithmE1EfEvPT2_
	.p2align	8
	.type	_Z27inclusive_scan_array_kernelILj162ELj7ELN6hipcub18BlockScanAlgorithmE1EfEvPT2_,@function
_Z27inclusive_scan_array_kernelILj162ELj7ELN6hipcub18BlockScanAlgorithmE1EfEvPT2_: ; @_Z27inclusive_scan_array_kernelILj162ELj7ELN6hipcub18BlockScanAlgorithmE1EfEvPT2_
; %bb.0:
	v_mad_u64_u32 v[1:2], null, 0xa2, s15, v[0:1]
	s_load_b64 s[0:1], s[0:1], 0x0
	v_lshlrev_b32_e32 v23, 2, v0
	s_delay_alu instid0(VALU_DEP_2) | instskip(NEXT) | instid1(VALU_DEP_1)
	v_mul_lo_u32 v11, v1, 7
	v_dual_mov_b32 v12, 0 :: v_dual_add_nc_u32 v1, 1, v11
	s_delay_alu instid0(VALU_DEP_1) | instskip(SKIP_2) | instid1(VALU_DEP_3)
	v_dual_mov_b32 v2, v12 :: v_dual_add_nc_u32 v3, 2, v11
	v_lshlrev_b64 v[9:10], 2, v[11:12]
	v_dual_mov_b32 v4, v12 :: v_dual_add_nc_u32 v5, 3, v11
	v_lshlrev_b64 v[13:14], 2, v[1:2]
	v_dual_mov_b32 v6, v12 :: v_dual_add_nc_u32 v7, 4, v11
	s_waitcnt lgkmcnt(0)
	s_delay_alu instid0(VALU_DEP_4)
	v_add_co_u32 v1, vcc_lo, s0, v9
	v_lshlrev_b64 v[15:16], 2, v[3:4]
	v_add_co_ci_u32_e32 v2, vcc_lo, s1, v10, vcc_lo
	v_mov_b32_e32 v8, v12
	v_add_co_u32 v3, vcc_lo, s0, v13
	v_add_nc_u32_e32 v13, 5, v11
	v_lshlrev_b64 v[17:18], 2, v[5:6]
	v_add_co_ci_u32_e32 v4, vcc_lo, s1, v14, vcc_lo
	v_add_co_u32 v5, vcc_lo, s0, v15
	v_lshlrev_b64 v[19:20], 2, v[7:8]
	v_add_co_ci_u32_e32 v6, vcc_lo, s1, v16, vcc_lo
	s_clause 0x1
	global_load_b32 v15, v[1:2], off
	global_load_b32 v16, v[3:4], off
	v_dual_mov_b32 v14, v12 :: v_dual_add_nc_u32 v11, 6, v11
	v_add_co_u32 v7, vcc_lo, s0, v17
	v_add_co_ci_u32_e32 v8, vcc_lo, s1, v18, vcc_lo
	v_add_co_u32 v9, vcc_lo, s0, v19
	global_load_b32 v17, v[5:6], off
	v_lshlrev_b64 v[13:14], 2, v[13:14]
	v_add_co_ci_u32_e32 v10, vcc_lo, s1, v20, vcc_lo
	v_lshlrev_b64 v[20:21], 2, v[11:12]
	s_clause 0x1
	global_load_b32 v18, v[7:8], off
	global_load_b32 v19, v[9:10], off
	v_add_co_u32 v11, vcc_lo, s0, v13
	v_add_co_ci_u32_e32 v12, vcc_lo, s1, v14, vcc_lo
	v_add_co_u32 v13, vcc_lo, s0, v20
	v_add_co_ci_u32_e32 v14, vcc_lo, s1, v21, vcc_lo
	s_clause 0x1
	global_load_b32 v20, v[11:12], off
	global_load_b32 v21, v[13:14], off
	s_mov_b32 s0, exec_lo
	s_waitcnt vmcnt(5)
	v_add_f32_e32 v22, v15, v16
	s_waitcnt vmcnt(4)
	s_delay_alu instid0(VALU_DEP_1) | instskip(SKIP_1) | instid1(VALU_DEP_1)
	v_add_f32_e32 v22, v17, v22
	s_waitcnt vmcnt(3)
	v_add_f32_e32 v22, v18, v22
	s_waitcnt vmcnt(2)
	s_delay_alu instid0(VALU_DEP_1) | instskip(SKIP_1) | instid1(VALU_DEP_1)
	v_add_f32_e32 v22, v19, v22
	s_waitcnt vmcnt(1)
	v_add_f32_e32 v22, v20, v22
	s_waitcnt vmcnt(0)
	s_delay_alu instid0(VALU_DEP_1)
	v_add_f32_e32 v22, v21, v22
	ds_store_b32 v23, v22
	s_waitcnt lgkmcnt(0)
	s_barrier
	buffer_gl0_inv
	v_cmpx_gt_u32_e32 32, v0
	s_cbranch_execz .LBB171_2
; %bb.1:
	v_mul_u32_u24_e32 v24, 6, v0
	v_mbcnt_lo_u32_b32 v32, -1, 0
	s_delay_alu instid0(VALU_DEP_2) | instskip(NEXT) | instid1(VALU_DEP_2)
	v_lshlrev_b32_e32 v30, 2, v24
	v_and_b32_e32 v35, 16, v32
	ds_load_2addr_b32 v[24:25], v30 offset1:1
	ds_load_2addr_b32 v[26:27], v30 offset0:2 offset1:3
	ds_load_2addr_b32 v[28:29], v30 offset0:4 offset1:5
	v_and_b32_e32 v34, 15, v32
	s_delay_alu instid0(VALU_DEP_1) | instskip(SKIP_3) | instid1(VALU_DEP_1)
	v_cmp_eq_u32_e32 vcc_lo, 0, v34
	s_waitcnt lgkmcnt(2)
	v_add_f32_e32 v31, v24, v25
	s_waitcnt lgkmcnt(1)
	v_add_f32_e32 v31, v31, v26
	s_delay_alu instid0(VALU_DEP_1) | instskip(SKIP_1) | instid1(VALU_DEP_1)
	v_add_f32_e32 v31, v31, v27
	s_waitcnt lgkmcnt(0)
	v_add_f32_e32 v31, v31, v28
	s_delay_alu instid0(VALU_DEP_1) | instskip(NEXT) | instid1(VALU_DEP_1)
	v_add_f32_e32 v31, v31, v29
	v_mov_b32_dpp v33, v31 row_shr:1 row_mask:0xf bank_mask:0xf
	s_delay_alu instid0(VALU_DEP_1) | instskip(NEXT) | instid1(VALU_DEP_1)
	v_add_f32_e32 v33, v31, v33
	v_cndmask_b32_e32 v31, v33, v31, vcc_lo
	v_cmp_lt_u32_e32 vcc_lo, 1, v34
	s_delay_alu instid0(VALU_DEP_2) | instskip(NEXT) | instid1(VALU_DEP_1)
	v_mov_b32_dpp v33, v31 row_shr:2 row_mask:0xf bank_mask:0xf
	v_add_f32_e32 v33, v31, v33
	s_delay_alu instid0(VALU_DEP_1) | instskip(SKIP_1) | instid1(VALU_DEP_2)
	v_cndmask_b32_e32 v31, v31, v33, vcc_lo
	v_cmp_lt_u32_e32 vcc_lo, 3, v34
	v_mov_b32_dpp v33, v31 row_shr:4 row_mask:0xf bank_mask:0xf
	s_delay_alu instid0(VALU_DEP_1) | instskip(NEXT) | instid1(VALU_DEP_1)
	v_add_f32_e32 v33, v31, v33
	v_cndmask_b32_e32 v31, v31, v33, vcc_lo
	v_cmp_lt_u32_e32 vcc_lo, 7, v34
	v_add_nc_u32_e32 v34, -1, v32
	s_delay_alu instid0(VALU_DEP_3) | instskip(NEXT) | instid1(VALU_DEP_1)
	v_mov_b32_dpp v33, v31 row_shr:8 row_mask:0xf bank_mask:0xf
	v_add_f32_e32 v33, v31, v33
	s_delay_alu instid0(VALU_DEP_1) | instskip(NEXT) | instid1(VALU_DEP_4)
	v_cndmask_b32_e32 v31, v31, v33, vcc_lo
	v_cmp_gt_i32_e32 vcc_lo, 0, v34
	ds_swizzle_b32 v33, v31 offset:swizzle(BROADCAST,32,15)
	v_cndmask_b32_e32 v32, v34, v32, vcc_lo
	v_cmp_eq_u32_e32 vcc_lo, 0, v35
	s_waitcnt lgkmcnt(0)
	s_delay_alu instid0(VALU_DEP_2) | instskip(NEXT) | instid1(VALU_DEP_1)
	v_dual_add_f32 v33, v31, v33 :: v_dual_lshlrev_b32 v32, 2, v32
	v_cndmask_b32_e32 v31, v33, v31, vcc_lo
	v_cmp_eq_u32_e32 vcc_lo, 0, v0
	ds_bpermute_b32 v31, v32, v31
	s_waitcnt lgkmcnt(0)
	v_add_f32_e32 v24, v24, v31
	s_delay_alu instid0(VALU_DEP_1) | instskip(NEXT) | instid1(VALU_DEP_1)
	v_cndmask_b32_e32 v24, v24, v22, vcc_lo
	v_add_f32_e32 v25, v25, v24
	s_delay_alu instid0(VALU_DEP_1) | instskip(NEXT) | instid1(VALU_DEP_1)
	v_add_f32_e32 v26, v26, v25
	v_add_f32_e32 v27, v27, v26
	s_delay_alu instid0(VALU_DEP_1) | instskip(NEXT) | instid1(VALU_DEP_1)
	v_add_f32_e32 v28, v28, v27
	v_add_f32_e32 v29, v29, v28
	ds_store_2addr_b32 v30, v24, v25 offset1:1
	ds_store_2addr_b32 v30, v26, v27 offset0:2 offset1:3
	ds_store_2addr_b32 v30, v28, v29 offset0:4 offset1:5
.LBB171_2:
	s_or_b32 exec_lo, exec_lo, s0
	v_cmp_eq_u32_e32 vcc_lo, 0, v0
	s_mov_b32 s1, exec_lo
	s_waitcnt lgkmcnt(0)
	s_barrier
	buffer_gl0_inv
	v_cmpx_ne_u32_e32 0, v0
	s_cbranch_execz .LBB171_4
; %bb.3:
	v_add_nc_u32_e32 v0, -4, v23
	ds_load_b32 v22, v0
.LBB171_4:
	s_or_b32 exec_lo, exec_lo, s1
	s_waitcnt lgkmcnt(0)
	v_add_f32_e32 v0, v15, v22
	s_delay_alu instid0(VALU_DEP_1) | instskip(NEXT) | instid1(VALU_DEP_1)
	v_cndmask_b32_e32 v0, v0, v15, vcc_lo
	v_add_f32_e32 v15, v16, v0
	s_delay_alu instid0(VALU_DEP_1) | instskip(NEXT) | instid1(VALU_DEP_1)
	v_add_f32_e32 v16, v17, v15
	v_add_f32_e32 v17, v18, v16
	s_delay_alu instid0(VALU_DEP_1) | instskip(NEXT) | instid1(VALU_DEP_1)
	v_add_f32_e32 v18, v19, v17
	v_add_f32_e32 v19, v20, v18
	s_delay_alu instid0(VALU_DEP_1)
	v_add_f32_e32 v20, v21, v19
	s_clause 0x6
	global_store_b32 v[1:2], v0, off
	global_store_b32 v[3:4], v15, off
	;; [unrolled: 1-line block ×7, first 2 shown]
	s_nop 0
	s_sendmsg sendmsg(MSG_DEALLOC_VGPRS)
	s_endpgm
	.section	.rodata,"a",@progbits
	.p2align	6, 0x0
	.amdhsa_kernel _Z27inclusive_scan_array_kernelILj162ELj7ELN6hipcub18BlockScanAlgorithmE1EfEvPT2_
		.amdhsa_group_segment_fixed_size 768
		.amdhsa_private_segment_fixed_size 0
		.amdhsa_kernarg_size 8
		.amdhsa_user_sgpr_count 15
		.amdhsa_user_sgpr_dispatch_ptr 0
		.amdhsa_user_sgpr_queue_ptr 0
		.amdhsa_user_sgpr_kernarg_segment_ptr 1
		.amdhsa_user_sgpr_dispatch_id 0
		.amdhsa_user_sgpr_private_segment_size 0
		.amdhsa_wavefront_size32 1
		.amdhsa_uses_dynamic_stack 0
		.amdhsa_enable_private_segment 0
		.amdhsa_system_sgpr_workgroup_id_x 1
		.amdhsa_system_sgpr_workgroup_id_y 0
		.amdhsa_system_sgpr_workgroup_id_z 0
		.amdhsa_system_sgpr_workgroup_info 0
		.amdhsa_system_vgpr_workitem_id 0
		.amdhsa_next_free_vgpr 36
		.amdhsa_next_free_sgpr 16
		.amdhsa_reserve_vcc 1
		.amdhsa_float_round_mode_32 0
		.amdhsa_float_round_mode_16_64 0
		.amdhsa_float_denorm_mode_32 3
		.amdhsa_float_denorm_mode_16_64 3
		.amdhsa_dx10_clamp 1
		.amdhsa_ieee_mode 1
		.amdhsa_fp16_overflow 0
		.amdhsa_workgroup_processor_mode 1
		.amdhsa_memory_ordered 1
		.amdhsa_forward_progress 0
		.amdhsa_shared_vgpr_count 0
		.amdhsa_exception_fp_ieee_invalid_op 0
		.amdhsa_exception_fp_denorm_src 0
		.amdhsa_exception_fp_ieee_div_zero 0
		.amdhsa_exception_fp_ieee_overflow 0
		.amdhsa_exception_fp_ieee_underflow 0
		.amdhsa_exception_fp_ieee_inexact 0
		.amdhsa_exception_int_div_zero 0
	.end_amdhsa_kernel
	.section	.text._Z27inclusive_scan_array_kernelILj162ELj7ELN6hipcub18BlockScanAlgorithmE1EfEvPT2_,"axG",@progbits,_Z27inclusive_scan_array_kernelILj162ELj7ELN6hipcub18BlockScanAlgorithmE1EfEvPT2_,comdat
.Lfunc_end171:
	.size	_Z27inclusive_scan_array_kernelILj162ELj7ELN6hipcub18BlockScanAlgorithmE1EfEvPT2_, .Lfunc_end171-_Z27inclusive_scan_array_kernelILj162ELj7ELN6hipcub18BlockScanAlgorithmE1EfEvPT2_
                                        ; -- End function
	.section	.AMDGPU.csdata,"",@progbits
; Kernel info:
; codeLenInByte = 900
; NumSgprs: 18
; NumVgprs: 36
; ScratchSize: 0
; MemoryBound: 0
; FloatMode: 240
; IeeeMode: 1
; LDSByteSize: 768 bytes/workgroup (compile time only)
; SGPRBlocks: 2
; VGPRBlocks: 4
; NumSGPRsForWavesPerEU: 18
; NumVGPRsForWavesPerEU: 36
; Occupancy: 15
; WaveLimiterHint : 0
; COMPUTE_PGM_RSRC2:SCRATCH_EN: 0
; COMPUTE_PGM_RSRC2:USER_SGPR: 15
; COMPUTE_PGM_RSRC2:TRAP_HANDLER: 0
; COMPUTE_PGM_RSRC2:TGID_X_EN: 1
; COMPUTE_PGM_RSRC2:TGID_Y_EN: 0
; COMPUTE_PGM_RSRC2:TGID_Z_EN: 0
; COMPUTE_PGM_RSRC2:TIDIG_COMP_CNT: 0
	.section	.text._Z27inclusive_scan_array_kernelILj65ELj5ELN6hipcub18BlockScanAlgorithmE1EfEvPT2_,"axG",@progbits,_Z27inclusive_scan_array_kernelILj65ELj5ELN6hipcub18BlockScanAlgorithmE1EfEvPT2_,comdat
	.protected	_Z27inclusive_scan_array_kernelILj65ELj5ELN6hipcub18BlockScanAlgorithmE1EfEvPT2_ ; -- Begin function _Z27inclusive_scan_array_kernelILj65ELj5ELN6hipcub18BlockScanAlgorithmE1EfEvPT2_
	.globl	_Z27inclusive_scan_array_kernelILj65ELj5ELN6hipcub18BlockScanAlgorithmE1EfEvPT2_
	.p2align	8
	.type	_Z27inclusive_scan_array_kernelILj65ELj5ELN6hipcub18BlockScanAlgorithmE1EfEvPT2_,@function
_Z27inclusive_scan_array_kernelILj65ELj5ELN6hipcub18BlockScanAlgorithmE1EfEvPT2_: ; @_Z27inclusive_scan_array_kernelILj65ELj5ELN6hipcub18BlockScanAlgorithmE1EfEvPT2_
; %bb.0:
	v_mad_u64_u32 v[1:2], null, 0x41, s15, v[0:1]
	s_load_b64 s[0:1], s[0:1], 0x0
	v_lshlrev_b32_e32 v17, 2, v0
	s_delay_alu instid0(VALU_DEP_2) | instskip(NEXT) | instid1(VALU_DEP_1)
	v_lshl_add_u32 v1, v1, 2, v1
	v_dual_mov_b32 v2, 0 :: v_dual_add_nc_u32 v3, 1, v1
	s_delay_alu instid0(VALU_DEP_1) | instskip(SKIP_3) | instid1(VALU_DEP_4)
	v_dual_mov_b32 v4, v2 :: v_dual_add_nc_u32 v5, 2, v1
	v_lshlrev_b64 v[9:10], 2, v[1:2]
	v_dual_mov_b32 v6, v2 :: v_dual_add_nc_u32 v7, 3, v1
	v_dual_mov_b32 v8, v2 :: v_dual_add_nc_u32 v1, 4, v1
	v_lshlrev_b64 v[3:4], 2, v[3:4]
	s_delay_alu instid0(VALU_DEP_3) | instskip(NEXT) | instid1(VALU_DEP_3)
	v_lshlrev_b64 v[5:6], 2, v[5:6]
	v_lshlrev_b64 v[7:8], 2, v[7:8]
	s_delay_alu instid0(VALU_DEP_4)
	v_lshlrev_b64 v[14:15], 2, v[1:2]
	s_waitcnt lgkmcnt(0)
	v_add_co_u32 v1, vcc_lo, s0, v9
	v_add_co_ci_u32_e32 v2, vcc_lo, s1, v10, vcc_lo
	v_add_co_u32 v3, vcc_lo, s0, v3
	v_add_co_ci_u32_e32 v4, vcc_lo, s1, v4, vcc_lo
	;; [unrolled: 2-line block ×3, first 2 shown]
	s_clause 0x1
	global_load_b32 v11, v[1:2], off
	global_load_b32 v12, v[3:4], off
	v_add_co_u32 v7, vcc_lo, s0, v7
	v_add_co_ci_u32_e32 v8, vcc_lo, s1, v8, vcc_lo
	global_load_b32 v13, v[5:6], off
	v_add_co_u32 v9, vcc_lo, s0, v14
	v_add_co_ci_u32_e32 v10, vcc_lo, s1, v15, vcc_lo
	s_clause 0x1
	global_load_b32 v14, v[7:8], off
	global_load_b32 v15, v[9:10], off
	s_mov_b32 s0, exec_lo
	s_waitcnt vmcnt(3)
	v_add_f32_e32 v16, v11, v12
	s_waitcnt vmcnt(2)
	s_delay_alu instid0(VALU_DEP_1) | instskip(SKIP_1) | instid1(VALU_DEP_1)
	v_add_f32_e32 v16, v13, v16
	s_waitcnt vmcnt(1)
	v_add_f32_e32 v16, v14, v16
	s_waitcnt vmcnt(0)
	s_delay_alu instid0(VALU_DEP_1)
	v_add_f32_e32 v16, v15, v16
	ds_store_b32 v17, v16
	s_waitcnt lgkmcnt(0)
	s_barrier
	buffer_gl0_inv
	v_cmpx_gt_u32_e32 32, v0
	s_cbranch_execz .LBB172_2
; %bb.1:
	v_mul_u32_u24_e32 v18, 3, v0
	v_mbcnt_lo_u32_b32 v23, -1, 0
	s_delay_alu instid0(VALU_DEP_2) | instskip(NEXT) | instid1(VALU_DEP_2)
	v_lshlrev_b32_e32 v20, 2, v18
	v_and_b32_e32 v26, 16, v23
	ds_load_2addr_b32 v[18:19], v20 offset1:1
	ds_load_b32 v21, v20 offset:8
	v_and_b32_e32 v25, 15, v23
	s_delay_alu instid0(VALU_DEP_1) | instskip(SKIP_3) | instid1(VALU_DEP_1)
	v_cmp_eq_u32_e32 vcc_lo, 0, v25
	s_waitcnt lgkmcnt(1)
	v_add_f32_e32 v22, v18, v19
	s_waitcnt lgkmcnt(0)
	v_add_f32_e32 v22, v22, v21
	s_delay_alu instid0(VALU_DEP_1) | instskip(NEXT) | instid1(VALU_DEP_1)
	v_mov_b32_dpp v24, v22 row_shr:1 row_mask:0xf bank_mask:0xf
	v_add_f32_e32 v24, v22, v24
	s_delay_alu instid0(VALU_DEP_1) | instskip(SKIP_1) | instid1(VALU_DEP_2)
	v_cndmask_b32_e32 v22, v24, v22, vcc_lo
	v_cmp_lt_u32_e32 vcc_lo, 1, v25
	v_mov_b32_dpp v24, v22 row_shr:2 row_mask:0xf bank_mask:0xf
	s_delay_alu instid0(VALU_DEP_1) | instskip(NEXT) | instid1(VALU_DEP_1)
	v_add_f32_e32 v24, v22, v24
	v_cndmask_b32_e32 v22, v22, v24, vcc_lo
	v_cmp_lt_u32_e32 vcc_lo, 3, v25
	s_delay_alu instid0(VALU_DEP_2) | instskip(NEXT) | instid1(VALU_DEP_1)
	v_mov_b32_dpp v24, v22 row_shr:4 row_mask:0xf bank_mask:0xf
	v_add_f32_e32 v24, v22, v24
	s_delay_alu instid0(VALU_DEP_1) | instskip(SKIP_2) | instid1(VALU_DEP_3)
	v_cndmask_b32_e32 v22, v22, v24, vcc_lo
	v_cmp_lt_u32_e32 vcc_lo, 7, v25
	v_add_nc_u32_e32 v25, -1, v23
	v_mov_b32_dpp v24, v22 row_shr:8 row_mask:0xf bank_mask:0xf
	s_delay_alu instid0(VALU_DEP_1) | instskip(NEXT) | instid1(VALU_DEP_1)
	v_add_f32_e32 v24, v22, v24
	v_cndmask_b32_e32 v22, v22, v24, vcc_lo
	s_delay_alu instid0(VALU_DEP_4) | instskip(SKIP_4) | instid1(VALU_DEP_2)
	v_cmp_gt_i32_e32 vcc_lo, 0, v25
	ds_swizzle_b32 v24, v22 offset:swizzle(BROADCAST,32,15)
	v_cndmask_b32_e32 v23, v25, v23, vcc_lo
	v_cmp_eq_u32_e32 vcc_lo, 0, v26
	s_waitcnt lgkmcnt(0)
	v_dual_add_f32 v24, v22, v24 :: v_dual_lshlrev_b32 v23, 2, v23
	s_delay_alu instid0(VALU_DEP_1) | instskip(SKIP_4) | instid1(VALU_DEP_1)
	v_cndmask_b32_e32 v22, v24, v22, vcc_lo
	v_cmp_eq_u32_e32 vcc_lo, 0, v0
	ds_bpermute_b32 v22, v23, v22
	s_waitcnt lgkmcnt(0)
	v_add_f32_e32 v18, v18, v22
	v_cndmask_b32_e32 v18, v18, v16, vcc_lo
	s_delay_alu instid0(VALU_DEP_1) | instskip(NEXT) | instid1(VALU_DEP_1)
	v_add_f32_e32 v19, v19, v18
	v_add_f32_e32 v21, v21, v19
	ds_store_2addr_b32 v20, v18, v19 offset1:1
	ds_store_b32 v20, v21 offset:8
.LBB172_2:
	s_or_b32 exec_lo, exec_lo, s0
	v_cmp_eq_u32_e32 vcc_lo, 0, v0
	s_mov_b32 s1, exec_lo
	s_waitcnt lgkmcnt(0)
	s_barrier
	buffer_gl0_inv
	v_cmpx_ne_u32_e32 0, v0
	s_cbranch_execz .LBB172_4
; %bb.3:
	v_add_nc_u32_e32 v0, -4, v17
	ds_load_b32 v16, v0
.LBB172_4:
	s_or_b32 exec_lo, exec_lo, s1
	s_waitcnt lgkmcnt(0)
	v_add_f32_e32 v0, v11, v16
	s_delay_alu instid0(VALU_DEP_1) | instskip(NEXT) | instid1(VALU_DEP_1)
	v_cndmask_b32_e32 v0, v0, v11, vcc_lo
	v_add_f32_e32 v11, v12, v0
	s_delay_alu instid0(VALU_DEP_1) | instskip(NEXT) | instid1(VALU_DEP_1)
	v_add_f32_e32 v12, v13, v11
	v_add_f32_e32 v13, v14, v12
	s_delay_alu instid0(VALU_DEP_1)
	v_add_f32_e32 v14, v15, v13
	s_clause 0x4
	global_store_b32 v[1:2], v0, off
	global_store_b32 v[3:4], v11, off
	;; [unrolled: 1-line block ×5, first 2 shown]
	s_nop 0
	s_sendmsg sendmsg(MSG_DEALLOC_VGPRS)
	s_endpgm
	.section	.rodata,"a",@progbits
	.p2align	6, 0x0
	.amdhsa_kernel _Z27inclusive_scan_array_kernelILj65ELj5ELN6hipcub18BlockScanAlgorithmE1EfEvPT2_
		.amdhsa_group_segment_fixed_size 384
		.amdhsa_private_segment_fixed_size 0
		.amdhsa_kernarg_size 8
		.amdhsa_user_sgpr_count 15
		.amdhsa_user_sgpr_dispatch_ptr 0
		.amdhsa_user_sgpr_queue_ptr 0
		.amdhsa_user_sgpr_kernarg_segment_ptr 1
		.amdhsa_user_sgpr_dispatch_id 0
		.amdhsa_user_sgpr_private_segment_size 0
		.amdhsa_wavefront_size32 1
		.amdhsa_uses_dynamic_stack 0
		.amdhsa_enable_private_segment 0
		.amdhsa_system_sgpr_workgroup_id_x 1
		.amdhsa_system_sgpr_workgroup_id_y 0
		.amdhsa_system_sgpr_workgroup_id_z 0
		.amdhsa_system_sgpr_workgroup_info 0
		.amdhsa_system_vgpr_workitem_id 0
		.amdhsa_next_free_vgpr 27
		.amdhsa_next_free_sgpr 16
		.amdhsa_reserve_vcc 1
		.amdhsa_float_round_mode_32 0
		.amdhsa_float_round_mode_16_64 0
		.amdhsa_float_denorm_mode_32 3
		.amdhsa_float_denorm_mode_16_64 3
		.amdhsa_dx10_clamp 1
		.amdhsa_ieee_mode 1
		.amdhsa_fp16_overflow 0
		.amdhsa_workgroup_processor_mode 1
		.amdhsa_memory_ordered 1
		.amdhsa_forward_progress 0
		.amdhsa_shared_vgpr_count 0
		.amdhsa_exception_fp_ieee_invalid_op 0
		.amdhsa_exception_fp_denorm_src 0
		.amdhsa_exception_fp_ieee_div_zero 0
		.amdhsa_exception_fp_ieee_overflow 0
		.amdhsa_exception_fp_ieee_underflow 0
		.amdhsa_exception_fp_ieee_inexact 0
		.amdhsa_exception_int_div_zero 0
	.end_amdhsa_kernel
	.section	.text._Z27inclusive_scan_array_kernelILj65ELj5ELN6hipcub18BlockScanAlgorithmE1EfEvPT2_,"axG",@progbits,_Z27inclusive_scan_array_kernelILj65ELj5ELN6hipcub18BlockScanAlgorithmE1EfEvPT2_,comdat
.Lfunc_end172:
	.size	_Z27inclusive_scan_array_kernelILj65ELj5ELN6hipcub18BlockScanAlgorithmE1EfEvPT2_, .Lfunc_end172-_Z27inclusive_scan_array_kernelILj65ELj5ELN6hipcub18BlockScanAlgorithmE1EfEvPT2_
                                        ; -- End function
	.section	.AMDGPU.csdata,"",@progbits
; Kernel info:
; codeLenInByte = 724
; NumSgprs: 18
; NumVgprs: 27
; ScratchSize: 0
; MemoryBound: 0
; FloatMode: 240
; IeeeMode: 1
; LDSByteSize: 384 bytes/workgroup (compile time only)
; SGPRBlocks: 2
; VGPRBlocks: 3
; NumSGPRsForWavesPerEU: 18
; NumVGPRsForWavesPerEU: 27
; Occupancy: 16
; WaveLimiterHint : 0
; COMPUTE_PGM_RSRC2:SCRATCH_EN: 0
; COMPUTE_PGM_RSRC2:USER_SGPR: 15
; COMPUTE_PGM_RSRC2:TRAP_HANDLER: 0
; COMPUTE_PGM_RSRC2:TGID_X_EN: 1
; COMPUTE_PGM_RSRC2:TGID_Y_EN: 0
; COMPUTE_PGM_RSRC2:TGID_Z_EN: 0
; COMPUTE_PGM_RSRC2:TIDIG_COMP_CNT: 0
	.section	.text._Z27inclusive_scan_array_kernelILj37ELj2ELN6hipcub18BlockScanAlgorithmE1EfEvPT2_,"axG",@progbits,_Z27inclusive_scan_array_kernelILj37ELj2ELN6hipcub18BlockScanAlgorithmE1EfEvPT2_,comdat
	.protected	_Z27inclusive_scan_array_kernelILj37ELj2ELN6hipcub18BlockScanAlgorithmE1EfEvPT2_ ; -- Begin function _Z27inclusive_scan_array_kernelILj37ELj2ELN6hipcub18BlockScanAlgorithmE1EfEvPT2_
	.globl	_Z27inclusive_scan_array_kernelILj37ELj2ELN6hipcub18BlockScanAlgorithmE1EfEvPT2_
	.p2align	8
	.type	_Z27inclusive_scan_array_kernelILj37ELj2ELN6hipcub18BlockScanAlgorithmE1EfEvPT2_,@function
_Z27inclusive_scan_array_kernelILj37ELj2ELN6hipcub18BlockScanAlgorithmE1EfEvPT2_: ; @_Z27inclusive_scan_array_kernelILj37ELj2ELN6hipcub18BlockScanAlgorithmE1EfEvPT2_
; %bb.0:
	s_load_b64 s[0:1], s[0:1], 0x0
	s_mul_i32 s15, s15, 37
	v_mov_b32_e32 v2, 0
	v_add_lshl_u32 v1, s15, v0, 1
	v_lshrrev_b32_e32 v5, 5, v0
	s_delay_alu instid0(VALU_DEP_2) | instskip(NEXT) | instid1(VALU_DEP_2)
	v_lshlrev_b64 v[1:2], 2, v[1:2]
	v_add_lshl_u32 v6, v5, v0, 2
	s_waitcnt lgkmcnt(0)
	s_delay_alu instid0(VALU_DEP_2) | instskip(NEXT) | instid1(VALU_DEP_3)
	v_add_co_u32 v1, vcc_lo, s0, v1
	v_add_co_ci_u32_e32 v2, vcc_lo, s1, v2, vcc_lo
	s_mov_b32 s0, exec_lo
	global_load_b64 v[3:4], v[1:2], off
	s_waitcnt vmcnt(0)
	v_add_f32_e32 v5, v3, v4
	ds_store_b32 v6, v5
	s_waitcnt lgkmcnt(0)
	s_barrier
	buffer_gl0_inv
	v_cmpx_gt_u32_e32 32, v0
	s_cbranch_execz .LBB173_2
; %bb.1:
	v_lshrrev_b32_e32 v6, 2, v0
	v_mbcnt_lo_u32_b32 v10, -1, 0
	s_delay_alu instid0(VALU_DEP_2) | instskip(NEXT) | instid1(VALU_DEP_2)
	v_and_b32_e32 v6, 12, v6
	v_and_b32_e32 v13, 16, v10
	;; [unrolled: 1-line block ×3, first 2 shown]
	s_delay_alu instid0(VALU_DEP_3) | instskip(NEXT) | instid1(VALU_DEP_2)
	v_lshl_or_b32 v8, v0, 3, v6
	v_cmp_eq_u32_e32 vcc_lo, 0, v12
	ds_load_2addr_b32 v[6:7], v8 offset1:1
	s_waitcnt lgkmcnt(0)
	v_add_f32_e32 v9, v6, v7
	s_delay_alu instid0(VALU_DEP_1) | instskip(NEXT) | instid1(VALU_DEP_1)
	v_mov_b32_dpp v11, v9 row_shr:1 row_mask:0xf bank_mask:0xf
	v_add_f32_e32 v11, v9, v11
	s_delay_alu instid0(VALU_DEP_1) | instskip(SKIP_1) | instid1(VALU_DEP_2)
	v_cndmask_b32_e32 v9, v11, v9, vcc_lo
	v_cmp_lt_u32_e32 vcc_lo, 1, v12
	v_mov_b32_dpp v11, v9 row_shr:2 row_mask:0xf bank_mask:0xf
	s_delay_alu instid0(VALU_DEP_1) | instskip(NEXT) | instid1(VALU_DEP_1)
	v_add_f32_e32 v11, v9, v11
	v_cndmask_b32_e32 v9, v9, v11, vcc_lo
	v_cmp_lt_u32_e32 vcc_lo, 3, v12
	s_delay_alu instid0(VALU_DEP_2) | instskip(NEXT) | instid1(VALU_DEP_1)
	v_mov_b32_dpp v11, v9 row_shr:4 row_mask:0xf bank_mask:0xf
	v_add_f32_e32 v11, v9, v11
	s_delay_alu instid0(VALU_DEP_1) | instskip(SKIP_2) | instid1(VALU_DEP_3)
	v_cndmask_b32_e32 v9, v9, v11, vcc_lo
	v_cmp_lt_u32_e32 vcc_lo, 7, v12
	v_add_nc_u32_e32 v12, -1, v10
	v_mov_b32_dpp v11, v9 row_shr:8 row_mask:0xf bank_mask:0xf
	s_delay_alu instid0(VALU_DEP_1) | instskip(NEXT) | instid1(VALU_DEP_1)
	v_add_f32_e32 v11, v9, v11
	v_cndmask_b32_e32 v9, v9, v11, vcc_lo
	s_delay_alu instid0(VALU_DEP_4) | instskip(SKIP_4) | instid1(VALU_DEP_2)
	v_cmp_gt_i32_e32 vcc_lo, 0, v12
	ds_swizzle_b32 v11, v9 offset:swizzle(BROADCAST,32,15)
	v_cndmask_b32_e32 v10, v12, v10, vcc_lo
	v_cmp_eq_u32_e32 vcc_lo, 0, v13
	s_waitcnt lgkmcnt(0)
	v_dual_add_f32 v11, v9, v11 :: v_dual_lshlrev_b32 v10, 2, v10
	s_delay_alu instid0(VALU_DEP_1) | instskip(SKIP_4) | instid1(VALU_DEP_1)
	v_cndmask_b32_e32 v9, v11, v9, vcc_lo
	v_cmp_eq_u32_e32 vcc_lo, 0, v0
	ds_bpermute_b32 v9, v10, v9
	s_waitcnt lgkmcnt(0)
	v_add_f32_e32 v6, v6, v9
	v_cndmask_b32_e32 v6, v6, v5, vcc_lo
	s_delay_alu instid0(VALU_DEP_1)
	v_add_f32_e32 v7, v7, v6
	ds_store_2addr_b32 v8, v6, v7 offset1:1
.LBB173_2:
	s_or_b32 exec_lo, exec_lo, s0
	v_cmp_eq_u32_e32 vcc_lo, 0, v0
	s_mov_b32 s1, exec_lo
	s_waitcnt lgkmcnt(0)
	s_barrier
	buffer_gl0_inv
	v_cmpx_ne_u32_e32 0, v0
	s_cbranch_execz .LBB173_4
; %bb.3:
	v_add_nc_u32_e32 v0, -1, v0
	s_delay_alu instid0(VALU_DEP_1) | instskip(NEXT) | instid1(VALU_DEP_1)
	v_lshrrev_b32_e32 v5, 5, v0
	v_add_lshl_u32 v0, v5, v0, 2
	ds_load_b32 v5, v0
.LBB173_4:
	s_or_b32 exec_lo, exec_lo, s1
	s_waitcnt lgkmcnt(0)
	v_add_f32_e32 v0, v3, v5
	s_delay_alu instid0(VALU_DEP_1) | instskip(NEXT) | instid1(VALU_DEP_1)
	v_cndmask_b32_e32 v3, v0, v3, vcc_lo
	v_add_f32_e32 v4, v4, v3
	global_store_b64 v[1:2], v[3:4], off
	s_nop 0
	s_sendmsg sendmsg(MSG_DEALLOC_VGPRS)
	s_endpgm
	.section	.rodata,"a",@progbits
	.p2align	6, 0x0
	.amdhsa_kernel _Z27inclusive_scan_array_kernelILj37ELj2ELN6hipcub18BlockScanAlgorithmE1EfEvPT2_
		.amdhsa_group_segment_fixed_size 264
		.amdhsa_private_segment_fixed_size 0
		.amdhsa_kernarg_size 8
		.amdhsa_user_sgpr_count 15
		.amdhsa_user_sgpr_dispatch_ptr 0
		.amdhsa_user_sgpr_queue_ptr 0
		.amdhsa_user_sgpr_kernarg_segment_ptr 1
		.amdhsa_user_sgpr_dispatch_id 0
		.amdhsa_user_sgpr_private_segment_size 0
		.amdhsa_wavefront_size32 1
		.amdhsa_uses_dynamic_stack 0
		.amdhsa_enable_private_segment 0
		.amdhsa_system_sgpr_workgroup_id_x 1
		.amdhsa_system_sgpr_workgroup_id_y 0
		.amdhsa_system_sgpr_workgroup_id_z 0
		.amdhsa_system_sgpr_workgroup_info 0
		.amdhsa_system_vgpr_workitem_id 0
		.amdhsa_next_free_vgpr 14
		.amdhsa_next_free_sgpr 16
		.amdhsa_reserve_vcc 1
		.amdhsa_float_round_mode_32 0
		.amdhsa_float_round_mode_16_64 0
		.amdhsa_float_denorm_mode_32 3
		.amdhsa_float_denorm_mode_16_64 3
		.amdhsa_dx10_clamp 1
		.amdhsa_ieee_mode 1
		.amdhsa_fp16_overflow 0
		.amdhsa_workgroup_processor_mode 1
		.amdhsa_memory_ordered 1
		.amdhsa_forward_progress 0
		.amdhsa_shared_vgpr_count 0
		.amdhsa_exception_fp_ieee_invalid_op 0
		.amdhsa_exception_fp_denorm_src 0
		.amdhsa_exception_fp_ieee_div_zero 0
		.amdhsa_exception_fp_ieee_overflow 0
		.amdhsa_exception_fp_ieee_underflow 0
		.amdhsa_exception_fp_ieee_inexact 0
		.amdhsa_exception_int_div_zero 0
	.end_amdhsa_kernel
	.section	.text._Z27inclusive_scan_array_kernelILj37ELj2ELN6hipcub18BlockScanAlgorithmE1EfEvPT2_,"axG",@progbits,_Z27inclusive_scan_array_kernelILj37ELj2ELN6hipcub18BlockScanAlgorithmE1EfEvPT2_,comdat
.Lfunc_end173:
	.size	_Z27inclusive_scan_array_kernelILj37ELj2ELN6hipcub18BlockScanAlgorithmE1EfEvPT2_, .Lfunc_end173-_Z27inclusive_scan_array_kernelILj37ELj2ELN6hipcub18BlockScanAlgorithmE1EfEvPT2_
                                        ; -- End function
	.section	.AMDGPU.csdata,"",@progbits
; Kernel info:
; codeLenInByte = 476
; NumSgprs: 18
; NumVgprs: 14
; ScratchSize: 0
; MemoryBound: 0
; FloatMode: 240
; IeeeMode: 1
; LDSByteSize: 264 bytes/workgroup (compile time only)
; SGPRBlocks: 2
; VGPRBlocks: 1
; NumSGPRsForWavesPerEU: 18
; NumVGPRsForWavesPerEU: 14
; Occupancy: 16
; WaveLimiterHint : 0
; COMPUTE_PGM_RSRC2:SCRATCH_EN: 0
; COMPUTE_PGM_RSRC2:USER_SGPR: 15
; COMPUTE_PGM_RSRC2:TRAP_HANDLER: 0
; COMPUTE_PGM_RSRC2:TGID_X_EN: 1
; COMPUTE_PGM_RSRC2:TGID_Y_EN: 0
; COMPUTE_PGM_RSRC2:TGID_Z_EN: 0
; COMPUTE_PGM_RSRC2:TIDIG_COMP_CNT: 0
	.section	.text._Z27inclusive_scan_array_kernelILj512ELj4ELN6hipcub18BlockScanAlgorithmE1EjEvPT2_,"axG",@progbits,_Z27inclusive_scan_array_kernelILj512ELj4ELN6hipcub18BlockScanAlgorithmE1EjEvPT2_,comdat
	.protected	_Z27inclusive_scan_array_kernelILj512ELj4ELN6hipcub18BlockScanAlgorithmE1EjEvPT2_ ; -- Begin function _Z27inclusive_scan_array_kernelILj512ELj4ELN6hipcub18BlockScanAlgorithmE1EjEvPT2_
	.globl	_Z27inclusive_scan_array_kernelILj512ELj4ELN6hipcub18BlockScanAlgorithmE1EjEvPT2_
	.p2align	8
	.type	_Z27inclusive_scan_array_kernelILj512ELj4ELN6hipcub18BlockScanAlgorithmE1EjEvPT2_,@function
_Z27inclusive_scan_array_kernelILj512ELj4ELN6hipcub18BlockScanAlgorithmE1EjEvPT2_: ; @_Z27inclusive_scan_array_kernelILj512ELj4ELN6hipcub18BlockScanAlgorithmE1EjEvPT2_
; %bb.0:
	s_load_b64 s[0:1], s[0:1], 0x0
	v_lshlrev_b32_e32 v1, 2, v0
	v_mov_b32_e32 v7, 0
	v_lshrrev_b32_e32 v8, 5, v0
	s_delay_alu instid0(VALU_DEP_3) | instskip(NEXT) | instid1(VALU_DEP_2)
	v_lshl_or_b32 v6, s15, 11, v1
	v_add_lshl_u32 v10, v8, v0, 2
	s_delay_alu instid0(VALU_DEP_2) | instskip(SKIP_1) | instid1(VALU_DEP_1)
	v_lshlrev_b64 v[1:2], 2, v[6:7]
	s_waitcnt lgkmcnt(0)
	v_add_co_u32 v5, vcc_lo, s0, v1
	s_delay_alu instid0(VALU_DEP_2) | instskip(SKIP_4) | instid1(VALU_DEP_1)
	v_add_co_ci_u32_e32 v6, vcc_lo, s1, v2, vcc_lo
	s_mov_b32 s0, exec_lo
	global_load_b128 v[1:4], v[5:6], off
	s_waitcnt vmcnt(0)
	v_add_nc_u32_e32 v9, v2, v1
	v_add3_u32 v8, v9, v3, v4
	ds_store_b32 v10, v8
	s_waitcnt lgkmcnt(0)
	s_barrier
	buffer_gl0_inv
	v_cmpx_gt_u32_e32 32, v0
	s_cbranch_execz .LBB174_2
; %bb.1:
	v_lshlrev_b32_e32 v9, 1, v0
	v_mbcnt_lo_u32_b32 v27, -1, 0
	s_delay_alu instid0(VALU_DEP_2) | instskip(NEXT) | instid1(VALU_DEP_2)
	v_and_b32_e32 v9, 0x3fc, v9
	v_bfe_i32 v30, v27, 4, 1
	s_delay_alu instid0(VALU_DEP_2)
	v_lshl_or_b32 v25, v0, 6, v9
	ds_load_2addr_b32 v[9:10], v25 offset1:1
	ds_load_2addr_b32 v[11:12], v25 offset0:2 offset1:3
	ds_load_2addr_b32 v[13:14], v25 offset0:4 offset1:5
	;; [unrolled: 1-line block ×4, first 2 shown]
	s_waitcnt lgkmcnt(4)
	v_add_nc_u32_e32 v19, v10, v9
	s_waitcnt lgkmcnt(3)
	s_delay_alu instid0(VALU_DEP_1)
	v_add3_u32 v21, v19, v11, v12
	ds_load_2addr_b32 v[19:20], v25 offset0:10 offset1:11
	s_waitcnt lgkmcnt(3)
	v_add3_u32 v26, v21, v13, v14
	ds_load_2addr_b32 v[21:22], v25 offset0:12 offset1:13
	ds_load_2addr_b32 v[23:24], v25 offset0:14 offset1:15
	s_waitcnt lgkmcnt(4)
	v_add3_u32 v26, v26, v15, v16
	s_waitcnt lgkmcnt(3)
	s_delay_alu instid0(VALU_DEP_1) | instskip(SKIP_1) | instid1(VALU_DEP_1)
	v_add3_u32 v26, v26, v17, v18
	s_waitcnt lgkmcnt(2)
	v_add3_u32 v26, v26, v19, v20
	s_waitcnt lgkmcnt(1)
	s_delay_alu instid0(VALU_DEP_1) | instskip(SKIP_1) | instid1(VALU_DEP_1)
	v_add3_u32 v26, v26, v21, v22
	s_waitcnt lgkmcnt(0)
	v_add3_u32 v26, v26, v23, v24
	s_delay_alu instid0(VALU_DEP_1) | instskip(SKIP_1) | instid1(VALU_DEP_1)
	v_mov_b32_dpp v29, v26 row_shr:1 row_mask:0xf bank_mask:0xf
	v_and_b32_e32 v28, 15, v27
	v_cmp_ne_u32_e32 vcc_lo, 0, v28
	s_delay_alu instid0(VALU_DEP_3) | instskip(SKIP_1) | instid1(VALU_DEP_2)
	v_cndmask_b32_e32 v29, 0, v29, vcc_lo
	v_cmp_lt_u32_e32 vcc_lo, 1, v28
	v_add_nc_u32_e32 v26, v29, v26
	s_delay_alu instid0(VALU_DEP_1) | instskip(NEXT) | instid1(VALU_DEP_1)
	v_mov_b32_dpp v29, v26 row_shr:2 row_mask:0xf bank_mask:0xf
	v_cndmask_b32_e32 v29, 0, v29, vcc_lo
	v_cmp_lt_u32_e32 vcc_lo, 3, v28
	s_delay_alu instid0(VALU_DEP_2) | instskip(NEXT) | instid1(VALU_DEP_1)
	v_add_nc_u32_e32 v26, v26, v29
	v_mov_b32_dpp v29, v26 row_shr:4 row_mask:0xf bank_mask:0xf
	s_delay_alu instid0(VALU_DEP_1) | instskip(SKIP_1) | instid1(VALU_DEP_2)
	v_cndmask_b32_e32 v29, 0, v29, vcc_lo
	v_cmp_lt_u32_e32 vcc_lo, 7, v28
	v_add_nc_u32_e32 v26, v26, v29
	s_delay_alu instid0(VALU_DEP_1) | instskip(NEXT) | instid1(VALU_DEP_1)
	v_mov_b32_dpp v29, v26 row_shr:8 row_mask:0xf bank_mask:0xf
	v_dual_cndmask_b32 v28, 0, v29 :: v_dual_add_nc_u32 v29, -1, v27
	s_delay_alu instid0(VALU_DEP_1) | instskip(NEXT) | instid1(VALU_DEP_2)
	v_add_nc_u32_e32 v26, v26, v28
	v_cmp_gt_i32_e32 vcc_lo, 0, v29
	ds_swizzle_b32 v28, v26 offset:swizzle(BROADCAST,32,15)
	v_cndmask_b32_e32 v27, v29, v27, vcc_lo
	v_cmp_eq_u32_e32 vcc_lo, 0, v0
	s_delay_alu instid0(VALU_DEP_2) | instskip(SKIP_2) | instid1(VALU_DEP_1)
	v_lshlrev_b32_e32 v27, 2, v27
	s_waitcnt lgkmcnt(0)
	v_and_b32_e32 v28, v30, v28
	v_add_nc_u32_e32 v26, v26, v28
	ds_bpermute_b32 v26, v27, v26
	s_waitcnt lgkmcnt(0)
	v_add_nc_u32_e32 v9, v26, v9
	s_delay_alu instid0(VALU_DEP_1) | instskip(NEXT) | instid1(VALU_DEP_1)
	v_cndmask_b32_e32 v8, v9, v8, vcc_lo
	v_add_nc_u32_e32 v9, v8, v10
	s_delay_alu instid0(VALU_DEP_1) | instskip(NEXT) | instid1(VALU_DEP_1)
	v_add_nc_u32_e32 v10, v9, v11
	v_add_nc_u32_e32 v11, v10, v12
	s_delay_alu instid0(VALU_DEP_1) | instskip(NEXT) | instid1(VALU_DEP_1)
	v_add_nc_u32_e32 v12, v11, v13
	;; [unrolled: 3-line block ×7, first 2 shown]
	v_add_nc_u32_e32 v23, v22, v24
	ds_store_2addr_b32 v25, v8, v9 offset1:1
	ds_store_2addr_b32 v25, v10, v11 offset0:2 offset1:3
	ds_store_2addr_b32 v25, v12, v13 offset0:4 offset1:5
	;; [unrolled: 1-line block ×7, first 2 shown]
.LBB174_2:
	s_or_b32 exec_lo, exec_lo, s0
	s_delay_alu instid0(SALU_CYCLE_1)
	s_mov_b32 s0, exec_lo
	s_waitcnt lgkmcnt(0)
	s_barrier
	buffer_gl0_inv
	v_cmpx_ne_u32_e32 0, v0
	s_cbranch_execz .LBB174_4
; %bb.3:
	v_add_nc_u32_e32 v0, -1, v0
	s_delay_alu instid0(VALU_DEP_1) | instskip(NEXT) | instid1(VALU_DEP_1)
	v_lshrrev_b32_e32 v7, 5, v0
	v_add_lshl_u32 v0, v7, v0, 2
	ds_load_b32 v7, v0
.LBB174_4:
	s_or_b32 exec_lo, exec_lo, s0
	s_waitcnt lgkmcnt(0)
	v_add_nc_u32_e32 v0, v7, v1
	s_delay_alu instid0(VALU_DEP_1) | instskip(NEXT) | instid1(VALU_DEP_1)
	v_add_nc_u32_e32 v1, v0, v2
	v_add_nc_u32_e32 v2, v1, v3
	s_delay_alu instid0(VALU_DEP_1)
	v_add_nc_u32_e32 v3, v2, v4
	global_store_b128 v[5:6], v[0:3], off
	s_nop 0
	s_sendmsg sendmsg(MSG_DEALLOC_VGPRS)
	s_endpgm
	.section	.rodata,"a",@progbits
	.p2align	6, 0x0
	.amdhsa_kernel _Z27inclusive_scan_array_kernelILj512ELj4ELN6hipcub18BlockScanAlgorithmE1EjEvPT2_
		.amdhsa_group_segment_fixed_size 2112
		.amdhsa_private_segment_fixed_size 0
		.amdhsa_kernarg_size 8
		.amdhsa_user_sgpr_count 15
		.amdhsa_user_sgpr_dispatch_ptr 0
		.amdhsa_user_sgpr_queue_ptr 0
		.amdhsa_user_sgpr_kernarg_segment_ptr 1
		.amdhsa_user_sgpr_dispatch_id 0
		.amdhsa_user_sgpr_private_segment_size 0
		.amdhsa_wavefront_size32 1
		.amdhsa_uses_dynamic_stack 0
		.amdhsa_enable_private_segment 0
		.amdhsa_system_sgpr_workgroup_id_x 1
		.amdhsa_system_sgpr_workgroup_id_y 0
		.amdhsa_system_sgpr_workgroup_id_z 0
		.amdhsa_system_sgpr_workgroup_info 0
		.amdhsa_system_vgpr_workitem_id 0
		.amdhsa_next_free_vgpr 31
		.amdhsa_next_free_sgpr 16
		.amdhsa_reserve_vcc 1
		.amdhsa_float_round_mode_32 0
		.amdhsa_float_round_mode_16_64 0
		.amdhsa_float_denorm_mode_32 3
		.amdhsa_float_denorm_mode_16_64 3
		.amdhsa_dx10_clamp 1
		.amdhsa_ieee_mode 1
		.amdhsa_fp16_overflow 0
		.amdhsa_workgroup_processor_mode 1
		.amdhsa_memory_ordered 1
		.amdhsa_forward_progress 0
		.amdhsa_shared_vgpr_count 0
		.amdhsa_exception_fp_ieee_invalid_op 0
		.amdhsa_exception_fp_denorm_src 0
		.amdhsa_exception_fp_ieee_div_zero 0
		.amdhsa_exception_fp_ieee_overflow 0
		.amdhsa_exception_fp_ieee_underflow 0
		.amdhsa_exception_fp_ieee_inexact 0
		.amdhsa_exception_int_div_zero 0
	.end_amdhsa_kernel
	.section	.text._Z27inclusive_scan_array_kernelILj512ELj4ELN6hipcub18BlockScanAlgorithmE1EjEvPT2_,"axG",@progbits,_Z27inclusive_scan_array_kernelILj512ELj4ELN6hipcub18BlockScanAlgorithmE1EjEvPT2_,comdat
.Lfunc_end174:
	.size	_Z27inclusive_scan_array_kernelILj512ELj4ELN6hipcub18BlockScanAlgorithmE1EjEvPT2_, .Lfunc_end174-_Z27inclusive_scan_array_kernelILj512ELj4ELN6hipcub18BlockScanAlgorithmE1EjEvPT2_
                                        ; -- End function
	.section	.AMDGPU.csdata,"",@progbits
; Kernel info:
; codeLenInByte = 792
; NumSgprs: 18
; NumVgprs: 31
; ScratchSize: 0
; MemoryBound: 0
; FloatMode: 240
; IeeeMode: 1
; LDSByteSize: 2112 bytes/workgroup (compile time only)
; SGPRBlocks: 2
; VGPRBlocks: 3
; NumSGPRsForWavesPerEU: 18
; NumVGPRsForWavesPerEU: 31
; Occupancy: 16
; WaveLimiterHint : 0
; COMPUTE_PGM_RSRC2:SCRATCH_EN: 0
; COMPUTE_PGM_RSRC2:USER_SGPR: 15
; COMPUTE_PGM_RSRC2:TRAP_HANDLER: 0
; COMPUTE_PGM_RSRC2:TGID_X_EN: 1
; COMPUTE_PGM_RSRC2:TGID_Y_EN: 0
; COMPUTE_PGM_RSRC2:TGID_Z_EN: 0
; COMPUTE_PGM_RSRC2:TIDIG_COMP_CNT: 0
	.section	.text._Z27inclusive_scan_array_kernelILj256ELj3ELN6hipcub18BlockScanAlgorithmE1EiEvPT2_,"axG",@progbits,_Z27inclusive_scan_array_kernelILj256ELj3ELN6hipcub18BlockScanAlgorithmE1EiEvPT2_,comdat
	.protected	_Z27inclusive_scan_array_kernelILj256ELj3ELN6hipcub18BlockScanAlgorithmE1EiEvPT2_ ; -- Begin function _Z27inclusive_scan_array_kernelILj256ELj3ELN6hipcub18BlockScanAlgorithmE1EiEvPT2_
	.globl	_Z27inclusive_scan_array_kernelILj256ELj3ELN6hipcub18BlockScanAlgorithmE1EiEvPT2_
	.p2align	8
	.type	_Z27inclusive_scan_array_kernelILj256ELj3ELN6hipcub18BlockScanAlgorithmE1EiEvPT2_,@function
_Z27inclusive_scan_array_kernelILj256ELj3ELN6hipcub18BlockScanAlgorithmE1EiEvPT2_: ; @_Z27inclusive_scan_array_kernelILj256ELj3ELN6hipcub18BlockScanAlgorithmE1EiEvPT2_
; %bb.0:
	s_load_b64 s[0:1], s[0:1], 0x0
	v_lshl_or_b32 v1, s15, 8, v0
	v_lshrrev_b32_e32 v11, 5, v0
	s_delay_alu instid0(VALU_DEP_2) | instskip(SKIP_1) | instid1(VALU_DEP_3)
	v_lshl_add_u32 v1, v1, 1, v1
	v_mov_b32_e32 v2, 0
	v_add_lshl_u32 v12, v11, v0, 2
	s_delay_alu instid0(VALU_DEP_2) | instskip(SKIP_2) | instid1(VALU_DEP_3)
	v_dual_mov_b32 v4, v2 :: v_dual_add_nc_u32 v3, 1, v1
	v_lshlrev_b64 v[5:6], 2, v[1:2]
	v_add_nc_u32_e32 v1, 2, v1
	v_lshlrev_b64 v[7:8], 2, v[3:4]
	s_delay_alu instid0(VALU_DEP_2) | instskip(SKIP_1) | instid1(VALU_DEP_4)
	v_lshlrev_b64 v[9:10], 2, v[1:2]
	s_waitcnt lgkmcnt(0)
	v_add_co_u32 v3, vcc_lo, s0, v5
	v_add_co_ci_u32_e32 v4, vcc_lo, s1, v6, vcc_lo
	s_delay_alu instid0(VALU_DEP_4)
	v_add_co_u32 v5, vcc_lo, s0, v7
	v_add_co_ci_u32_e32 v6, vcc_lo, s1, v8, vcc_lo
	v_add_co_u32 v7, vcc_lo, s0, v9
	v_add_co_ci_u32_e32 v8, vcc_lo, s1, v10, vcc_lo
	s_clause 0x2
	global_load_b32 v1, v[3:4], off
	global_load_b32 v9, v[5:6], off
	;; [unrolled: 1-line block ×3, first 2 shown]
	s_mov_b32 s0, exec_lo
	s_waitcnt vmcnt(0)
	v_add3_u32 v11, v9, v1, v10
	ds_store_b32 v12, v11
	s_waitcnt lgkmcnt(0)
	s_barrier
	buffer_gl0_inv
	v_cmpx_gt_u32_e32 32, v0
	s_cbranch_execz .LBB175_2
; %bb.1:
	v_and_b32_e32 v12, 0xfc, v0
	v_mbcnt_lo_u32_b32 v22, -1, 0
	s_delay_alu instid0(VALU_DEP_2) | instskip(NEXT) | instid1(VALU_DEP_2)
	v_lshl_or_b32 v20, v0, 5, v12
	v_add_nc_u32_e32 v25, -1, v22
	ds_load_2addr_b32 v[12:13], v20 offset1:1
	ds_load_2addr_b32 v[14:15], v20 offset0:2 offset1:3
	ds_load_2addr_b32 v[16:17], v20 offset0:4 offset1:5
	;; [unrolled: 1-line block ×3, first 2 shown]
	s_waitcnt lgkmcnt(3)
	v_add_nc_u32_e32 v21, v13, v12
	s_waitcnt lgkmcnt(2)
	s_delay_alu instid0(VALU_DEP_1) | instskip(SKIP_1) | instid1(VALU_DEP_1)
	v_add3_u32 v21, v21, v14, v15
	s_waitcnt lgkmcnt(1)
	v_add3_u32 v21, v21, v16, v17
	s_waitcnt lgkmcnt(0)
	s_delay_alu instid0(VALU_DEP_1) | instskip(NEXT) | instid1(VALU_DEP_1)
	v_add3_u32 v21, v21, v18, v19
	v_mov_b32_dpp v24, v21 row_shr:1 row_mask:0xf bank_mask:0xf
	v_and_b32_e32 v23, 15, v22
	s_delay_alu instid0(VALU_DEP_1) | instskip(NEXT) | instid1(VALU_DEP_3)
	v_cmp_ne_u32_e32 vcc_lo, 0, v23
	v_cndmask_b32_e32 v24, 0, v24, vcc_lo
	v_cmp_lt_u32_e32 vcc_lo, 1, v23
	s_delay_alu instid0(VALU_DEP_2) | instskip(NEXT) | instid1(VALU_DEP_1)
	v_add_nc_u32_e32 v21, v24, v21
	v_mov_b32_dpp v24, v21 row_shr:2 row_mask:0xf bank_mask:0xf
	s_delay_alu instid0(VALU_DEP_1) | instskip(SKIP_1) | instid1(VALU_DEP_2)
	v_cndmask_b32_e32 v24, 0, v24, vcc_lo
	v_cmp_lt_u32_e32 vcc_lo, 3, v23
	v_add_nc_u32_e32 v21, v21, v24
	s_delay_alu instid0(VALU_DEP_1) | instskip(NEXT) | instid1(VALU_DEP_1)
	v_mov_b32_dpp v24, v21 row_shr:4 row_mask:0xf bank_mask:0xf
	v_cndmask_b32_e32 v24, 0, v24, vcc_lo
	v_cmp_lt_u32_e32 vcc_lo, 7, v23
	s_delay_alu instid0(VALU_DEP_2) | instskip(NEXT) | instid1(VALU_DEP_1)
	v_add_nc_u32_e32 v21, v21, v24
	v_mov_b32_dpp v24, v21 row_shr:8 row_mask:0xf bank_mask:0xf
	s_delay_alu instid0(VALU_DEP_1) | instskip(SKIP_3) | instid1(VALU_DEP_4)
	v_cndmask_b32_e32 v23, 0, v24, vcc_lo
	v_cmp_gt_i32_e32 vcc_lo, 0, v25
	v_bfe_i32 v24, v22, 4, 1
	v_cndmask_b32_e32 v22, v25, v22, vcc_lo
	v_add_nc_u32_e32 v21, v21, v23
	v_cmp_eq_u32_e32 vcc_lo, 0, v0
	s_delay_alu instid0(VALU_DEP_3) | instskip(SKIP_3) | instid1(VALU_DEP_1)
	v_lshlrev_b32_e32 v22, 2, v22
	ds_swizzle_b32 v23, v21 offset:swizzle(BROADCAST,32,15)
	s_waitcnt lgkmcnt(0)
	v_and_b32_e32 v23, v24, v23
	v_add_nc_u32_e32 v21, v21, v23
	ds_bpermute_b32 v21, v22, v21
	s_waitcnt lgkmcnt(0)
	v_add_nc_u32_e32 v12, v21, v12
	s_delay_alu instid0(VALU_DEP_1) | instskip(NEXT) | instid1(VALU_DEP_1)
	v_cndmask_b32_e32 v11, v12, v11, vcc_lo
	v_add_nc_u32_e32 v12, v11, v13
	s_delay_alu instid0(VALU_DEP_1) | instskip(NEXT) | instid1(VALU_DEP_1)
	v_add_nc_u32_e32 v13, v12, v14
	v_add_nc_u32_e32 v14, v13, v15
	s_delay_alu instid0(VALU_DEP_1) | instskip(NEXT) | instid1(VALU_DEP_1)
	v_add_nc_u32_e32 v15, v14, v16
	;; [unrolled: 3-line block ×3, first 2 shown]
	v_add_nc_u32_e32 v18, v17, v19
	ds_store_2addr_b32 v20, v11, v12 offset1:1
	ds_store_2addr_b32 v20, v13, v14 offset0:2 offset1:3
	ds_store_2addr_b32 v20, v15, v16 offset0:4 offset1:5
	;; [unrolled: 1-line block ×3, first 2 shown]
.LBB175_2:
	s_or_b32 exec_lo, exec_lo, s0
	s_delay_alu instid0(SALU_CYCLE_1)
	s_mov_b32 s0, exec_lo
	s_waitcnt lgkmcnt(0)
	s_barrier
	buffer_gl0_inv
	v_cmpx_ne_u32_e32 0, v0
	s_cbranch_execz .LBB175_4
; %bb.3:
	v_add_nc_u32_e32 v0, -1, v0
	s_delay_alu instid0(VALU_DEP_1) | instskip(NEXT) | instid1(VALU_DEP_1)
	v_lshrrev_b32_e32 v2, 5, v0
	v_add_lshl_u32 v0, v2, v0, 2
	ds_load_b32 v2, v0
.LBB175_4:
	s_or_b32 exec_lo, exec_lo, s0
	s_waitcnt lgkmcnt(0)
	v_add_nc_u32_e32 v0, v2, v1
	s_delay_alu instid0(VALU_DEP_1) | instskip(NEXT) | instid1(VALU_DEP_1)
	v_add_nc_u32_e32 v1, v0, v9
	v_add_nc_u32_e32 v2, v1, v10
	s_clause 0x2
	global_store_b32 v[3:4], v0, off
	global_store_b32 v[5:6], v1, off
	;; [unrolled: 1-line block ×3, first 2 shown]
	s_nop 0
	s_sendmsg sendmsg(MSG_DEALLOC_VGPRS)
	s_endpgm
	.section	.rodata,"a",@progbits
	.p2align	6, 0x0
	.amdhsa_kernel _Z27inclusive_scan_array_kernelILj256ELj3ELN6hipcub18BlockScanAlgorithmE1EiEvPT2_
		.amdhsa_group_segment_fixed_size 1056
		.amdhsa_private_segment_fixed_size 0
		.amdhsa_kernarg_size 8
		.amdhsa_user_sgpr_count 15
		.amdhsa_user_sgpr_dispatch_ptr 0
		.amdhsa_user_sgpr_queue_ptr 0
		.amdhsa_user_sgpr_kernarg_segment_ptr 1
		.amdhsa_user_sgpr_dispatch_id 0
		.amdhsa_user_sgpr_private_segment_size 0
		.amdhsa_wavefront_size32 1
		.amdhsa_uses_dynamic_stack 0
		.amdhsa_enable_private_segment 0
		.amdhsa_system_sgpr_workgroup_id_x 1
		.amdhsa_system_sgpr_workgroup_id_y 0
		.amdhsa_system_sgpr_workgroup_id_z 0
		.amdhsa_system_sgpr_workgroup_info 0
		.amdhsa_system_vgpr_workitem_id 0
		.amdhsa_next_free_vgpr 26
		.amdhsa_next_free_sgpr 16
		.amdhsa_reserve_vcc 1
		.amdhsa_float_round_mode_32 0
		.amdhsa_float_round_mode_16_64 0
		.amdhsa_float_denorm_mode_32 3
		.amdhsa_float_denorm_mode_16_64 3
		.amdhsa_dx10_clamp 1
		.amdhsa_ieee_mode 1
		.amdhsa_fp16_overflow 0
		.amdhsa_workgroup_processor_mode 1
		.amdhsa_memory_ordered 1
		.amdhsa_forward_progress 0
		.amdhsa_shared_vgpr_count 0
		.amdhsa_exception_fp_ieee_invalid_op 0
		.amdhsa_exception_fp_denorm_src 0
		.amdhsa_exception_fp_ieee_div_zero 0
		.amdhsa_exception_fp_ieee_overflow 0
		.amdhsa_exception_fp_ieee_underflow 0
		.amdhsa_exception_fp_ieee_inexact 0
		.amdhsa_exception_int_div_zero 0
	.end_amdhsa_kernel
	.section	.text._Z27inclusive_scan_array_kernelILj256ELj3ELN6hipcub18BlockScanAlgorithmE1EiEvPT2_,"axG",@progbits,_Z27inclusive_scan_array_kernelILj256ELj3ELN6hipcub18BlockScanAlgorithmE1EiEvPT2_,comdat
.Lfunc_end175:
	.size	_Z27inclusive_scan_array_kernelILj256ELj3ELN6hipcub18BlockScanAlgorithmE1EiEvPT2_, .Lfunc_end175-_Z27inclusive_scan_array_kernelILj256ELj3ELN6hipcub18BlockScanAlgorithmE1EiEvPT2_
                                        ; -- End function
	.section	.AMDGPU.csdata,"",@progbits
; Kernel info:
; codeLenInByte = 704
; NumSgprs: 18
; NumVgprs: 26
; ScratchSize: 0
; MemoryBound: 0
; FloatMode: 240
; IeeeMode: 1
; LDSByteSize: 1056 bytes/workgroup (compile time only)
; SGPRBlocks: 2
; VGPRBlocks: 3
; NumSGPRsForWavesPerEU: 18
; NumVGPRsForWavesPerEU: 26
; Occupancy: 16
; WaveLimiterHint : 0
; COMPUTE_PGM_RSRC2:SCRATCH_EN: 0
; COMPUTE_PGM_RSRC2:USER_SGPR: 15
; COMPUTE_PGM_RSRC2:TRAP_HANDLER: 0
; COMPUTE_PGM_RSRC2:TGID_X_EN: 1
; COMPUTE_PGM_RSRC2:TGID_Y_EN: 0
; COMPUTE_PGM_RSRC2:TGID_Z_EN: 0
; COMPUTE_PGM_RSRC2:TIDIG_COMP_CNT: 0
	.section	.text._Z27inclusive_scan_array_kernelILj32ELj2ELN6hipcub18BlockScanAlgorithmE1EfEvPT2_,"axG",@progbits,_Z27inclusive_scan_array_kernelILj32ELj2ELN6hipcub18BlockScanAlgorithmE1EfEvPT2_,comdat
	.protected	_Z27inclusive_scan_array_kernelILj32ELj2ELN6hipcub18BlockScanAlgorithmE1EfEvPT2_ ; -- Begin function _Z27inclusive_scan_array_kernelILj32ELj2ELN6hipcub18BlockScanAlgorithmE1EfEvPT2_
	.globl	_Z27inclusive_scan_array_kernelILj32ELj2ELN6hipcub18BlockScanAlgorithmE1EfEvPT2_
	.p2align	8
	.type	_Z27inclusive_scan_array_kernelILj32ELj2ELN6hipcub18BlockScanAlgorithmE1EfEvPT2_,@function
_Z27inclusive_scan_array_kernelILj32ELj2ELN6hipcub18BlockScanAlgorithmE1EfEvPT2_: ; @_Z27inclusive_scan_array_kernelILj32ELj2ELN6hipcub18BlockScanAlgorithmE1EfEvPT2_
; %bb.0:
	s_load_b64 s[0:1], s[0:1], 0x0
	v_lshlrev_b32_e32 v1, 1, v0
	v_mov_b32_e32 v5, 0
	v_mbcnt_lo_u32_b32 v6, -1, 0
	s_delay_alu instid0(VALU_DEP_3) | instskip(NEXT) | instid1(VALU_DEP_2)
	v_lshl_or_b32 v4, s15, 6, v1
	v_and_b32_e32 v9, 15, v6
	s_delay_alu instid0(VALU_DEP_2) | instskip(SKIP_1) | instid1(VALU_DEP_1)
	v_lshlrev_b64 v[1:2], 2, v[4:5]
	s_waitcnt lgkmcnt(0)
	v_add_co_u32 v1, vcc_lo, s0, v1
	s_delay_alu instid0(VALU_DEP_2)
	v_add_co_ci_u32_e32 v2, vcc_lo, s1, v2, vcc_lo
	v_cmp_eq_u32_e32 vcc_lo, 0, v9
	s_mov_b32 s0, exec_lo
	global_load_b64 v[3:4], v[1:2], off
	s_waitcnt vmcnt(0)
	v_add_f32_e32 v7, v3, v4
	s_delay_alu instid0(VALU_DEP_1) | instskip(NEXT) | instid1(VALU_DEP_1)
	v_mov_b32_dpp v8, v7 row_shr:1 row_mask:0xf bank_mask:0xf
	v_add_f32_e32 v8, v7, v8
	s_delay_alu instid0(VALU_DEP_1) | instskip(NEXT) | instid1(VALU_DEP_1)
	v_cndmask_b32_e32 v7, v8, v7, vcc_lo
	v_mov_b32_dpp v8, v7 row_shr:2 row_mask:0xf bank_mask:0xf
	s_delay_alu instid0(VALU_DEP_1) | instskip(SKIP_1) | instid1(VALU_DEP_2)
	v_add_f32_e32 v8, v7, v8
	v_cmp_lt_u32_e32 vcc_lo, 1, v9
	v_cndmask_b32_e32 v7, v7, v8, vcc_lo
	v_cmp_lt_u32_e32 vcc_lo, 3, v9
	s_delay_alu instid0(VALU_DEP_2) | instskip(NEXT) | instid1(VALU_DEP_1)
	v_mov_b32_dpp v8, v7 row_shr:4 row_mask:0xf bank_mask:0xf
	v_add_f32_e32 v8, v7, v8
	s_delay_alu instid0(VALU_DEP_1) | instskip(SKIP_2) | instid1(VALU_DEP_3)
	v_cndmask_b32_e32 v7, v7, v8, vcc_lo
	v_cmp_lt_u32_e32 vcc_lo, 7, v9
	v_and_b32_e32 v9, 16, v6
	v_mov_b32_dpp v8, v7 row_shr:8 row_mask:0xf bank_mask:0xf
	s_delay_alu instid0(VALU_DEP_1) | instskip(NEXT) | instid1(VALU_DEP_1)
	v_add_f32_e32 v8, v7, v8
	v_cndmask_b32_e32 v7, v7, v8, vcc_lo
	s_delay_alu instid0(VALU_DEP_4) | instskip(SKIP_3) | instid1(VALU_DEP_1)
	v_cmp_eq_u32_e32 vcc_lo, 0, v9
	ds_swizzle_b32 v8, v7 offset:swizzle(BROADCAST,32,15)
	s_waitcnt lgkmcnt(0)
	v_add_f32_e32 v8, v7, v8
	v_cndmask_b32_e32 v7, v8, v7, vcc_lo
	v_cmpx_eq_u32_e32 31, v0
	s_cbranch_execz .LBB176_2
; %bb.1:
	ds_store_b32 v5, v7
.LBB176_2:
	s_or_b32 exec_lo, exec_lo, s0
	v_add_nc_u32_e32 v5, -1, v6
	s_waitcnt vmcnt(0) lgkmcnt(0)
	s_waitcnt_vscnt null, 0x0
	; wave barrier
	s_waitcnt lgkmcnt(0)
	buffer_gl0_inv
	v_cmp_gt_i32_e32 vcc_lo, 0, v5
	v_cndmask_b32_e32 v5, v5, v6, vcc_lo
	v_cmp_eq_u32_e32 vcc_lo, 0, v0
	s_delay_alu instid0(VALU_DEP_2) | instskip(SKIP_3) | instid1(VALU_DEP_1)
	v_lshlrev_b32_e32 v5, 2, v5
	ds_bpermute_b32 v5, v5, v7
	s_waitcnt lgkmcnt(0)
	v_add_f32_e32 v5, v3, v5
	v_cndmask_b32_e32 v3, v5, v3, vcc_lo
	s_delay_alu instid0(VALU_DEP_1)
	v_add_f32_e32 v4, v4, v3
	global_store_b64 v[1:2], v[3:4], off
	s_nop 0
	s_sendmsg sendmsg(MSG_DEALLOC_VGPRS)
	s_endpgm
	.section	.rodata,"a",@progbits
	.p2align	6, 0x0
	.amdhsa_kernel _Z27inclusive_scan_array_kernelILj32ELj2ELN6hipcub18BlockScanAlgorithmE1EfEvPT2_
		.amdhsa_group_segment_fixed_size 4
		.amdhsa_private_segment_fixed_size 0
		.amdhsa_kernarg_size 8
		.amdhsa_user_sgpr_count 15
		.amdhsa_user_sgpr_dispatch_ptr 0
		.amdhsa_user_sgpr_queue_ptr 0
		.amdhsa_user_sgpr_kernarg_segment_ptr 1
		.amdhsa_user_sgpr_dispatch_id 0
		.amdhsa_user_sgpr_private_segment_size 0
		.amdhsa_wavefront_size32 1
		.amdhsa_uses_dynamic_stack 0
		.amdhsa_enable_private_segment 0
		.amdhsa_system_sgpr_workgroup_id_x 1
		.amdhsa_system_sgpr_workgroup_id_y 0
		.amdhsa_system_sgpr_workgroup_id_z 0
		.amdhsa_system_sgpr_workgroup_info 0
		.amdhsa_system_vgpr_workitem_id 0
		.amdhsa_next_free_vgpr 10
		.amdhsa_next_free_sgpr 16
		.amdhsa_reserve_vcc 1
		.amdhsa_float_round_mode_32 0
		.amdhsa_float_round_mode_16_64 0
		.amdhsa_float_denorm_mode_32 3
		.amdhsa_float_denorm_mode_16_64 3
		.amdhsa_dx10_clamp 1
		.amdhsa_ieee_mode 1
		.amdhsa_fp16_overflow 0
		.amdhsa_workgroup_processor_mode 1
		.amdhsa_memory_ordered 1
		.amdhsa_forward_progress 0
		.amdhsa_shared_vgpr_count 0
		.amdhsa_exception_fp_ieee_invalid_op 0
		.amdhsa_exception_fp_denorm_src 0
		.amdhsa_exception_fp_ieee_div_zero 0
		.amdhsa_exception_fp_ieee_overflow 0
		.amdhsa_exception_fp_ieee_underflow 0
		.amdhsa_exception_fp_ieee_inexact 0
		.amdhsa_exception_int_div_zero 0
	.end_amdhsa_kernel
	.section	.text._Z27inclusive_scan_array_kernelILj32ELj2ELN6hipcub18BlockScanAlgorithmE1EfEvPT2_,"axG",@progbits,_Z27inclusive_scan_array_kernelILj32ELj2ELN6hipcub18BlockScanAlgorithmE1EfEvPT2_,comdat
.Lfunc_end176:
	.size	_Z27inclusive_scan_array_kernelILj32ELj2ELN6hipcub18BlockScanAlgorithmE1EfEvPT2_, .Lfunc_end176-_Z27inclusive_scan_array_kernelILj32ELj2ELN6hipcub18BlockScanAlgorithmE1EfEvPT2_
                                        ; -- End function
	.section	.AMDGPU.csdata,"",@progbits
; Kernel info:
; codeLenInByte = 340
; NumSgprs: 18
; NumVgprs: 10
; ScratchSize: 0
; MemoryBound: 0
; FloatMode: 240
; IeeeMode: 1
; LDSByteSize: 4 bytes/workgroup (compile time only)
; SGPRBlocks: 2
; VGPRBlocks: 1
; NumSGPRsForWavesPerEU: 18
; NumVGPRsForWavesPerEU: 10
; Occupancy: 16
; WaveLimiterHint : 0
; COMPUTE_PGM_RSRC2:SCRATCH_EN: 0
; COMPUTE_PGM_RSRC2:USER_SGPR: 15
; COMPUTE_PGM_RSRC2:TRAP_HANDLER: 0
; COMPUTE_PGM_RSRC2:TGID_X_EN: 1
; COMPUTE_PGM_RSRC2:TGID_Y_EN: 0
; COMPUTE_PGM_RSRC2:TGID_Z_EN: 0
; COMPUTE_PGM_RSRC2:TIDIG_COMP_CNT: 0
	.section	.text._Z27inclusive_scan_array_kernelILj6ELj32ELN6hipcub18BlockScanAlgorithmE1EfEvPT2_,"axG",@progbits,_Z27inclusive_scan_array_kernelILj6ELj32ELN6hipcub18BlockScanAlgorithmE1EfEvPT2_,comdat
	.protected	_Z27inclusive_scan_array_kernelILj6ELj32ELN6hipcub18BlockScanAlgorithmE1EfEvPT2_ ; -- Begin function _Z27inclusive_scan_array_kernelILj6ELj32ELN6hipcub18BlockScanAlgorithmE1EfEvPT2_
	.globl	_Z27inclusive_scan_array_kernelILj6ELj32ELN6hipcub18BlockScanAlgorithmE1EfEvPT2_
	.p2align	8
	.type	_Z27inclusive_scan_array_kernelILj6ELj32ELN6hipcub18BlockScanAlgorithmE1EfEvPT2_,@function
_Z27inclusive_scan_array_kernelILj6ELj32ELN6hipcub18BlockScanAlgorithmE1EfEvPT2_: ; @_Z27inclusive_scan_array_kernelILj6ELj32ELN6hipcub18BlockScanAlgorithmE1EfEvPT2_
; %bb.0:
	s_load_b64 s[0:1], s[0:1], 0x0
	s_mul_i32 s15, s15, 6
	v_mov_b32_e32 v35, 0
	v_add_lshl_u32 v34, s15, v0, 5
	s_delay_alu instid0(VALU_DEP_1) | instskip(SKIP_1) | instid1(VALU_DEP_1)
	v_lshlrev_b64 v[1:2], 2, v[34:35]
	s_waitcnt lgkmcnt(0)
	v_add_co_u32 v33, vcc_lo, s0, v1
	s_delay_alu instid0(VALU_DEP_2)
	v_add_co_ci_u32_e32 v34, vcc_lo, s1, v2, vcc_lo
	s_mov_b32 s0, exec_lo
	s_clause 0x7
	global_load_b128 v[29:32], v[33:34], off
	global_load_b128 v[25:28], v[33:34], off offset:16
	global_load_b128 v[21:24], v[33:34], off offset:32
	;; [unrolled: 1-line block ×7, first 2 shown]
	s_waitcnt vmcnt(7)
	v_add_f32_e32 v36, v29, v30
	s_delay_alu instid0(VALU_DEP_1) | instskip(NEXT) | instid1(VALU_DEP_1)
	v_add_f32_e32 v36, v36, v31
	v_add_f32_e32 v36, v36, v32
	s_waitcnt vmcnt(6)
	s_delay_alu instid0(VALU_DEP_1) | instskip(NEXT) | instid1(VALU_DEP_1)
	v_add_f32_e32 v36, v36, v25
	v_add_f32_e32 v36, v36, v26
	s_delay_alu instid0(VALU_DEP_1) | instskip(NEXT) | instid1(VALU_DEP_1)
	v_add_f32_e32 v36, v36, v27
	v_add_f32_e32 v36, v36, v28
	s_waitcnt vmcnt(5)
	s_delay_alu instid0(VALU_DEP_1) | instskip(NEXT) | instid1(VALU_DEP_1)
	v_add_f32_e32 v36, v36, v21
	;; [unrolled: 7-line block ×7, first 2 shown]
	v_add_f32_e32 v36, v36, v2
	s_delay_alu instid0(VALU_DEP_1) | instskip(NEXT) | instid1(VALU_DEP_1)
	v_add_f32_e32 v36, v36, v3
	v_add_f32_e32 v37, v36, v4
	v_mbcnt_lo_u32_b32 v36, -1, 0
	s_delay_alu instid0(VALU_DEP_2) | instskip(NEXT) | instid1(VALU_DEP_1)
	v_mov_b32_dpp v38, v37 row_shr:1 row_mask:0xf bank_mask:0xf
	v_dual_add_f32 v38, v37, v38 :: v_dual_and_b32 v39, 7, v36
	s_delay_alu instid0(VALU_DEP_1) | instskip(NEXT) | instid1(VALU_DEP_2)
	v_cmp_eq_u32_e32 vcc_lo, 0, v39
	v_cndmask_b32_e32 v37, v38, v37, vcc_lo
	v_cmp_lt_u32_e32 vcc_lo, 1, v39
	s_delay_alu instid0(VALU_DEP_2) | instskip(NEXT) | instid1(VALU_DEP_1)
	v_mov_b32_dpp v38, v37 row_shr:2 row_mask:0xf bank_mask:0xf
	v_add_f32_e32 v38, v37, v38
	s_delay_alu instid0(VALU_DEP_1) | instskip(SKIP_1) | instid1(VALU_DEP_2)
	v_cndmask_b32_e32 v37, v37, v38, vcc_lo
	v_cmp_lt_u32_e32 vcc_lo, 3, v39
	v_mov_b32_dpp v38, v37 row_shr:4 row_mask:0xf bank_mask:0xf
	s_delay_alu instid0(VALU_DEP_1) | instskip(NEXT) | instid1(VALU_DEP_1)
	v_add_f32_e32 v38, v37, v38
	v_cndmask_b32_e32 v37, v37, v38, vcc_lo
	v_cmpx_eq_u32_e32 5, v0
	s_cbranch_execz .LBB177_2
; %bb.1:
	ds_store_b32 v35, v37
.LBB177_2:
	s_or_b32 exec_lo, exec_lo, s0
	v_add_nc_u32_e32 v35, -1, v36
	v_and_b32_e32 v38, 24, v36
	s_waitcnt vmcnt(0) lgkmcnt(0)
	s_waitcnt_vscnt null, 0x0
	; wave barrier
	s_waitcnt lgkmcnt(0)
	buffer_gl0_inv
	v_cmp_lt_i32_e32 vcc_lo, v35, v38
	v_cndmask_b32_e32 v35, v35, v36, vcc_lo
	v_cmp_eq_u32_e32 vcc_lo, 0, v0
	s_delay_alu instid0(VALU_DEP_2) | instskip(SKIP_3) | instid1(VALU_DEP_1)
	v_lshlrev_b32_e32 v35, 2, v35
	ds_bpermute_b32 v35, v35, v37
	s_waitcnt lgkmcnt(0)
	v_add_f32_e32 v35, v29, v35
	v_cndmask_b32_e32 v29, v35, v29, vcc_lo
	s_delay_alu instid0(VALU_DEP_1) | instskip(NEXT) | instid1(VALU_DEP_1)
	v_add_f32_e32 v30, v29, v30
	v_add_f32_e32 v31, v30, v31
	s_delay_alu instid0(VALU_DEP_1) | instskip(NEXT) | instid1(VALU_DEP_1)
	v_add_f32_e32 v32, v31, v32
	v_add_f32_e32 v25, v32, v25
	;; [unrolled: 3-line block ×6, first 2 shown]
	s_delay_alu instid0(VALU_DEP_1) | instskip(SKIP_4) | instid1(VALU_DEP_1)
	v_add_f32_e32 v14, v13, v14
	s_clause 0x1
	global_store_b128 v[33:34], v[29:32], off
	global_store_b128 v[33:34], v[25:28], off offset:16
	v_add_f32_e32 v15, v14, v15
	v_add_f32_e32 v16, v15, v16
	s_delay_alu instid0(VALU_DEP_1) | instskip(NEXT) | instid1(VALU_DEP_1)
	v_add_f32_e32 v17, v16, v17
	v_add_f32_e32 v18, v17, v18
	s_delay_alu instid0(VALU_DEP_1) | instskip(NEXT) | instid1(VALU_DEP_1)
	;; [unrolled: 3-line block ×8, first 2 shown]
	v_add_f32_e32 v2, v1, v3
	v_add_f32_e32 v3, v2, v4
	s_clause 0x5
	global_store_b128 v[33:34], v[21:24], off offset:32
	global_store_b128 v[33:34], v[13:16], off offset:48
	;; [unrolled: 1-line block ×6, first 2 shown]
	s_nop 0
	s_sendmsg sendmsg(MSG_DEALLOC_VGPRS)
	s_endpgm
	.section	.rodata,"a",@progbits
	.p2align	6, 0x0
	.amdhsa_kernel _Z27inclusive_scan_array_kernelILj6ELj32ELN6hipcub18BlockScanAlgorithmE1EfEvPT2_
		.amdhsa_group_segment_fixed_size 4
		.amdhsa_private_segment_fixed_size 0
		.amdhsa_kernarg_size 8
		.amdhsa_user_sgpr_count 15
		.amdhsa_user_sgpr_dispatch_ptr 0
		.amdhsa_user_sgpr_queue_ptr 0
		.amdhsa_user_sgpr_kernarg_segment_ptr 1
		.amdhsa_user_sgpr_dispatch_id 0
		.amdhsa_user_sgpr_private_segment_size 0
		.amdhsa_wavefront_size32 1
		.amdhsa_uses_dynamic_stack 0
		.amdhsa_enable_private_segment 0
		.amdhsa_system_sgpr_workgroup_id_x 1
		.amdhsa_system_sgpr_workgroup_id_y 0
		.amdhsa_system_sgpr_workgroup_id_z 0
		.amdhsa_system_sgpr_workgroup_info 0
		.amdhsa_system_vgpr_workitem_id 0
		.amdhsa_next_free_vgpr 40
		.amdhsa_next_free_sgpr 16
		.amdhsa_reserve_vcc 1
		.amdhsa_float_round_mode_32 0
		.amdhsa_float_round_mode_16_64 0
		.amdhsa_float_denorm_mode_32 3
		.amdhsa_float_denorm_mode_16_64 3
		.amdhsa_dx10_clamp 1
		.amdhsa_ieee_mode 1
		.amdhsa_fp16_overflow 0
		.amdhsa_workgroup_processor_mode 1
		.amdhsa_memory_ordered 1
		.amdhsa_forward_progress 0
		.amdhsa_shared_vgpr_count 0
		.amdhsa_exception_fp_ieee_invalid_op 0
		.amdhsa_exception_fp_denorm_src 0
		.amdhsa_exception_fp_ieee_div_zero 0
		.amdhsa_exception_fp_ieee_overflow 0
		.amdhsa_exception_fp_ieee_underflow 0
		.amdhsa_exception_fp_ieee_inexact 0
		.amdhsa_exception_int_div_zero 0
	.end_amdhsa_kernel
	.section	.text._Z27inclusive_scan_array_kernelILj6ELj32ELN6hipcub18BlockScanAlgorithmE1EfEvPT2_,"axG",@progbits,_Z27inclusive_scan_array_kernelILj6ELj32ELN6hipcub18BlockScanAlgorithmE1EfEvPT2_,comdat
.Lfunc_end177:
	.size	_Z27inclusive_scan_array_kernelILj6ELj32ELN6hipcub18BlockScanAlgorithmE1EfEvPT2_, .Lfunc_end177-_Z27inclusive_scan_array_kernelILj6ELj32ELN6hipcub18BlockScanAlgorithmE1EfEvPT2_
                                        ; -- End function
	.section	.AMDGPU.csdata,"",@progbits
; Kernel info:
; codeLenInByte = 792
; NumSgprs: 18
; NumVgprs: 40
; ScratchSize: 0
; MemoryBound: 0
; FloatMode: 240
; IeeeMode: 1
; LDSByteSize: 4 bytes/workgroup (compile time only)
; SGPRBlocks: 2
; VGPRBlocks: 4
; NumSGPRsForWavesPerEU: 18
; NumVGPRsForWavesPerEU: 40
; Occupancy: 16
; WaveLimiterHint : 0
; COMPUTE_PGM_RSRC2:SCRATCH_EN: 0
; COMPUTE_PGM_RSRC2:USER_SGPR: 15
; COMPUTE_PGM_RSRC2:TRAP_HANDLER: 0
; COMPUTE_PGM_RSRC2:TGID_X_EN: 1
; COMPUTE_PGM_RSRC2:TGID_Y_EN: 0
; COMPUTE_PGM_RSRC2:TGID_Z_EN: 0
; COMPUTE_PGM_RSRC2:TIDIG_COMP_CNT: 0
	.section	.text._Z27inclusive_scan_array_kernelILj16ELj5ELN6hipcub18BlockScanAlgorithmE0E12hip_bfloat16EvPT2_,"axG",@progbits,_Z27inclusive_scan_array_kernelILj16ELj5ELN6hipcub18BlockScanAlgorithmE0E12hip_bfloat16EvPT2_,comdat
	.protected	_Z27inclusive_scan_array_kernelILj16ELj5ELN6hipcub18BlockScanAlgorithmE0E12hip_bfloat16EvPT2_ ; -- Begin function _Z27inclusive_scan_array_kernelILj16ELj5ELN6hipcub18BlockScanAlgorithmE0E12hip_bfloat16EvPT2_
	.globl	_Z27inclusive_scan_array_kernelILj16ELj5ELN6hipcub18BlockScanAlgorithmE0E12hip_bfloat16EvPT2_
	.p2align	8
	.type	_Z27inclusive_scan_array_kernelILj16ELj5ELN6hipcub18BlockScanAlgorithmE0E12hip_bfloat16EvPT2_,@function
_Z27inclusive_scan_array_kernelILj16ELj5ELN6hipcub18BlockScanAlgorithmE0E12hip_bfloat16EvPT2_: ; @_Z27inclusive_scan_array_kernelILj16ELj5ELN6hipcub18BlockScanAlgorithmE0E12hip_bfloat16EvPT2_
; %bb.0:
	v_lshl_or_b32 v1, s15, 4, v0
	s_load_b64 s[0:1], s[0:1], 0x0
	s_delay_alu instid0(VALU_DEP_1) | instskip(SKIP_1) | instid1(VALU_DEP_2)
	v_lshl_add_u32 v8, v1, 2, v1
	v_mov_b32_e32 v9, 0
	v_add_nc_u32_e32 v1, 1, v8
	s_delay_alu instid0(VALU_DEP_2)
	v_lshlrev_b64 v[10:11], 1, v[8:9]
	v_add_nc_u32_e32 v15, 2, v8
	v_add_nc_u32_e32 v3, 3, v8
	;; [unrolled: 1-line block ×3, first 2 shown]
	v_mov_b32_e32 v2, v9
	v_mov_b32_e32 v4, v9
	;; [unrolled: 1-line block ×3, first 2 shown]
	s_delay_alu instid0(VALU_DEP_4) | instskip(NEXT) | instid1(VALU_DEP_4)
	v_lshlrev_b64 v[5:6], 1, v[8:9]
	v_lshlrev_b64 v[1:2], 1, v[1:2]
	s_delay_alu instid0(VALU_DEP_4) | instskip(SKIP_1) | instid1(VALU_DEP_2)
	v_lshlrev_b64 v[3:4], 1, v[3:4]
	s_waitcnt lgkmcnt(0)
	v_add_co_u32 v1, vcc_lo, s0, v1
	s_delay_alu instid0(VALU_DEP_3) | instskip(NEXT) | instid1(VALU_DEP_3)
	v_add_co_ci_u32_e32 v2, vcc_lo, s1, v2, vcc_lo
	v_add_co_u32 v3, vcc_lo, s0, v3
	s_delay_alu instid0(VALU_DEP_4)
	v_add_co_ci_u32_e32 v4, vcc_lo, s1, v4, vcc_lo
	v_add_co_u32 v5, vcc_lo, s0, v5
	v_add_co_ci_u32_e32 v6, vcc_lo, s1, v6, vcc_lo
	v_add_co_u32 v7, vcc_lo, s0, v10
	v_add_co_ci_u32_e32 v8, vcc_lo, s1, v11, vcc_lo
	s_clause 0x3
	global_load_u16 v13, v[3:4], off
	global_load_u16 v14, v[5:6], off
	;; [unrolled: 1-line block ×4, first 2 shown]
	v_lshlrev_b64 v[9:10], 1, v[15:16]
	s_delay_alu instid0(VALU_DEP_1) | instskip(NEXT) | instid1(VALU_DEP_2)
	v_add_co_u32 v9, vcc_lo, s0, v9
	v_add_co_ci_u32_e32 v10, vcc_lo, s1, v10, vcc_lo
	global_load_u16 v12, v[9:10], off
	s_waitcnt vmcnt(2)
	v_lshlrev_b32_e32 v15, 16, v17
	s_waitcnt vmcnt(1)
	v_lshlrev_b32_e32 v17, 16, v11
	s_delay_alu instid0(VALU_DEP_1) | instskip(NEXT) | instid1(VALU_DEP_1)
	v_add_f32_e32 v16, v17, v15
	v_and_b32_e32 v18, 0x7f800000, v16
	s_delay_alu instid0(VALU_DEP_1) | instskip(SKIP_1) | instid1(SALU_CYCLE_1)
	v_cmp_ne_u32_e32 vcc_lo, 0x7f800000, v18
                                        ; implicit-def: $vgpr18
	s_and_saveexec_b32 s0, vcc_lo
	s_xor_b32 s0, exec_lo, s0
; %bb.1:
	v_bfe_u32 v18, v16, 16, 1
	s_delay_alu instid0(VALU_DEP_1)
	v_add3_u32 v18, v16, v18, 0x7fff
; %bb.2:
	s_and_not1_saveexec_b32 s0, s0
; %bb.3:
	v_and_b32_e32 v18, 0xffff, v16
	v_or_b32_e32 v19, 0x10000, v16
	s_delay_alu instid0(VALU_DEP_2) | instskip(NEXT) | instid1(VALU_DEP_2)
	v_cmp_eq_u32_e32 vcc_lo, 0, v18
	v_cndmask_b32_e32 v18, v19, v16, vcc_lo
; %bb.4:
	s_or_b32 exec_lo, exec_lo, s0
	s_delay_alu instid0(VALU_DEP_1) | instskip(SKIP_2) | instid1(VALU_DEP_1)
	v_and_b32_e32 v18, 0xffff0000, v18
	s_waitcnt vmcnt(0)
	v_lshlrev_b32_e32 v12, 16, v12
	v_add_f32_e32 v18, v18, v12
	s_delay_alu instid0(VALU_DEP_1) | instskip(NEXT) | instid1(VALU_DEP_1)
	v_and_b32_e32 v19, 0x7f800000, v18
	v_cmp_ne_u32_e32 vcc_lo, 0x7f800000, v19
                                        ; implicit-def: $vgpr19
	s_and_saveexec_b32 s0, vcc_lo
	s_delay_alu instid0(SALU_CYCLE_1)
	s_xor_b32 s0, exec_lo, s0
; %bb.5:
	v_bfe_u32 v19, v18, 16, 1
	s_delay_alu instid0(VALU_DEP_1)
	v_add3_u32 v19, v18, v19, 0x7fff
                                        ; implicit-def: $vgpr18
; %bb.6:
	s_and_not1_saveexec_b32 s0, s0
; %bb.7:
	v_and_b32_e32 v19, 0xffff, v18
	v_or_b32_e32 v20, 0x10000, v18
	s_delay_alu instid0(VALU_DEP_2) | instskip(NEXT) | instid1(VALU_DEP_2)
	v_cmp_eq_u32_e32 vcc_lo, 0, v19
	v_cndmask_b32_e32 v19, v20, v18, vcc_lo
; %bb.8:
	s_or_b32 exec_lo, exec_lo, s0
	s_delay_alu instid0(VALU_DEP_1) | instskip(SKIP_1) | instid1(VALU_DEP_1)
	v_and_b32_e32 v18, 0xffff0000, v19
	v_lshlrev_b32_e32 v13, 16, v13
	v_add_f32_e32 v18, v18, v13
	s_delay_alu instid0(VALU_DEP_1) | instskip(NEXT) | instid1(VALU_DEP_1)
	v_and_b32_e32 v19, 0x7f800000, v18
	v_cmp_ne_u32_e32 vcc_lo, 0x7f800000, v19
                                        ; implicit-def: $vgpr19
	s_and_saveexec_b32 s0, vcc_lo
	s_delay_alu instid0(SALU_CYCLE_1)
	s_xor_b32 s0, exec_lo, s0
; %bb.9:
	v_bfe_u32 v19, v18, 16, 1
	s_delay_alu instid0(VALU_DEP_1)
	v_add3_u32 v19, v18, v19, 0x7fff
                                        ; implicit-def: $vgpr18
; %bb.10:
	s_and_not1_saveexec_b32 s0, s0
; %bb.11:
	v_and_b32_e32 v19, 0xffff, v18
	v_or_b32_e32 v20, 0x10000, v18
	s_delay_alu instid0(VALU_DEP_2) | instskip(NEXT) | instid1(VALU_DEP_2)
	v_cmp_eq_u32_e32 vcc_lo, 0, v19
	v_cndmask_b32_e32 v19, v20, v18, vcc_lo
; %bb.12:
	s_or_b32 exec_lo, exec_lo, s0
	s_delay_alu instid0(VALU_DEP_1) | instskip(SKIP_1) | instid1(VALU_DEP_1)
	v_and_b32_e32 v18, 0xffff0000, v19
	v_lshlrev_b32_e32 v14, 16, v14
	v_add_f32_e32 v18, v18, v14
	s_delay_alu instid0(VALU_DEP_1) | instskip(NEXT) | instid1(VALU_DEP_1)
	v_and_b32_e32 v19, 0x7f800000, v18
	v_cmp_ne_u32_e32 vcc_lo, 0x7f800000, v19
                                        ; implicit-def: $vgpr19
	s_and_saveexec_b32 s0, vcc_lo
	s_delay_alu instid0(SALU_CYCLE_1)
	s_xor_b32 s0, exec_lo, s0
; %bb.13:
	v_bfe_u32 v19, v18, 16, 1
	s_delay_alu instid0(VALU_DEP_1)
	v_add3_u32 v19, v18, v19, 0x7fff
                                        ; implicit-def: $vgpr18
; %bb.14:
	s_and_not1_saveexec_b32 s0, s0
; %bb.15:
	v_and_b32_e32 v19, 0xffff, v18
	v_or_b32_e32 v20, 0x10000, v18
	s_delay_alu instid0(VALU_DEP_2) | instskip(NEXT) | instid1(VALU_DEP_2)
	v_cmp_eq_u32_e32 vcc_lo, 0, v19
	v_cndmask_b32_e32 v19, v20, v18, vcc_lo
; %bb.16:
	s_or_b32 exec_lo, exec_lo, s0
	s_delay_alu instid0(VALU_DEP_1) | instskip(SKIP_2) | instid1(VALU_DEP_2)
	v_lshrrev_b32_e32 v21, 16, v19
	v_and_b32_e32 v20, 0xffff0000, v19
	s_mov_b32 s0, exec_lo
                                        ; implicit-def: $vgpr22
	v_mov_b32_dpp v18, v21 row_shr:1 row_mask:0xf bank_mask:0xf
	s_delay_alu instid0(VALU_DEP_1) | instskip(NEXT) | instid1(VALU_DEP_1)
	v_lshlrev_b32_e32 v18, 16, v18
	v_add_f32_e32 v18, v20, v18
	s_delay_alu instid0(VALU_DEP_1) | instskip(NEXT) | instid1(VALU_DEP_1)
	v_and_b32_e32 v19, 0x7f800000, v18
	v_cmpx_ne_u32_e32 0x7f800000, v19
	s_xor_b32 s0, exec_lo, s0
; %bb.17:
	v_bfe_u32 v19, v18, 16, 1
	s_delay_alu instid0(VALU_DEP_1)
	v_add3_u32 v22, v18, v19, 0x7fff
                                        ; implicit-def: $vgpr18
; %bb.18:
	s_and_not1_saveexec_b32 s0, s0
; %bb.19:
	v_and_b32_e32 v19, 0xffff, v18
	v_or_b32_e32 v22, 0x10000, v18
	s_delay_alu instid0(VALU_DEP_2) | instskip(NEXT) | instid1(VALU_DEP_2)
	v_cmp_eq_u32_e32 vcc_lo, 0, v19
	v_cndmask_b32_e32 v22, v22, v18, vcc_lo
; %bb.20:
	s_or_b32 exec_lo, exec_lo, s0
	v_mbcnt_lo_u32_b32 v18, -1, 0
	s_delay_alu instid0(VALU_DEP_2) | instskip(SKIP_1) | instid1(VALU_DEP_3)
	v_lshrrev_b32_e32 v23, 16, v22
	v_and_b32_e32 v22, 0xffff0000, v22
	v_and_b32_e32 v19, 15, v18
	s_delay_alu instid0(VALU_DEP_1) | instskip(NEXT) | instid1(VALU_DEP_3)
	v_cmp_eq_u32_e32 vcc_lo, 0, v19
	v_dual_cndmask_b32 v20, v22, v20 :: v_dual_cndmask_b32 v21, v23, v21
	s_delay_alu instid0(VALU_DEP_1) | instskip(NEXT) | instid1(VALU_DEP_1)
	v_mov_b32_dpp v23, v21 row_shr:2 row_mask:0xf bank_mask:0xf
	v_lshlrev_b32_e32 v22, 16, v23
	s_delay_alu instid0(VALU_DEP_1) | instskip(NEXT) | instid1(VALU_DEP_1)
	v_add_f32_e32 v23, v20, v22
	v_and_b32_e32 v22, 0x7f800000, v23
	s_delay_alu instid0(VALU_DEP_1) | instskip(SKIP_1) | instid1(SALU_CYCLE_1)
	v_cmp_ne_u32_e32 vcc_lo, 0x7f800000, v22
                                        ; implicit-def: $vgpr22
	s_and_saveexec_b32 s0, vcc_lo
	s_xor_b32 s0, exec_lo, s0
; %bb.21:
	v_bfe_u32 v22, v23, 16, 1
	s_delay_alu instid0(VALU_DEP_1)
	v_add3_u32 v22, v23, v22, 0x7fff
                                        ; implicit-def: $vgpr23
; %bb.22:
	s_and_not1_saveexec_b32 s0, s0
; %bb.23:
	v_and_b32_e32 v22, 0xffff, v23
	v_or_b32_e32 v24, 0x10000, v23
	s_delay_alu instid0(VALU_DEP_2) | instskip(NEXT) | instid1(VALU_DEP_2)
	v_cmp_eq_u32_e32 vcc_lo, 0, v22
	v_cndmask_b32_e32 v22, v24, v23, vcc_lo
; %bb.24:
	s_or_b32 exec_lo, exec_lo, s0
	s_delay_alu instid0(VALU_DEP_1) | instskip(SKIP_1) | instid1(VALU_DEP_2)
	v_lshrrev_b32_e32 v23, 16, v22
	v_cmp_lt_u32_e32 vcc_lo, 1, v19
	v_dual_cndmask_b32 v21, v21, v23 :: v_dual_and_b32 v22, 0xffff0000, v22
	s_delay_alu instid0(VALU_DEP_1) | instskip(NEXT) | instid1(VALU_DEP_2)
	v_cndmask_b32_e32 v20, v20, v22, vcc_lo
	v_mov_b32_dpp v23, v21 row_shr:4 row_mask:0xf bank_mask:0xf
	s_delay_alu instid0(VALU_DEP_1) | instskip(NEXT) | instid1(VALU_DEP_1)
	v_lshlrev_b32_e32 v22, 16, v23
	v_add_f32_e32 v23, v20, v22
	s_delay_alu instid0(VALU_DEP_1) | instskip(NEXT) | instid1(VALU_DEP_1)
	v_and_b32_e32 v22, 0x7f800000, v23
	v_cmp_ne_u32_e32 vcc_lo, 0x7f800000, v22
                                        ; implicit-def: $vgpr22
	s_and_saveexec_b32 s0, vcc_lo
	s_delay_alu instid0(SALU_CYCLE_1)
	s_xor_b32 s0, exec_lo, s0
; %bb.25:
	v_bfe_u32 v22, v23, 16, 1
	s_delay_alu instid0(VALU_DEP_1)
	v_add3_u32 v22, v23, v22, 0x7fff
                                        ; implicit-def: $vgpr23
; %bb.26:
	s_and_not1_saveexec_b32 s0, s0
; %bb.27:
	v_and_b32_e32 v22, 0xffff, v23
	v_or_b32_e32 v24, 0x10000, v23
	s_delay_alu instid0(VALU_DEP_2) | instskip(NEXT) | instid1(VALU_DEP_2)
	v_cmp_eq_u32_e32 vcc_lo, 0, v22
	v_cndmask_b32_e32 v22, v24, v23, vcc_lo
; %bb.28:
	s_or_b32 exec_lo, exec_lo, s0
	s_delay_alu instid0(VALU_DEP_1) | instskip(SKIP_1) | instid1(VALU_DEP_2)
	v_lshrrev_b32_e32 v23, 16, v22
	v_cmp_lt_u32_e32 vcc_lo, 3, v19
	v_dual_cndmask_b32 v21, v21, v23 :: v_dual_and_b32 v22, 0xffff0000, v22
	s_delay_alu instid0(VALU_DEP_1) | instskip(NEXT) | instid1(VALU_DEP_2)
	v_cndmask_b32_e32 v20, v20, v22, vcc_lo
	v_mov_b32_dpp v23, v21 row_shr:8 row_mask:0xf bank_mask:0xf
	s_delay_alu instid0(VALU_DEP_1) | instskip(NEXT) | instid1(VALU_DEP_1)
	v_lshlrev_b32_e32 v22, 16, v23
	v_add_f32_e32 v20, v20, v22
	s_delay_alu instid0(VALU_DEP_1) | instskip(NEXT) | instid1(VALU_DEP_1)
	v_and_b32_e32 v22, 0x7f800000, v20
	v_cmp_ne_u32_e32 vcc_lo, 0x7f800000, v22
                                        ; implicit-def: $vgpr22
	s_and_saveexec_b32 s0, vcc_lo
	s_delay_alu instid0(SALU_CYCLE_1)
	s_xor_b32 s0, exec_lo, s0
; %bb.29:
	v_bfe_u32 v22, v20, 16, 1
	s_delay_alu instid0(VALU_DEP_1)
	v_add3_u32 v22, v20, v22, 0x7fff
                                        ; implicit-def: $vgpr20
; %bb.30:
	s_and_not1_saveexec_b32 s0, s0
; %bb.31:
	v_and_b32_e32 v22, 0xffff, v20
	v_or_b32_e32 v23, 0x10000, v20
	s_delay_alu instid0(VALU_DEP_2) | instskip(NEXT) | instid1(VALU_DEP_2)
	v_cmp_eq_u32_e32 vcc_lo, 0, v22
	v_cndmask_b32_e32 v22, v23, v20, vcc_lo
; %bb.32:
	s_or_b32 exec_lo, exec_lo, s0
	s_delay_alu instid0(VALU_DEP_1) | instskip(SKIP_2) | instid1(VALU_DEP_2)
	v_lshrrev_b32_e32 v20, 16, v22
	v_cmp_lt_u32_e32 vcc_lo, 7, v19
	s_mov_b32 s0, exec_lo
	v_cndmask_b32_e32 v19, v21, v20, vcc_lo
	v_cmpx_eq_u32_e32 15, v0
	s_cbranch_execz .LBB178_34
; %bb.33:
	v_mov_b32_e32 v20, 0
	ds_store_b16 v20, v19
.LBB178_34:
	s_or_b32 exec_lo, exec_lo, s0
	v_add_nc_u32_e32 v20, -1, v18
	v_and_b32_e32 v21, 16, v18
	s_mov_b32 s0, exec_lo
	s_waitcnt vmcnt(0) lgkmcnt(0)
	s_waitcnt_vscnt null, 0x0
	; wave barrier
	s_waitcnt lgkmcnt(0)
	buffer_gl0_inv
	v_cmp_lt_i32_e32 vcc_lo, v20, v21
	v_cndmask_b32_e32 v18, v20, v18, vcc_lo
	s_delay_alu instid0(VALU_DEP_1)
	v_lshlrev_b32_e32 v18, 2, v18
	ds_bpermute_b32 v18, v18, v19
	v_cmpx_ne_u32_e32 0, v0
	s_cbranch_execz .LBB178_40
; %bb.35:
	s_waitcnt lgkmcnt(0)
	v_lshlrev_b32_e32 v0, 16, v18
	s_delay_alu instid0(VALU_DEP_1) | instskip(NEXT) | instid1(VALU_DEP_1)
	v_add_f32_e32 v11, v17, v0
	v_and_b32_e32 v0, 0x7f800000, v11
	s_delay_alu instid0(VALU_DEP_1) | instskip(SKIP_1) | instid1(SALU_CYCLE_1)
	v_cmp_ne_u32_e32 vcc_lo, 0x7f800000, v0
                                        ; implicit-def: $vgpr0
	s_and_saveexec_b32 s1, vcc_lo
	s_xor_b32 s1, exec_lo, s1
; %bb.36:
	v_bfe_u32 v0, v11, 16, 1
	s_delay_alu instid0(VALU_DEP_1)
	v_add3_u32 v0, v11, v0, 0x7fff
                                        ; implicit-def: $vgpr11
; %bb.37:
	s_and_not1_saveexec_b32 s1, s1
; %bb.38:
	v_and_b32_e32 v0, 0xffff, v11
	v_or_b32_e32 v16, 0x10000, v11
	s_delay_alu instid0(VALU_DEP_2) | instskip(NEXT) | instid1(VALU_DEP_2)
	v_cmp_eq_u32_e32 vcc_lo, 0, v0
	v_cndmask_b32_e32 v0, v16, v11, vcc_lo
; %bb.39:
	s_or_b32 exec_lo, exec_lo, s1
	s_delay_alu instid0(VALU_DEP_1) | instskip(SKIP_1) | instid1(VALU_DEP_2)
	v_and_b32_e32 v16, 0xffff0000, v0
	v_lshrrev_b32_e32 v11, 16, v0
	v_add_f32_e32 v16, v15, v16
.LBB178_40:
	s_or_b32 exec_lo, exec_lo, s0
	s_delay_alu instid0(VALU_DEP_1) | instskip(NEXT) | instid1(VALU_DEP_1)
	v_and_b32_e32 v0, 0x7f800000, v16
	v_cmp_ne_u32_e32 vcc_lo, 0x7f800000, v0
                                        ; implicit-def: $vgpr0
	s_and_saveexec_b32 s0, vcc_lo
	s_delay_alu instid0(SALU_CYCLE_1)
	s_xor_b32 s0, exec_lo, s0
; %bb.41:
	v_bfe_u32 v0, v16, 16, 1
	s_delay_alu instid0(VALU_DEP_1)
	v_add3_u32 v0, v16, v0, 0x7fff
                                        ; implicit-def: $vgpr16
; %bb.42:
	s_and_not1_saveexec_b32 s0, s0
; %bb.43:
	v_and_b32_e32 v0, 0xffff, v16
	v_or_b32_e32 v15, 0x10000, v16
	s_delay_alu instid0(VALU_DEP_2) | instskip(NEXT) | instid1(VALU_DEP_2)
	v_cmp_eq_u32_e32 vcc_lo, 0, v0
	v_cndmask_b32_e32 v0, v15, v16, vcc_lo
; %bb.44:
	s_or_b32 exec_lo, exec_lo, s0
	s_delay_alu instid0(VALU_DEP_1) | instskip(NEXT) | instid1(VALU_DEP_1)
	v_and_b32_e32 v15, 0xffff0000, v0
	v_add_f32_e32 v15, v15, v12
	s_delay_alu instid0(VALU_DEP_1) | instskip(NEXT) | instid1(VALU_DEP_1)
	v_and_b32_e32 v12, 0x7f800000, v15
	v_cmp_ne_u32_e32 vcc_lo, 0x7f800000, v12
                                        ; implicit-def: $vgpr12
	s_and_saveexec_b32 s0, vcc_lo
	s_delay_alu instid0(SALU_CYCLE_1)
	s_xor_b32 s0, exec_lo, s0
; %bb.45:
	v_bfe_u32 v12, v15, 16, 1
	s_delay_alu instid0(VALU_DEP_1)
	v_add3_u32 v12, v15, v12, 0x7fff
                                        ; implicit-def: $vgpr15
; %bb.46:
	s_and_not1_saveexec_b32 s0, s0
; %bb.47:
	v_and_b32_e32 v12, 0xffff, v15
	v_or_b32_e32 v16, 0x10000, v15
	s_delay_alu instid0(VALU_DEP_2) | instskip(NEXT) | instid1(VALU_DEP_2)
	v_cmp_eq_u32_e32 vcc_lo, 0, v12
	v_cndmask_b32_e32 v12, v16, v15, vcc_lo
; %bb.48:
	s_or_b32 exec_lo, exec_lo, s0
	s_delay_alu instid0(VALU_DEP_1) | instskip(NEXT) | instid1(VALU_DEP_1)
	v_and_b32_e32 v15, 0xffff0000, v12
	v_add_f32_e32 v15, v15, v13
	s_delay_alu instid0(VALU_DEP_1) | instskip(NEXT) | instid1(VALU_DEP_1)
	v_and_b32_e32 v13, 0x7f800000, v15
	v_cmp_ne_u32_e32 vcc_lo, 0x7f800000, v13
                                        ; implicit-def: $vgpr13
	s_and_saveexec_b32 s0, vcc_lo
	s_delay_alu instid0(SALU_CYCLE_1)
	s_xor_b32 s0, exec_lo, s0
; %bb.49:
	v_bfe_u32 v13, v15, 16, 1
	s_delay_alu instid0(VALU_DEP_1)
	v_add3_u32 v13, v15, v13, 0x7fff
                                        ; implicit-def: $vgpr15
; %bb.50:
	s_and_not1_saveexec_b32 s0, s0
; %bb.51:
	v_and_b32_e32 v13, 0xffff, v15
	v_or_b32_e32 v16, 0x10000, v15
	s_delay_alu instid0(VALU_DEP_2) | instskip(NEXT) | instid1(VALU_DEP_2)
	v_cmp_eq_u32_e32 vcc_lo, 0, v13
	v_cndmask_b32_e32 v13, v16, v15, vcc_lo
; %bb.52:
	s_or_b32 exec_lo, exec_lo, s0
	s_delay_alu instid0(VALU_DEP_1) | instskip(NEXT) | instid1(VALU_DEP_1)
	v_and_b32_e32 v15, 0xffff0000, v13
	v_add_f32_e32 v15, v15, v14
	s_delay_alu instid0(VALU_DEP_1) | instskip(NEXT) | instid1(VALU_DEP_1)
	v_and_b32_e32 v14, 0x7f800000, v15
	v_cmp_ne_u32_e32 vcc_lo, 0x7f800000, v14
                                        ; implicit-def: $vgpr14
	s_and_saveexec_b32 s0, vcc_lo
	s_delay_alu instid0(SALU_CYCLE_1)
	s_xor_b32 s0, exec_lo, s0
; %bb.53:
	v_bfe_u32 v14, v15, 16, 1
	s_delay_alu instid0(VALU_DEP_1)
	v_add3_u32 v14, v15, v14, 0x7fff
                                        ; implicit-def: $vgpr15
; %bb.54:
	s_and_not1_saveexec_b32 s0, s0
; %bb.55:
	v_and_b32_e32 v14, 0xffff, v15
	v_or_b32_e32 v16, 0x10000, v15
	s_delay_alu instid0(VALU_DEP_2) | instskip(NEXT) | instid1(VALU_DEP_2)
	v_cmp_eq_u32_e32 vcc_lo, 0, v14
	v_cndmask_b32_e32 v14, v16, v15, vcc_lo
; %bb.56:
	s_or_b32 exec_lo, exec_lo, s0
	s_clause 0x4
	global_store_b16 v[7:8], v11, off
	global_store_d16_hi_b16 v[1:2], v0, off
	global_store_d16_hi_b16 v[9:10], v12, off
	;; [unrolled: 1-line block ×4, first 2 shown]
	s_nop 0
	s_sendmsg sendmsg(MSG_DEALLOC_VGPRS)
	s_endpgm
	.section	.rodata,"a",@progbits
	.p2align	6, 0x0
	.amdhsa_kernel _Z27inclusive_scan_array_kernelILj16ELj5ELN6hipcub18BlockScanAlgorithmE0E12hip_bfloat16EvPT2_
		.amdhsa_group_segment_fixed_size 2
		.amdhsa_private_segment_fixed_size 0
		.amdhsa_kernarg_size 8
		.amdhsa_user_sgpr_count 15
		.amdhsa_user_sgpr_dispatch_ptr 0
		.amdhsa_user_sgpr_queue_ptr 0
		.amdhsa_user_sgpr_kernarg_segment_ptr 1
		.amdhsa_user_sgpr_dispatch_id 0
		.amdhsa_user_sgpr_private_segment_size 0
		.amdhsa_wavefront_size32 1
		.amdhsa_uses_dynamic_stack 0
		.amdhsa_enable_private_segment 0
		.amdhsa_system_sgpr_workgroup_id_x 1
		.amdhsa_system_sgpr_workgroup_id_y 0
		.amdhsa_system_sgpr_workgroup_id_z 0
		.amdhsa_system_sgpr_workgroup_info 0
		.amdhsa_system_vgpr_workitem_id 0
		.amdhsa_next_free_vgpr 25
		.amdhsa_next_free_sgpr 16
		.amdhsa_reserve_vcc 1
		.amdhsa_float_round_mode_32 0
		.amdhsa_float_round_mode_16_64 0
		.amdhsa_float_denorm_mode_32 3
		.amdhsa_float_denorm_mode_16_64 3
		.amdhsa_dx10_clamp 1
		.amdhsa_ieee_mode 1
		.amdhsa_fp16_overflow 0
		.amdhsa_workgroup_processor_mode 1
		.amdhsa_memory_ordered 1
		.amdhsa_forward_progress 0
		.amdhsa_shared_vgpr_count 0
		.amdhsa_exception_fp_ieee_invalid_op 0
		.amdhsa_exception_fp_denorm_src 0
		.amdhsa_exception_fp_ieee_div_zero 0
		.amdhsa_exception_fp_ieee_overflow 0
		.amdhsa_exception_fp_ieee_underflow 0
		.amdhsa_exception_fp_ieee_inexact 0
		.amdhsa_exception_int_div_zero 0
	.end_amdhsa_kernel
	.section	.text._Z27inclusive_scan_array_kernelILj16ELj5ELN6hipcub18BlockScanAlgorithmE0E12hip_bfloat16EvPT2_,"axG",@progbits,_Z27inclusive_scan_array_kernelILj16ELj5ELN6hipcub18BlockScanAlgorithmE0E12hip_bfloat16EvPT2_,comdat
.Lfunc_end178:
	.size	_Z27inclusive_scan_array_kernelILj16ELj5ELN6hipcub18BlockScanAlgorithmE0E12hip_bfloat16EvPT2_, .Lfunc_end178-_Z27inclusive_scan_array_kernelILj16ELj5ELN6hipcub18BlockScanAlgorithmE0E12hip_bfloat16EvPT2_
                                        ; -- End function
	.section	.AMDGPU.csdata,"",@progbits
; Kernel info:
; codeLenInByte = 1960
; NumSgprs: 18
; NumVgprs: 25
; ScratchSize: 0
; MemoryBound: 0
; FloatMode: 240
; IeeeMode: 1
; LDSByteSize: 2 bytes/workgroup (compile time only)
; SGPRBlocks: 2
; VGPRBlocks: 3
; NumSGPRsForWavesPerEU: 18
; NumVGPRsForWavesPerEU: 25
; Occupancy: 16
; WaveLimiterHint : 0
; COMPUTE_PGM_RSRC2:SCRATCH_EN: 0
; COMPUTE_PGM_RSRC2:USER_SGPR: 15
; COMPUTE_PGM_RSRC2:TRAP_HANDLER: 0
; COMPUTE_PGM_RSRC2:TGID_X_EN: 1
; COMPUTE_PGM_RSRC2:TGID_Y_EN: 0
; COMPUTE_PGM_RSRC2:TGID_Z_EN: 0
; COMPUTE_PGM_RSRC2:TIDIG_COMP_CNT: 0
	.section	.text._Z27inclusive_scan_array_kernelILj65ELj5ELN6hipcub18BlockScanAlgorithmE0E6__halfEvPT2_,"axG",@progbits,_Z27inclusive_scan_array_kernelILj65ELj5ELN6hipcub18BlockScanAlgorithmE0E6__halfEvPT2_,comdat
	.protected	_Z27inclusive_scan_array_kernelILj65ELj5ELN6hipcub18BlockScanAlgorithmE0E6__halfEvPT2_ ; -- Begin function _Z27inclusive_scan_array_kernelILj65ELj5ELN6hipcub18BlockScanAlgorithmE0E6__halfEvPT2_
	.globl	_Z27inclusive_scan_array_kernelILj65ELj5ELN6hipcub18BlockScanAlgorithmE0E6__halfEvPT2_
	.p2align	8
	.type	_Z27inclusive_scan_array_kernelILj65ELj5ELN6hipcub18BlockScanAlgorithmE0E6__halfEvPT2_,@function
_Z27inclusive_scan_array_kernelILj65ELj5ELN6hipcub18BlockScanAlgorithmE0E6__halfEvPT2_: ; @_Z27inclusive_scan_array_kernelILj65ELj5ELN6hipcub18BlockScanAlgorithmE0E6__halfEvPT2_
; %bb.0:
	v_mad_u64_u32 v[1:2], null, 0x41, s15, v[0:1]
	s_load_b64 s[0:1], s[0:1], 0x0
	s_delay_alu instid0(VALU_DEP_1) | instskip(NEXT) | instid1(VALU_DEP_1)
	v_lshl_add_u32 v1, v1, 2, v1
	v_dual_mov_b32 v2, 0 :: v_dual_add_nc_u32 v3, 1, v1
	s_delay_alu instid0(VALU_DEP_1) | instskip(SKIP_3) | instid1(VALU_DEP_4)
	v_dual_mov_b32 v4, v2 :: v_dual_add_nc_u32 v5, 2, v1
	v_lshlrev_b64 v[9:10], 1, v[1:2]
	v_dual_mov_b32 v6, v2 :: v_dual_add_nc_u32 v7, 3, v1
	v_dual_mov_b32 v8, v2 :: v_dual_add_nc_u32 v1, 4, v1
	v_lshlrev_b64 v[3:4], 1, v[3:4]
	s_delay_alu instid0(VALU_DEP_3) | instskip(NEXT) | instid1(VALU_DEP_3)
	v_lshlrev_b64 v[5:6], 1, v[5:6]
	v_lshlrev_b64 v[7:8], 1, v[7:8]
	s_delay_alu instid0(VALU_DEP_4)
	v_lshlrev_b64 v[14:15], 1, v[1:2]
	s_waitcnt lgkmcnt(0)
	v_add_co_u32 v1, vcc_lo, s0, v9
	v_add_co_ci_u32_e32 v2, vcc_lo, s1, v10, vcc_lo
	v_add_co_u32 v3, vcc_lo, s0, v3
	v_add_co_ci_u32_e32 v4, vcc_lo, s1, v4, vcc_lo
	;; [unrolled: 2-line block ×3, first 2 shown]
	s_clause 0x1
	global_load_u16 v11, v[1:2], off
	global_load_u16 v12, v[3:4], off
	v_add_co_u32 v7, vcc_lo, s0, v7
	v_add_co_ci_u32_e32 v8, vcc_lo, s1, v8, vcc_lo
	global_load_u16 v13, v[5:6], off
	v_add_co_u32 v9, vcc_lo, s0, v14
	v_add_co_ci_u32_e32 v10, vcc_lo, s1, v15, vcc_lo
	s_clause 0x1
	global_load_u16 v14, v[7:8], off
	global_load_u16 v15, v[9:10], off
	s_mov_b32 s0, exec_lo
	s_waitcnt vmcnt(3)
	v_add_f16_e32 v16, v11, v12
	s_waitcnt vmcnt(2)
	s_delay_alu instid0(VALU_DEP_1) | instskip(SKIP_1) | instid1(VALU_DEP_1)
	v_add_f16_e32 v16, v16, v13
	s_waitcnt vmcnt(1)
	v_add_f16_e32 v16, v16, v14
	s_waitcnt vmcnt(0)
	s_delay_alu instid0(VALU_DEP_1) | instskip(SKIP_1) | instid1(VALU_DEP_2)
	v_add_f16_e32 v17, v16, v15
	v_mbcnt_lo_u32_b32 v16, -1, 0
	v_and_b32_e32 v18, 0xffff, v17
	s_delay_alu instid0(VALU_DEP_2) | instskip(SKIP_1) | instid1(VALU_DEP_3)
	v_and_b32_e32 v19, 15, v16
	v_and_b32_e32 v20, 16, v16
	v_mov_b32_dpp v18, v18 row_shr:1 row_mask:0xf bank_mask:0xf
	s_delay_alu instid0(VALU_DEP_3) | instskip(NEXT) | instid1(VALU_DEP_2)
	v_cmp_eq_u32_e32 vcc_lo, 0, v19
	v_add_f16_e32 v18, v17, v18
	s_delay_alu instid0(VALU_DEP_1) | instskip(SKIP_1) | instid1(VALU_DEP_2)
	v_cndmask_b32_e32 v17, v18, v17, vcc_lo
	v_cmp_lt_u32_e32 vcc_lo, 1, v19
	v_and_b32_e32 v18, 0xffff, v17
	s_delay_alu instid0(VALU_DEP_1) | instskip(NEXT) | instid1(VALU_DEP_1)
	v_mov_b32_dpp v18, v18 row_shr:2 row_mask:0xf bank_mask:0xf
	v_add_f16_e32 v18, v17, v18
	s_delay_alu instid0(VALU_DEP_1) | instskip(SKIP_1) | instid1(VALU_DEP_2)
	v_cndmask_b32_e32 v17, v17, v18, vcc_lo
	v_cmp_lt_u32_e32 vcc_lo, 3, v19
	v_and_b32_e32 v18, 0xffff, v17
	s_delay_alu instid0(VALU_DEP_1) | instskip(NEXT) | instid1(VALU_DEP_1)
	v_mov_b32_dpp v18, v18 row_shr:4 row_mask:0xf bank_mask:0xf
	v_add_f16_e32 v18, v17, v18
	s_delay_alu instid0(VALU_DEP_1) | instskip(SKIP_2) | instid1(VALU_DEP_3)
	v_cndmask_b32_e32 v17, v17, v18, vcc_lo
	v_cmp_lt_u32_e32 vcc_lo, 7, v19
	v_and_b32_e32 v19, 0x60, v0
	v_and_b32_e32 v18, 0xffff, v17
	s_delay_alu instid0(VALU_DEP_2) | instskip(NEXT) | instid1(VALU_DEP_2)
	v_min_u32_e32 v19, 33, v19
	v_mov_b32_dpp v18, v18 row_shr:8 row_mask:0xf bank_mask:0xf
	s_delay_alu instid0(VALU_DEP_2) | instskip(NEXT) | instid1(VALU_DEP_2)
	v_add_nc_u32_e32 v19, 31, v19
	v_add_f16_e32 v18, v17, v18
	s_delay_alu instid0(VALU_DEP_1) | instskip(SKIP_1) | instid1(VALU_DEP_2)
	v_cndmask_b32_e32 v17, v17, v18, vcc_lo
	v_cmp_eq_u32_e32 vcc_lo, 0, v20
	v_and_b32_e32 v18, 0xffff, v17
	ds_swizzle_b32 v18, v18 offset:swizzle(BROADCAST,32,15)
	s_waitcnt lgkmcnt(0)
	v_add_f16_e32 v21, v17, v18
	v_lshrrev_b32_e32 v18, 5, v0
	s_delay_alu instid0(VALU_DEP_2)
	v_cndmask_b32_e32 v17, v21, v17, vcc_lo
	v_cmpx_eq_u32_e64 v19, v0
	s_cbranch_execz .LBB179_2
; %bb.1:
	s_delay_alu instid0(VALU_DEP_3)
	v_lshlrev_b32_e32 v19, 1, v18
	ds_store_b16 v19, v17
.LBB179_2:
	s_or_b32 exec_lo, exec_lo, s0
	s_delay_alu instid0(SALU_CYCLE_1)
	s_mov_b32 s0, exec_lo
	s_waitcnt lgkmcnt(0)
	s_barrier
	buffer_gl0_inv
	v_cmpx_gt_u32_e32 3, v0
	s_cbranch_execz .LBB179_4
; %bb.3:
	v_lshlrev_b32_e32 v19, 1, v0
	v_and_b32_e32 v22, 3, v16
	ds_load_u16 v20, v19
	v_cmp_eq_u32_e32 vcc_lo, 0, v22
	s_waitcnt lgkmcnt(0)
	v_and_b32_e32 v21, 0xffff, v20
	s_delay_alu instid0(VALU_DEP_1) | instskip(NEXT) | instid1(VALU_DEP_1)
	v_mov_b32_dpp v21, v21 row_shr:1 row_mask:0xf bank_mask:0xf
	v_add_f16_e32 v21, v20, v21
	s_delay_alu instid0(VALU_DEP_1) | instskip(SKIP_1) | instid1(VALU_DEP_2)
	v_cndmask_b32_e32 v20, v21, v20, vcc_lo
	v_cmp_lt_u32_e32 vcc_lo, 1, v22
	v_and_b32_e32 v21, 0xffff, v20
	s_delay_alu instid0(VALU_DEP_1) | instskip(NEXT) | instid1(VALU_DEP_1)
	v_mov_b32_dpp v21, v21 row_shr:2 row_mask:0xf bank_mask:0xf
	v_add_f16_e32 v21, v20, v21
	s_delay_alu instid0(VALU_DEP_1)
	v_cndmask_b32_e32 v20, v20, v21, vcc_lo
	ds_store_b16 v19, v20
.LBB179_4:
	s_or_b32 exec_lo, exec_lo, s0
	s_delay_alu instid0(SALU_CYCLE_1)
	s_mov_b32 s0, exec_lo
	s_waitcnt lgkmcnt(0)
	s_barrier
	buffer_gl0_inv
                                        ; implicit-def: $vgpr19
	v_cmpx_lt_u32_e32 31, v0
	s_cbranch_execz .LBB179_6
; %bb.5:
	v_lshl_add_u32 v18, v18, 1, -2
	ds_load_u16 v19, v18
	s_waitcnt lgkmcnt(0)
	v_add_f16_e32 v17, v17, v19
.LBB179_6:
	s_or_b32 exec_lo, exec_lo, s0
	v_add_nc_u32_e32 v18, -1, v16
	s_delay_alu instid0(VALU_DEP_2) | instskip(NEXT) | instid1(VALU_DEP_2)
	v_and_b32_e32 v17, 0xffff, v17
	v_cmp_gt_i32_e32 vcc_lo, 0, v18
	v_cndmask_b32_e32 v18, v18, v16, vcc_lo
	v_cmp_eq_u32_e32 vcc_lo, 0, v16
	s_delay_alu instid0(VALU_DEP_2) | instskip(SKIP_4) | instid1(VALU_DEP_2)
	v_lshlrev_b32_e32 v18, 2, v18
	ds_bpermute_b32 v17, v18, v17
	s_waitcnt lgkmcnt(0)
	v_cndmask_b32_e32 v16, v17, v19, vcc_lo
	v_cmp_eq_u32_e32 vcc_lo, 0, v0
	v_add_f16_e32 v16, v11, v16
	s_delay_alu instid0(VALU_DEP_1) | instskip(NEXT) | instid1(VALU_DEP_1)
	v_cndmask_b32_e32 v0, v16, v11, vcc_lo
	v_add_f16_e32 v11, v12, v0
	s_delay_alu instid0(VALU_DEP_1) | instskip(NEXT) | instid1(VALU_DEP_1)
	v_add_f16_e32 v12, v13, v11
	v_add_f16_e32 v13, v12, v14
	s_delay_alu instid0(VALU_DEP_1)
	v_add_f16_e32 v14, v13, v15
	s_clause 0x4
	global_store_b16 v[1:2], v0, off
	global_store_b16 v[3:4], v11, off
	;; [unrolled: 1-line block ×5, first 2 shown]
	s_nop 0
	s_sendmsg sendmsg(MSG_DEALLOC_VGPRS)
	s_endpgm
	.section	.rodata,"a",@progbits
	.p2align	6, 0x0
	.amdhsa_kernel _Z27inclusive_scan_array_kernelILj65ELj5ELN6hipcub18BlockScanAlgorithmE0E6__halfEvPT2_
		.amdhsa_group_segment_fixed_size 6
		.amdhsa_private_segment_fixed_size 0
		.amdhsa_kernarg_size 8
		.amdhsa_user_sgpr_count 15
		.amdhsa_user_sgpr_dispatch_ptr 0
		.amdhsa_user_sgpr_queue_ptr 0
		.amdhsa_user_sgpr_kernarg_segment_ptr 1
		.amdhsa_user_sgpr_dispatch_id 0
		.amdhsa_user_sgpr_private_segment_size 0
		.amdhsa_wavefront_size32 1
		.amdhsa_uses_dynamic_stack 0
		.amdhsa_enable_private_segment 0
		.amdhsa_system_sgpr_workgroup_id_x 1
		.amdhsa_system_sgpr_workgroup_id_y 0
		.amdhsa_system_sgpr_workgroup_id_z 0
		.amdhsa_system_sgpr_workgroup_info 0
		.amdhsa_system_vgpr_workitem_id 0
		.amdhsa_next_free_vgpr 23
		.amdhsa_next_free_sgpr 16
		.amdhsa_reserve_vcc 1
		.amdhsa_float_round_mode_32 0
		.amdhsa_float_round_mode_16_64 0
		.amdhsa_float_denorm_mode_32 3
		.amdhsa_float_denorm_mode_16_64 3
		.amdhsa_dx10_clamp 1
		.amdhsa_ieee_mode 1
		.amdhsa_fp16_overflow 0
		.amdhsa_workgroup_processor_mode 1
		.amdhsa_memory_ordered 1
		.amdhsa_forward_progress 0
		.amdhsa_shared_vgpr_count 0
		.amdhsa_exception_fp_ieee_invalid_op 0
		.amdhsa_exception_fp_denorm_src 0
		.amdhsa_exception_fp_ieee_div_zero 0
		.amdhsa_exception_fp_ieee_overflow 0
		.amdhsa_exception_fp_ieee_underflow 0
		.amdhsa_exception_fp_ieee_inexact 0
		.amdhsa_exception_int_div_zero 0
	.end_amdhsa_kernel
	.section	.text._Z27inclusive_scan_array_kernelILj65ELj5ELN6hipcub18BlockScanAlgorithmE0E6__halfEvPT2_,"axG",@progbits,_Z27inclusive_scan_array_kernelILj65ELj5ELN6hipcub18BlockScanAlgorithmE0E6__halfEvPT2_,comdat
.Lfunc_end179:
	.size	_Z27inclusive_scan_array_kernelILj65ELj5ELN6hipcub18BlockScanAlgorithmE0E6__halfEvPT2_, .Lfunc_end179-_Z27inclusive_scan_array_kernelILj65ELj5ELN6hipcub18BlockScanAlgorithmE0E6__halfEvPT2_
                                        ; -- End function
	.section	.AMDGPU.csdata,"",@progbits
; Kernel info:
; codeLenInByte = 872
; NumSgprs: 18
; NumVgprs: 23
; ScratchSize: 0
; MemoryBound: 0
; FloatMode: 240
; IeeeMode: 1
; LDSByteSize: 6 bytes/workgroup (compile time only)
; SGPRBlocks: 2
; VGPRBlocks: 2
; NumSGPRsForWavesPerEU: 18
; NumVGPRsForWavesPerEU: 23
; Occupancy: 16
; WaveLimiterHint : 0
; COMPUTE_PGM_RSRC2:SCRATCH_EN: 0
; COMPUTE_PGM_RSRC2:USER_SGPR: 15
; COMPUTE_PGM_RSRC2:TRAP_HANDLER: 0
; COMPUTE_PGM_RSRC2:TGID_X_EN: 1
; COMPUTE_PGM_RSRC2:TGID_Y_EN: 0
; COMPUTE_PGM_RSRC2:TGID_Z_EN: 0
; COMPUTE_PGM_RSRC2:TIDIG_COMP_CNT: 0
	.section	.text._Z27inclusive_scan_array_kernelILj255ELj15ELN6hipcub18BlockScanAlgorithmE0EfEvPT2_,"axG",@progbits,_Z27inclusive_scan_array_kernelILj255ELj15ELN6hipcub18BlockScanAlgorithmE0EfEvPT2_,comdat
	.protected	_Z27inclusive_scan_array_kernelILj255ELj15ELN6hipcub18BlockScanAlgorithmE0EfEvPT2_ ; -- Begin function _Z27inclusive_scan_array_kernelILj255ELj15ELN6hipcub18BlockScanAlgorithmE0EfEvPT2_
	.globl	_Z27inclusive_scan_array_kernelILj255ELj15ELN6hipcub18BlockScanAlgorithmE0EfEvPT2_
	.p2align	8
	.type	_Z27inclusive_scan_array_kernelILj255ELj15ELN6hipcub18BlockScanAlgorithmE0EfEvPT2_,@function
_Z27inclusive_scan_array_kernelILj255ELj15ELN6hipcub18BlockScanAlgorithmE0EfEvPT2_: ; @_Z27inclusive_scan_array_kernelILj255ELj15ELN6hipcub18BlockScanAlgorithmE0EfEvPT2_
; %bb.0:
	v_mad_u64_u32 v[1:2], null, 0xff, s15, v[0:1]
	s_load_b64 s[0:1], s[0:1], 0x0
	s_delay_alu instid0(VALU_DEP_1) | instskip(NEXT) | instid1(VALU_DEP_1)
	v_mul_lo_u32 v27, v1, 15
	v_dual_mov_b32 v28, 0 :: v_dual_add_nc_u32 v1, 1, v27
	s_delay_alu instid0(VALU_DEP_1) | instskip(SKIP_2) | instid1(VALU_DEP_3)
	v_dual_mov_b32 v2, v28 :: v_dual_add_nc_u32 v3, 2, v27
	v_lshlrev_b64 v[9:10], 2, v[27:28]
	v_dual_mov_b32 v4, v28 :: v_dual_add_nc_u32 v5, 3, v27
	v_lshlrev_b64 v[11:12], 2, v[1:2]
	v_dual_mov_b32 v6, v28 :: v_dual_add_nc_u32 v7, 4, v27
	s_delay_alu instid0(VALU_DEP_3)
	v_lshlrev_b64 v[13:14], 2, v[3:4]
	s_waitcnt lgkmcnt(0)
	v_add_co_u32 v1, vcc_lo, s0, v9
	v_mov_b32_e32 v8, v28
	v_add_co_ci_u32_e32 v2, vcc_lo, s1, v10, vcc_lo
	v_lshlrev_b64 v[15:16], 2, v[5:6]
	v_add_co_u32 v3, vcc_lo, s0, v11
	v_add_nc_u32_e32 v11, 5, v27
	v_add_co_ci_u32_e32 v4, vcc_lo, s1, v12, vcc_lo
	v_lshlrev_b64 v[17:18], 2, v[7:8]
	v_add_co_u32 v5, vcc_lo, s0, v13
	v_add_co_ci_u32_e32 v6, vcc_lo, s1, v14, vcc_lo
	v_add_co_u32 v7, vcc_lo, s0, v15
	v_add_co_ci_u32_e32 v8, vcc_lo, s1, v16, vcc_lo
	v_add_co_u32 v9, vcc_lo, s0, v17
	v_dual_mov_b32 v12, v28 :: v_dual_add_nc_u32 v13, 6, v27
	v_add_co_ci_u32_e32 v10, vcc_lo, s1, v18, vcc_lo
	s_clause 0x4
	global_load_b32 v31, v[1:2], off
	global_load_b32 v32, v[3:4], off
	;; [unrolled: 1-line block ×5, first 2 shown]
	v_dual_mov_b32 v14, v28 :: v_dual_add_nc_u32 v15, 7, v27
	v_lshlrev_b64 v[11:12], 2, v[11:12]
	v_dual_mov_b32 v16, v28 :: v_dual_add_nc_u32 v17, 8, v27
	s_delay_alu instid0(VALU_DEP_3) | instskip(SKIP_1) | instid1(VALU_DEP_4)
	v_lshlrev_b64 v[13:14], 2, v[13:14]
	v_dual_mov_b32 v18, v28 :: v_dual_add_nc_u32 v19, 9, v27
	v_add_co_u32 v11, vcc_lo, s0, v11
	s_delay_alu instid0(VALU_DEP_4)
	v_lshlrev_b64 v[15:16], 2, v[15:16]
	v_add_co_ci_u32_e32 v12, vcc_lo, s1, v12, vcc_lo
	v_add_co_u32 v13, vcc_lo, s0, v13
	v_add_co_ci_u32_e32 v14, vcc_lo, s1, v14, vcc_lo
	v_dual_mov_b32 v20, v28 :: v_dual_add_nc_u32 v21, 10, v27
	v_add_co_u32 v15, vcc_lo, s0, v15
	global_load_b32 v36, v[11:12], off
	v_lshlrev_b64 v[17:18], 2, v[17:18]
	v_add_co_ci_u32_e32 v16, vcc_lo, s1, v16, vcc_lo
	v_lshlrev_b64 v[19:20], 2, v[19:20]
	s_clause 0x1
	global_load_b32 v37, v[13:14], off
	global_load_b32 v38, v[15:16], off
	v_add_co_u32 v17, vcc_lo, s0, v17
	v_dual_mov_b32 v22, v28 :: v_dual_add_nc_u32 v23, 11, v27
	v_add_co_ci_u32_e32 v18, vcc_lo, s1, v18, vcc_lo
	v_add_co_u32 v19, vcc_lo, s0, v19
	v_dual_mov_b32 v24, v28 :: v_dual_add_nc_u32 v25, 12, v27
	v_add_co_ci_u32_e32 v20, vcc_lo, s1, v20, vcc_lo
	v_lshlrev_b64 v[21:22], 2, v[21:22]
	v_dual_mov_b32 v26, v28 :: v_dual_add_nc_u32 v29, 13, v27
	s_clause 0x1
	global_load_b32 v39, v[17:18], off
	global_load_b32 v40, v[19:20], off
	v_lshlrev_b64 v[23:24], 2, v[23:24]
	v_dual_mov_b32 v30, v28 :: v_dual_add_nc_u32 v27, 14, v27
	v_add_co_u32 v21, vcc_lo, s0, v21
	v_lshlrev_b64 v[25:26], 2, v[25:26]
	v_add_co_ci_u32_e32 v22, vcc_lo, s1, v22, vcc_lo
	v_add_co_u32 v23, vcc_lo, s0, v23
	v_add_co_ci_u32_e32 v24, vcc_lo, s1, v24, vcc_lo
	s_delay_alu instid0(VALU_DEP_4)
	v_add_co_u32 v25, vcc_lo, s0, v25
	global_load_b32 v41, v[21:22], off
	v_lshlrev_b64 v[29:30], 2, v[29:30]
	v_add_co_ci_u32_e32 v26, vcc_lo, s1, v26, vcc_lo
	v_lshlrev_b64 v[44:45], 2, v[27:28]
	s_clause 0x1
	global_load_b32 v42, v[23:24], off
	global_load_b32 v43, v[25:26], off
	v_add_co_u32 v27, vcc_lo, s0, v29
	v_add_co_ci_u32_e32 v28, vcc_lo, s1, v30, vcc_lo
	v_add_co_u32 v29, vcc_lo, s0, v44
	v_add_co_ci_u32_e32 v30, vcc_lo, s1, v45, vcc_lo
	s_clause 0x1
	global_load_b32 v45, v[27:28], off
	global_load_b32 v44, v[29:30], off
	s_mov_b32 s0, exec_lo
	s_waitcnt vmcnt(13)
	v_add_f32_e32 v46, v31, v32
	s_waitcnt vmcnt(12)
	s_delay_alu instid0(VALU_DEP_1) | instskip(SKIP_1) | instid1(VALU_DEP_1)
	v_add_f32_e32 v46, v33, v46
	s_waitcnt vmcnt(11)
	v_add_f32_e32 v46, v34, v46
	s_waitcnt vmcnt(10)
	s_delay_alu instid0(VALU_DEP_1) | instskip(SKIP_1) | instid1(VALU_DEP_1)
	v_add_f32_e32 v46, v35, v46
	;; [unrolled: 5-line block ×6, first 2 shown]
	s_waitcnt vmcnt(1)
	v_add_f32_e32 v46, v45, v46
	s_waitcnt vmcnt(0)
	s_delay_alu instid0(VALU_DEP_1) | instskip(SKIP_1) | instid1(VALU_DEP_2)
	v_add_f32_e32 v47, v44, v46
	v_mbcnt_lo_u32_b32 v46, -1, 0
	v_mov_b32_dpp v48, v47 row_shr:1 row_mask:0xf bank_mask:0xf
	s_delay_alu instid0(VALU_DEP_2) | instskip(SKIP_1) | instid1(VALU_DEP_3)
	v_and_b32_e32 v49, 15, v46
	v_and_b32_e32 v50, 16, v46
	v_add_f32_e32 v48, v47, v48
	s_delay_alu instid0(VALU_DEP_3) | instskip(NEXT) | instid1(VALU_DEP_2)
	v_cmp_eq_u32_e32 vcc_lo, 0, v49
	v_cndmask_b32_e32 v47, v48, v47, vcc_lo
	v_cmp_lt_u32_e32 vcc_lo, 1, v49
	s_delay_alu instid0(VALU_DEP_2) | instskip(NEXT) | instid1(VALU_DEP_1)
	v_mov_b32_dpp v48, v47 row_shr:2 row_mask:0xf bank_mask:0xf
	v_add_f32_e32 v48, v47, v48
	s_delay_alu instid0(VALU_DEP_1) | instskip(SKIP_1) | instid1(VALU_DEP_2)
	v_cndmask_b32_e32 v47, v47, v48, vcc_lo
	v_cmp_lt_u32_e32 vcc_lo, 3, v49
	v_mov_b32_dpp v48, v47 row_shr:4 row_mask:0xf bank_mask:0xf
	s_delay_alu instid0(VALU_DEP_1) | instskip(NEXT) | instid1(VALU_DEP_1)
	v_add_f32_e32 v48, v47, v48
	v_cndmask_b32_e32 v47, v47, v48, vcc_lo
	v_cmp_lt_u32_e32 vcc_lo, 7, v49
	v_and_b32_e32 v49, 0xe0, v0
	s_delay_alu instid0(VALU_DEP_3) | instskip(NEXT) | instid1(VALU_DEP_2)
	v_mov_b32_dpp v48, v47 row_shr:8 row_mask:0xf bank_mask:0xf
	v_min_u32_e32 v49, 0xdf, v49
	s_delay_alu instid0(VALU_DEP_1) | instskip(NEXT) | instid1(VALU_DEP_1)
	v_dual_add_f32 v48, v47, v48 :: v_dual_add_nc_u32 v49, 31, v49
	v_cndmask_b32_e32 v47, v47, v48, vcc_lo
	v_cmp_eq_u32_e32 vcc_lo, 0, v50
	ds_swizzle_b32 v48, v47 offset:swizzle(BROADCAST,32,15)
	s_waitcnt lgkmcnt(0)
	v_add_f32_e32 v51, v47, v48
	v_lshrrev_b32_e32 v48, 5, v0
	s_delay_alu instid0(VALU_DEP_2)
	v_cndmask_b32_e32 v47, v51, v47, vcc_lo
	v_cmpx_eq_u32_e64 v49, v0
	s_cbranch_execz .LBB180_2
; %bb.1:
	s_delay_alu instid0(VALU_DEP_3)
	v_lshlrev_b32_e32 v49, 2, v48
	ds_store_b32 v49, v47
.LBB180_2:
	s_or_b32 exec_lo, exec_lo, s0
	s_delay_alu instid0(SALU_CYCLE_1)
	s_mov_b32 s0, exec_lo
	s_waitcnt lgkmcnt(0)
	s_barrier
	buffer_gl0_inv
	v_cmpx_gt_u32_e32 8, v0
	s_cbranch_execz .LBB180_4
; %bb.3:
	v_and_b32_e32 v52, 7, v46
	s_delay_alu instid0(VALU_DEP_1) | instskip(SKIP_4) | instid1(VALU_DEP_1)
	v_cmp_eq_u32_e32 vcc_lo, 0, v52
	v_lshlrev_b32_e32 v49, 2, v0
	ds_load_b32 v50, v49
	s_waitcnt lgkmcnt(0)
	v_mov_b32_dpp v51, v50 row_shr:1 row_mask:0xf bank_mask:0xf
	v_add_f32_e32 v51, v50, v51
	s_delay_alu instid0(VALU_DEP_1) | instskip(SKIP_1) | instid1(VALU_DEP_2)
	v_cndmask_b32_e32 v50, v51, v50, vcc_lo
	v_cmp_lt_u32_e32 vcc_lo, 1, v52
	v_mov_b32_dpp v51, v50 row_shr:2 row_mask:0xf bank_mask:0xf
	s_delay_alu instid0(VALU_DEP_1) | instskip(NEXT) | instid1(VALU_DEP_1)
	v_add_f32_e32 v51, v50, v51
	v_cndmask_b32_e32 v50, v50, v51, vcc_lo
	v_cmp_lt_u32_e32 vcc_lo, 3, v52
	s_delay_alu instid0(VALU_DEP_2) | instskip(NEXT) | instid1(VALU_DEP_1)
	v_mov_b32_dpp v51, v50 row_shr:4 row_mask:0xf bank_mask:0xf
	v_add_f32_e32 v51, v50, v51
	s_delay_alu instid0(VALU_DEP_1)
	v_cndmask_b32_e32 v50, v50, v51, vcc_lo
	ds_store_b32 v49, v50
.LBB180_4:
	s_or_b32 exec_lo, exec_lo, s0
	s_delay_alu instid0(SALU_CYCLE_1)
	s_mov_b32 s0, exec_lo
	s_waitcnt lgkmcnt(0)
	s_barrier
	buffer_gl0_inv
                                        ; implicit-def: $vgpr49
	v_cmpx_lt_u32_e32 31, v0
	s_cbranch_execz .LBB180_6
; %bb.5:
	v_lshl_add_u32 v48, v48, 2, -4
	ds_load_b32 v49, v48
	s_waitcnt lgkmcnt(0)
	v_add_f32_e32 v47, v47, v49
.LBB180_6:
	s_or_b32 exec_lo, exec_lo, s0
	v_add_nc_u32_e32 v48, -1, v46
	s_delay_alu instid0(VALU_DEP_1) | instskip(SKIP_2) | instid1(VALU_DEP_2)
	v_cmp_gt_i32_e32 vcc_lo, 0, v48
	v_cndmask_b32_e32 v48, v48, v46, vcc_lo
	v_cmp_eq_u32_e32 vcc_lo, 0, v46
	v_lshlrev_b32_e32 v48, 2, v48
	ds_bpermute_b32 v47, v48, v47
	s_waitcnt lgkmcnt(0)
	v_cndmask_b32_e32 v46, v47, v49, vcc_lo
	v_cmp_eq_u32_e32 vcc_lo, 0, v0
	s_delay_alu instid0(VALU_DEP_2) | instskip(NEXT) | instid1(VALU_DEP_1)
	v_add_f32_e32 v46, v31, v46
	v_cndmask_b32_e32 v0, v46, v31, vcc_lo
	s_delay_alu instid0(VALU_DEP_1) | instskip(NEXT) | instid1(VALU_DEP_1)
	v_add_f32_e32 v31, v32, v0
	v_add_f32_e32 v32, v33, v31
	s_delay_alu instid0(VALU_DEP_1) | instskip(NEXT) | instid1(VALU_DEP_1)
	v_add_f32_e32 v33, v34, v32
	v_add_f32_e32 v34, v35, v33
	;; [unrolled: 3-line block ×6, first 2 shown]
	s_delay_alu instid0(VALU_DEP_1)
	v_add_f32_e32 v43, v45, v42
	s_clause 0x7
	global_store_b32 v[1:2], v0, off
	global_store_b32 v[3:4], v31, off
	;; [unrolled: 1-line block ×8, first 2 shown]
	v_add_f32_e32 v0, v44, v43
	s_clause 0x6
	global_store_b32 v[17:18], v38, off
	global_store_b32 v[19:20], v39, off
	;; [unrolled: 1-line block ×7, first 2 shown]
	s_nop 0
	s_sendmsg sendmsg(MSG_DEALLOC_VGPRS)
	s_endpgm
	.section	.rodata,"a",@progbits
	.p2align	6, 0x0
	.amdhsa_kernel _Z27inclusive_scan_array_kernelILj255ELj15ELN6hipcub18BlockScanAlgorithmE0EfEvPT2_
		.amdhsa_group_segment_fixed_size 32
		.amdhsa_private_segment_fixed_size 0
		.amdhsa_kernarg_size 8
		.amdhsa_user_sgpr_count 15
		.amdhsa_user_sgpr_dispatch_ptr 0
		.amdhsa_user_sgpr_queue_ptr 0
		.amdhsa_user_sgpr_kernarg_segment_ptr 1
		.amdhsa_user_sgpr_dispatch_id 0
		.amdhsa_user_sgpr_private_segment_size 0
		.amdhsa_wavefront_size32 1
		.amdhsa_uses_dynamic_stack 0
		.amdhsa_enable_private_segment 0
		.amdhsa_system_sgpr_workgroup_id_x 1
		.amdhsa_system_sgpr_workgroup_id_y 0
		.amdhsa_system_sgpr_workgroup_id_z 0
		.amdhsa_system_sgpr_workgroup_info 0
		.amdhsa_system_vgpr_workitem_id 0
		.amdhsa_next_free_vgpr 53
		.amdhsa_next_free_sgpr 16
		.amdhsa_reserve_vcc 1
		.amdhsa_float_round_mode_32 0
		.amdhsa_float_round_mode_16_64 0
		.amdhsa_float_denorm_mode_32 3
		.amdhsa_float_denorm_mode_16_64 3
		.amdhsa_dx10_clamp 1
		.amdhsa_ieee_mode 1
		.amdhsa_fp16_overflow 0
		.amdhsa_workgroup_processor_mode 1
		.amdhsa_memory_ordered 1
		.amdhsa_forward_progress 0
		.amdhsa_shared_vgpr_count 0
		.amdhsa_exception_fp_ieee_invalid_op 0
		.amdhsa_exception_fp_denorm_src 0
		.amdhsa_exception_fp_ieee_div_zero 0
		.amdhsa_exception_fp_ieee_overflow 0
		.amdhsa_exception_fp_ieee_underflow 0
		.amdhsa_exception_fp_ieee_inexact 0
		.amdhsa_exception_int_div_zero 0
	.end_amdhsa_kernel
	.section	.text._Z27inclusive_scan_array_kernelILj255ELj15ELN6hipcub18BlockScanAlgorithmE0EfEvPT2_,"axG",@progbits,_Z27inclusive_scan_array_kernelILj255ELj15ELN6hipcub18BlockScanAlgorithmE0EfEvPT2_,comdat
.Lfunc_end180:
	.size	_Z27inclusive_scan_array_kernelILj255ELj15ELN6hipcub18BlockScanAlgorithmE0EfEvPT2_, .Lfunc_end180-_Z27inclusive_scan_array_kernelILj255ELj15ELN6hipcub18BlockScanAlgorithmE0EfEvPT2_
                                        ; -- End function
	.section	.AMDGPU.csdata,"",@progbits
; Kernel info:
; codeLenInByte = 1444
; NumSgprs: 18
; NumVgprs: 53
; ScratchSize: 0
; MemoryBound: 0
; FloatMode: 240
; IeeeMode: 1
; LDSByteSize: 32 bytes/workgroup (compile time only)
; SGPRBlocks: 2
; VGPRBlocks: 6
; NumSGPRsForWavesPerEU: 18
; NumVGPRsForWavesPerEU: 53
; Occupancy: 16
; WaveLimiterHint : 0
; COMPUTE_PGM_RSRC2:SCRATCH_EN: 0
; COMPUTE_PGM_RSRC2:USER_SGPR: 15
; COMPUTE_PGM_RSRC2:TRAP_HANDLER: 0
; COMPUTE_PGM_RSRC2:TGID_X_EN: 1
; COMPUTE_PGM_RSRC2:TGID_Y_EN: 0
; COMPUTE_PGM_RSRC2:TGID_Z_EN: 0
; COMPUTE_PGM_RSRC2:TIDIG_COMP_CNT: 0
	.section	.text._Z27inclusive_scan_array_kernelILj162ELj7ELN6hipcub18BlockScanAlgorithmE0EfEvPT2_,"axG",@progbits,_Z27inclusive_scan_array_kernelILj162ELj7ELN6hipcub18BlockScanAlgorithmE0EfEvPT2_,comdat
	.protected	_Z27inclusive_scan_array_kernelILj162ELj7ELN6hipcub18BlockScanAlgorithmE0EfEvPT2_ ; -- Begin function _Z27inclusive_scan_array_kernelILj162ELj7ELN6hipcub18BlockScanAlgorithmE0EfEvPT2_
	.globl	_Z27inclusive_scan_array_kernelILj162ELj7ELN6hipcub18BlockScanAlgorithmE0EfEvPT2_
	.p2align	8
	.type	_Z27inclusive_scan_array_kernelILj162ELj7ELN6hipcub18BlockScanAlgorithmE0EfEvPT2_,@function
_Z27inclusive_scan_array_kernelILj162ELj7ELN6hipcub18BlockScanAlgorithmE0EfEvPT2_: ; @_Z27inclusive_scan_array_kernelILj162ELj7ELN6hipcub18BlockScanAlgorithmE0EfEvPT2_
; %bb.0:
	v_mad_u64_u32 v[1:2], null, 0xa2, s15, v[0:1]
	s_load_b64 s[0:1], s[0:1], 0x0
	s_delay_alu instid0(VALU_DEP_1) | instskip(NEXT) | instid1(VALU_DEP_1)
	v_mul_lo_u32 v11, v1, 7
	v_dual_mov_b32 v12, 0 :: v_dual_add_nc_u32 v1, 1, v11
	s_delay_alu instid0(VALU_DEP_1) | instskip(SKIP_2) | instid1(VALU_DEP_3)
	v_dual_mov_b32 v2, v12 :: v_dual_add_nc_u32 v3, 2, v11
	v_lshlrev_b64 v[9:10], 2, v[11:12]
	v_dual_mov_b32 v4, v12 :: v_dual_add_nc_u32 v5, 3, v11
	v_lshlrev_b64 v[13:14], 2, v[1:2]
	v_dual_mov_b32 v6, v12 :: v_dual_add_nc_u32 v7, 4, v11
	s_waitcnt lgkmcnt(0)
	s_delay_alu instid0(VALU_DEP_4)
	v_add_co_u32 v1, vcc_lo, s0, v9
	v_lshlrev_b64 v[15:16], 2, v[3:4]
	v_add_co_ci_u32_e32 v2, vcc_lo, s1, v10, vcc_lo
	v_mov_b32_e32 v8, v12
	v_add_co_u32 v3, vcc_lo, s0, v13
	v_add_nc_u32_e32 v13, 5, v11
	v_lshlrev_b64 v[17:18], 2, v[5:6]
	v_add_co_ci_u32_e32 v4, vcc_lo, s1, v14, vcc_lo
	v_add_co_u32 v5, vcc_lo, s0, v15
	v_lshlrev_b64 v[19:20], 2, v[7:8]
	v_add_co_ci_u32_e32 v6, vcc_lo, s1, v16, vcc_lo
	s_clause 0x1
	global_load_b32 v15, v[1:2], off
	global_load_b32 v16, v[3:4], off
	v_dual_mov_b32 v14, v12 :: v_dual_add_nc_u32 v11, 6, v11
	v_add_co_u32 v7, vcc_lo, s0, v17
	v_add_co_ci_u32_e32 v8, vcc_lo, s1, v18, vcc_lo
	v_add_co_u32 v9, vcc_lo, s0, v19
	global_load_b32 v17, v[5:6], off
	v_lshlrev_b64 v[13:14], 2, v[13:14]
	v_add_co_ci_u32_e32 v10, vcc_lo, s1, v20, vcc_lo
	v_lshlrev_b64 v[20:21], 2, v[11:12]
	s_clause 0x1
	global_load_b32 v18, v[7:8], off
	global_load_b32 v19, v[9:10], off
	v_add_co_u32 v11, vcc_lo, s0, v13
	v_add_co_ci_u32_e32 v12, vcc_lo, s1, v14, vcc_lo
	v_add_co_u32 v13, vcc_lo, s0, v20
	v_add_co_ci_u32_e32 v14, vcc_lo, s1, v21, vcc_lo
	s_clause 0x1
	global_load_b32 v20, v[11:12], off
	global_load_b32 v21, v[13:14], off
	s_mov_b32 s0, exec_lo
	s_waitcnt vmcnt(5)
	v_add_f32_e32 v22, v15, v16
	s_waitcnt vmcnt(4)
	s_delay_alu instid0(VALU_DEP_1) | instskip(SKIP_1) | instid1(VALU_DEP_1)
	v_add_f32_e32 v22, v17, v22
	s_waitcnt vmcnt(3)
	v_add_f32_e32 v22, v18, v22
	s_waitcnt vmcnt(2)
	s_delay_alu instid0(VALU_DEP_1) | instskip(SKIP_1) | instid1(VALU_DEP_1)
	v_add_f32_e32 v22, v19, v22
	s_waitcnt vmcnt(1)
	v_add_f32_e32 v22, v20, v22
	s_waitcnt vmcnt(0)
	s_delay_alu instid0(VALU_DEP_1) | instskip(SKIP_1) | instid1(VALU_DEP_2)
	v_add_f32_e32 v23, v21, v22
	v_mbcnt_lo_u32_b32 v22, -1, 0
	v_mov_b32_dpp v24, v23 row_shr:1 row_mask:0xf bank_mask:0xf
	s_delay_alu instid0(VALU_DEP_1) | instskip(NEXT) | instid1(VALU_DEP_1)
	v_dual_add_f32 v24, v23, v24 :: v_dual_and_b32 v25, 15, v22
	v_cmp_eq_u32_e32 vcc_lo, 0, v25
	s_delay_alu instid0(VALU_DEP_2) | instskip(SKIP_1) | instid1(VALU_DEP_2)
	v_cndmask_b32_e32 v23, v24, v23, vcc_lo
	v_cmp_lt_u32_e32 vcc_lo, 1, v25
	v_mov_b32_dpp v24, v23 row_shr:2 row_mask:0xf bank_mask:0xf
	s_delay_alu instid0(VALU_DEP_1) | instskip(NEXT) | instid1(VALU_DEP_1)
	v_add_f32_e32 v24, v23, v24
	v_cndmask_b32_e32 v23, v23, v24, vcc_lo
	v_cmp_lt_u32_e32 vcc_lo, 3, v25
	s_delay_alu instid0(VALU_DEP_2) | instskip(NEXT) | instid1(VALU_DEP_1)
	v_mov_b32_dpp v24, v23 row_shr:4 row_mask:0xf bank_mask:0xf
	v_add_f32_e32 v24, v23, v24
	s_delay_alu instid0(VALU_DEP_1) | instskip(SKIP_2) | instid1(VALU_DEP_3)
	v_cndmask_b32_e32 v23, v23, v24, vcc_lo
	v_cmp_lt_u32_e32 vcc_lo, 7, v25
	v_and_b32_e32 v25, 0xe0, v0
	v_mov_b32_dpp v24, v23 row_shr:8 row_mask:0xf bank_mask:0xf
	s_delay_alu instid0(VALU_DEP_2) | instskip(NEXT) | instid1(VALU_DEP_1)
	v_min_u32_e32 v25, 0x82, v25
	v_dual_add_f32 v24, v23, v24 :: v_dual_add_nc_u32 v25, 31, v25
	s_delay_alu instid0(VALU_DEP_1) | instskip(SKIP_3) | instid1(VALU_DEP_1)
	v_cndmask_b32_e32 v23, v23, v24, vcc_lo
	ds_swizzle_b32 v24, v23 offset:swizzle(BROADCAST,32,15)
	s_waitcnt lgkmcnt(0)
	v_dual_add_f32 v27, v23, v24 :: v_dual_and_b32 v26, 16, v22
	v_cmp_eq_u32_e32 vcc_lo, 0, v26
	v_lshrrev_b32_e32 v24, 5, v0
	s_delay_alu instid0(VALU_DEP_3)
	v_cndmask_b32_e32 v23, v27, v23, vcc_lo
	v_cmpx_eq_u32_e64 v25, v0
	s_cbranch_execz .LBB181_2
; %bb.1:
	s_delay_alu instid0(VALU_DEP_3)
	v_lshlrev_b32_e32 v25, 2, v24
	ds_store_b32 v25, v23
.LBB181_2:
	s_or_b32 exec_lo, exec_lo, s0
	s_delay_alu instid0(SALU_CYCLE_1)
	s_mov_b32 s0, exec_lo
	s_waitcnt lgkmcnt(0)
	s_barrier
	buffer_gl0_inv
	v_cmpx_gt_u32_e32 6, v0
	s_cbranch_execz .LBB181_4
; %bb.3:
	v_and_b32_e32 v28, 7, v22
	s_delay_alu instid0(VALU_DEP_1) | instskip(SKIP_4) | instid1(VALU_DEP_1)
	v_cmp_eq_u32_e32 vcc_lo, 0, v28
	v_lshlrev_b32_e32 v25, 2, v0
	ds_load_b32 v26, v25
	s_waitcnt lgkmcnt(0)
	v_mov_b32_dpp v27, v26 row_shr:1 row_mask:0xf bank_mask:0xf
	v_add_f32_e32 v27, v26, v27
	s_delay_alu instid0(VALU_DEP_1) | instskip(SKIP_1) | instid1(VALU_DEP_2)
	v_cndmask_b32_e32 v26, v27, v26, vcc_lo
	v_cmp_lt_u32_e32 vcc_lo, 1, v28
	v_mov_b32_dpp v27, v26 row_shr:2 row_mask:0xf bank_mask:0xf
	s_delay_alu instid0(VALU_DEP_1) | instskip(NEXT) | instid1(VALU_DEP_1)
	v_add_f32_e32 v27, v26, v27
	v_cndmask_b32_e32 v26, v26, v27, vcc_lo
	v_cmp_lt_u32_e32 vcc_lo, 3, v28
	s_delay_alu instid0(VALU_DEP_2) | instskip(NEXT) | instid1(VALU_DEP_1)
	v_mov_b32_dpp v27, v26 row_shr:4 row_mask:0xf bank_mask:0xf
	v_add_f32_e32 v27, v26, v27
	s_delay_alu instid0(VALU_DEP_1)
	v_cndmask_b32_e32 v26, v26, v27, vcc_lo
	ds_store_b32 v25, v26
.LBB181_4:
	s_or_b32 exec_lo, exec_lo, s0
	s_delay_alu instid0(SALU_CYCLE_1)
	s_mov_b32 s0, exec_lo
	s_waitcnt lgkmcnt(0)
	s_barrier
	buffer_gl0_inv
                                        ; implicit-def: $vgpr25
	v_cmpx_lt_u32_e32 31, v0
	s_cbranch_execz .LBB181_6
; %bb.5:
	v_lshl_add_u32 v24, v24, 2, -4
	ds_load_b32 v25, v24
	s_waitcnt lgkmcnt(0)
	v_add_f32_e32 v23, v23, v25
.LBB181_6:
	s_or_b32 exec_lo, exec_lo, s0
	v_add_nc_u32_e32 v24, -1, v22
	s_delay_alu instid0(VALU_DEP_1) | instskip(SKIP_2) | instid1(VALU_DEP_2)
	v_cmp_gt_i32_e32 vcc_lo, 0, v24
	v_cndmask_b32_e32 v24, v24, v22, vcc_lo
	v_cmp_eq_u32_e32 vcc_lo, 0, v22
	v_lshlrev_b32_e32 v24, 2, v24
	ds_bpermute_b32 v23, v24, v23
	s_waitcnt lgkmcnt(0)
	v_cndmask_b32_e32 v22, v23, v25, vcc_lo
	v_cmp_eq_u32_e32 vcc_lo, 0, v0
	s_delay_alu instid0(VALU_DEP_2) | instskip(NEXT) | instid1(VALU_DEP_1)
	v_add_f32_e32 v22, v15, v22
	v_cndmask_b32_e32 v0, v22, v15, vcc_lo
	s_delay_alu instid0(VALU_DEP_1) | instskip(NEXT) | instid1(VALU_DEP_1)
	v_add_f32_e32 v15, v16, v0
	v_add_f32_e32 v16, v17, v15
	s_delay_alu instid0(VALU_DEP_1) | instskip(NEXT) | instid1(VALU_DEP_1)
	v_add_f32_e32 v17, v18, v16
	v_add_f32_e32 v18, v19, v17
	;; [unrolled: 3-line block ×3, first 2 shown]
	s_clause 0x6
	global_store_b32 v[1:2], v0, off
	global_store_b32 v[3:4], v15, off
	;; [unrolled: 1-line block ×7, first 2 shown]
	s_nop 0
	s_sendmsg sendmsg(MSG_DEALLOC_VGPRS)
	s_endpgm
	.section	.rodata,"a",@progbits
	.p2align	6, 0x0
	.amdhsa_kernel _Z27inclusive_scan_array_kernelILj162ELj7ELN6hipcub18BlockScanAlgorithmE0EfEvPT2_
		.amdhsa_group_segment_fixed_size 24
		.amdhsa_private_segment_fixed_size 0
		.amdhsa_kernarg_size 8
		.amdhsa_user_sgpr_count 15
		.amdhsa_user_sgpr_dispatch_ptr 0
		.amdhsa_user_sgpr_queue_ptr 0
		.amdhsa_user_sgpr_kernarg_segment_ptr 1
		.amdhsa_user_sgpr_dispatch_id 0
		.amdhsa_user_sgpr_private_segment_size 0
		.amdhsa_wavefront_size32 1
		.amdhsa_uses_dynamic_stack 0
		.amdhsa_enable_private_segment 0
		.amdhsa_system_sgpr_workgroup_id_x 1
		.amdhsa_system_sgpr_workgroup_id_y 0
		.amdhsa_system_sgpr_workgroup_id_z 0
		.amdhsa_system_sgpr_workgroup_info 0
		.amdhsa_system_vgpr_workitem_id 0
		.amdhsa_next_free_vgpr 29
		.amdhsa_next_free_sgpr 16
		.amdhsa_reserve_vcc 1
		.amdhsa_float_round_mode_32 0
		.amdhsa_float_round_mode_16_64 0
		.amdhsa_float_denorm_mode_32 3
		.amdhsa_float_denorm_mode_16_64 3
		.amdhsa_dx10_clamp 1
		.amdhsa_ieee_mode 1
		.amdhsa_fp16_overflow 0
		.amdhsa_workgroup_processor_mode 1
		.amdhsa_memory_ordered 1
		.amdhsa_forward_progress 0
		.amdhsa_shared_vgpr_count 0
		.amdhsa_exception_fp_ieee_invalid_op 0
		.amdhsa_exception_fp_denorm_src 0
		.amdhsa_exception_fp_ieee_div_zero 0
		.amdhsa_exception_fp_ieee_overflow 0
		.amdhsa_exception_fp_ieee_underflow 0
		.amdhsa_exception_fp_ieee_inexact 0
		.amdhsa_exception_int_div_zero 0
	.end_amdhsa_kernel
	.section	.text._Z27inclusive_scan_array_kernelILj162ELj7ELN6hipcub18BlockScanAlgorithmE0EfEvPT2_,"axG",@progbits,_Z27inclusive_scan_array_kernelILj162ELj7ELN6hipcub18BlockScanAlgorithmE0EfEvPT2_,comdat
.Lfunc_end181:
	.size	_Z27inclusive_scan_array_kernelILj162ELj7ELN6hipcub18BlockScanAlgorithmE0EfEvPT2_, .Lfunc_end181-_Z27inclusive_scan_array_kernelILj162ELj7ELN6hipcub18BlockScanAlgorithmE0EfEvPT2_
                                        ; -- End function
	.section	.AMDGPU.csdata,"",@progbits
; Kernel info:
; codeLenInByte = 940
; NumSgprs: 18
; NumVgprs: 29
; ScratchSize: 0
; MemoryBound: 0
; FloatMode: 240
; IeeeMode: 1
; LDSByteSize: 24 bytes/workgroup (compile time only)
; SGPRBlocks: 2
; VGPRBlocks: 3
; NumSGPRsForWavesPerEU: 18
; NumVGPRsForWavesPerEU: 29
; Occupancy: 15
; WaveLimiterHint : 0
; COMPUTE_PGM_RSRC2:SCRATCH_EN: 0
; COMPUTE_PGM_RSRC2:USER_SGPR: 15
; COMPUTE_PGM_RSRC2:TRAP_HANDLER: 0
; COMPUTE_PGM_RSRC2:TGID_X_EN: 1
; COMPUTE_PGM_RSRC2:TGID_Y_EN: 0
; COMPUTE_PGM_RSRC2:TGID_Z_EN: 0
; COMPUTE_PGM_RSRC2:TIDIG_COMP_CNT: 0
	.section	.text._Z27inclusive_scan_array_kernelILj65ELj5ELN6hipcub18BlockScanAlgorithmE0EfEvPT2_,"axG",@progbits,_Z27inclusive_scan_array_kernelILj65ELj5ELN6hipcub18BlockScanAlgorithmE0EfEvPT2_,comdat
	.protected	_Z27inclusive_scan_array_kernelILj65ELj5ELN6hipcub18BlockScanAlgorithmE0EfEvPT2_ ; -- Begin function _Z27inclusive_scan_array_kernelILj65ELj5ELN6hipcub18BlockScanAlgorithmE0EfEvPT2_
	.globl	_Z27inclusive_scan_array_kernelILj65ELj5ELN6hipcub18BlockScanAlgorithmE0EfEvPT2_
	.p2align	8
	.type	_Z27inclusive_scan_array_kernelILj65ELj5ELN6hipcub18BlockScanAlgorithmE0EfEvPT2_,@function
_Z27inclusive_scan_array_kernelILj65ELj5ELN6hipcub18BlockScanAlgorithmE0EfEvPT2_: ; @_Z27inclusive_scan_array_kernelILj65ELj5ELN6hipcub18BlockScanAlgorithmE0EfEvPT2_
; %bb.0:
	v_mad_u64_u32 v[1:2], null, 0x41, s15, v[0:1]
	s_load_b64 s[0:1], s[0:1], 0x0
	s_delay_alu instid0(VALU_DEP_1) | instskip(NEXT) | instid1(VALU_DEP_1)
	v_lshl_add_u32 v1, v1, 2, v1
	v_dual_mov_b32 v2, 0 :: v_dual_add_nc_u32 v3, 1, v1
	s_delay_alu instid0(VALU_DEP_1) | instskip(SKIP_3) | instid1(VALU_DEP_4)
	v_dual_mov_b32 v4, v2 :: v_dual_add_nc_u32 v5, 2, v1
	v_lshlrev_b64 v[9:10], 2, v[1:2]
	v_dual_mov_b32 v6, v2 :: v_dual_add_nc_u32 v7, 3, v1
	v_dual_mov_b32 v8, v2 :: v_dual_add_nc_u32 v1, 4, v1
	v_lshlrev_b64 v[3:4], 2, v[3:4]
	s_delay_alu instid0(VALU_DEP_3) | instskip(NEXT) | instid1(VALU_DEP_3)
	v_lshlrev_b64 v[5:6], 2, v[5:6]
	v_lshlrev_b64 v[7:8], 2, v[7:8]
	s_delay_alu instid0(VALU_DEP_4)
	v_lshlrev_b64 v[14:15], 2, v[1:2]
	s_waitcnt lgkmcnt(0)
	v_add_co_u32 v1, vcc_lo, s0, v9
	v_add_co_ci_u32_e32 v2, vcc_lo, s1, v10, vcc_lo
	v_add_co_u32 v3, vcc_lo, s0, v3
	v_add_co_ci_u32_e32 v4, vcc_lo, s1, v4, vcc_lo
	;; [unrolled: 2-line block ×3, first 2 shown]
	s_clause 0x1
	global_load_b32 v11, v[1:2], off
	global_load_b32 v12, v[3:4], off
	v_add_co_u32 v7, vcc_lo, s0, v7
	v_add_co_ci_u32_e32 v8, vcc_lo, s1, v8, vcc_lo
	global_load_b32 v13, v[5:6], off
	v_add_co_u32 v9, vcc_lo, s0, v14
	v_add_co_ci_u32_e32 v10, vcc_lo, s1, v15, vcc_lo
	s_clause 0x1
	global_load_b32 v14, v[7:8], off
	global_load_b32 v15, v[9:10], off
	s_mov_b32 s0, exec_lo
	s_waitcnt vmcnt(3)
	v_add_f32_e32 v16, v11, v12
	s_waitcnt vmcnt(2)
	s_delay_alu instid0(VALU_DEP_1) | instskip(SKIP_1) | instid1(VALU_DEP_1)
	v_add_f32_e32 v16, v13, v16
	s_waitcnt vmcnt(1)
	v_add_f32_e32 v16, v14, v16
	s_waitcnt vmcnt(0)
	s_delay_alu instid0(VALU_DEP_1) | instskip(SKIP_1) | instid1(VALU_DEP_2)
	v_add_f32_e32 v17, v15, v16
	v_mbcnt_lo_u32_b32 v16, -1, 0
	v_mov_b32_dpp v18, v17 row_shr:1 row_mask:0xf bank_mask:0xf
	s_delay_alu instid0(VALU_DEP_2) | instskip(SKIP_1) | instid1(VALU_DEP_3)
	v_and_b32_e32 v19, 15, v16
	v_and_b32_e32 v20, 16, v16
	v_add_f32_e32 v18, v17, v18
	s_delay_alu instid0(VALU_DEP_3) | instskip(NEXT) | instid1(VALU_DEP_2)
	v_cmp_eq_u32_e32 vcc_lo, 0, v19
	v_cndmask_b32_e32 v17, v18, v17, vcc_lo
	v_cmp_lt_u32_e32 vcc_lo, 1, v19
	s_delay_alu instid0(VALU_DEP_2) | instskip(NEXT) | instid1(VALU_DEP_1)
	v_mov_b32_dpp v18, v17 row_shr:2 row_mask:0xf bank_mask:0xf
	v_add_f32_e32 v18, v17, v18
	s_delay_alu instid0(VALU_DEP_1) | instskip(SKIP_1) | instid1(VALU_DEP_2)
	v_cndmask_b32_e32 v17, v17, v18, vcc_lo
	v_cmp_lt_u32_e32 vcc_lo, 3, v19
	v_mov_b32_dpp v18, v17 row_shr:4 row_mask:0xf bank_mask:0xf
	s_delay_alu instid0(VALU_DEP_1) | instskip(NEXT) | instid1(VALU_DEP_1)
	v_add_f32_e32 v18, v17, v18
	v_cndmask_b32_e32 v17, v17, v18, vcc_lo
	v_cmp_lt_u32_e32 vcc_lo, 7, v19
	v_and_b32_e32 v19, 0x60, v0
	s_delay_alu instid0(VALU_DEP_3) | instskip(NEXT) | instid1(VALU_DEP_2)
	v_mov_b32_dpp v18, v17 row_shr:8 row_mask:0xf bank_mask:0xf
	v_min_u32_e32 v19, 33, v19
	s_delay_alu instid0(VALU_DEP_1) | instskip(NEXT) | instid1(VALU_DEP_1)
	v_dual_add_f32 v18, v17, v18 :: v_dual_add_nc_u32 v19, 31, v19
	v_cndmask_b32_e32 v17, v17, v18, vcc_lo
	v_cmp_eq_u32_e32 vcc_lo, 0, v20
	ds_swizzle_b32 v18, v17 offset:swizzle(BROADCAST,32,15)
	s_waitcnt lgkmcnt(0)
	v_add_f32_e32 v21, v17, v18
	v_lshrrev_b32_e32 v18, 5, v0
	s_delay_alu instid0(VALU_DEP_2)
	v_cndmask_b32_e32 v17, v21, v17, vcc_lo
	v_cmpx_eq_u32_e64 v19, v0
	s_cbranch_execz .LBB182_2
; %bb.1:
	s_delay_alu instid0(VALU_DEP_3)
	v_lshlrev_b32_e32 v19, 2, v18
	ds_store_b32 v19, v17
.LBB182_2:
	s_or_b32 exec_lo, exec_lo, s0
	s_delay_alu instid0(SALU_CYCLE_1)
	s_mov_b32 s0, exec_lo
	s_waitcnt lgkmcnt(0)
	s_barrier
	buffer_gl0_inv
	v_cmpx_gt_u32_e32 3, v0
	s_cbranch_execz .LBB182_4
; %bb.3:
	v_lshlrev_b32_e32 v19, 2, v0
	ds_load_b32 v20, v19
	s_waitcnt lgkmcnt(0)
	v_mov_b32_dpp v21, v20 row_shr:1 row_mask:0xf bank_mask:0xf
	s_delay_alu instid0(VALU_DEP_1) | instskip(NEXT) | instid1(VALU_DEP_1)
	v_dual_add_f32 v21, v20, v21 :: v_dual_and_b32 v22, 3, v16
	v_cmp_eq_u32_e32 vcc_lo, 0, v22
	s_delay_alu instid0(VALU_DEP_2) | instskip(SKIP_1) | instid1(VALU_DEP_2)
	v_cndmask_b32_e32 v20, v21, v20, vcc_lo
	v_cmp_lt_u32_e32 vcc_lo, 1, v22
	v_mov_b32_dpp v21, v20 row_shr:2 row_mask:0xf bank_mask:0xf
	s_delay_alu instid0(VALU_DEP_1) | instskip(NEXT) | instid1(VALU_DEP_1)
	v_add_f32_e32 v21, v20, v21
	v_cndmask_b32_e32 v20, v20, v21, vcc_lo
	ds_store_b32 v19, v20
.LBB182_4:
	s_or_b32 exec_lo, exec_lo, s0
	s_delay_alu instid0(SALU_CYCLE_1)
	s_mov_b32 s0, exec_lo
	s_waitcnt lgkmcnt(0)
	s_barrier
	buffer_gl0_inv
                                        ; implicit-def: $vgpr19
	v_cmpx_lt_u32_e32 31, v0
	s_cbranch_execz .LBB182_6
; %bb.5:
	v_lshl_add_u32 v18, v18, 2, -4
	ds_load_b32 v19, v18
	s_waitcnt lgkmcnt(0)
	v_add_f32_e32 v17, v17, v19
.LBB182_6:
	s_or_b32 exec_lo, exec_lo, s0
	v_add_nc_u32_e32 v18, -1, v16
	s_delay_alu instid0(VALU_DEP_1) | instskip(SKIP_2) | instid1(VALU_DEP_2)
	v_cmp_gt_i32_e32 vcc_lo, 0, v18
	v_cndmask_b32_e32 v18, v18, v16, vcc_lo
	v_cmp_eq_u32_e32 vcc_lo, 0, v16
	v_lshlrev_b32_e32 v18, 2, v18
	ds_bpermute_b32 v17, v18, v17
	s_waitcnt lgkmcnt(0)
	v_cndmask_b32_e32 v16, v17, v19, vcc_lo
	v_cmp_eq_u32_e32 vcc_lo, 0, v0
	s_delay_alu instid0(VALU_DEP_2) | instskip(NEXT) | instid1(VALU_DEP_1)
	v_add_f32_e32 v16, v11, v16
	v_cndmask_b32_e32 v0, v16, v11, vcc_lo
	s_delay_alu instid0(VALU_DEP_1) | instskip(NEXT) | instid1(VALU_DEP_1)
	v_add_f32_e32 v11, v12, v0
	v_add_f32_e32 v12, v13, v11
	s_delay_alu instid0(VALU_DEP_1) | instskip(NEXT) | instid1(VALU_DEP_1)
	v_add_f32_e32 v13, v14, v12
	v_add_f32_e32 v14, v15, v13
	s_clause 0x4
	global_store_b32 v[1:2], v0, off
	global_store_b32 v[3:4], v11, off
	;; [unrolled: 1-line block ×5, first 2 shown]
	s_nop 0
	s_sendmsg sendmsg(MSG_DEALLOC_VGPRS)
	s_endpgm
	.section	.rodata,"a",@progbits
	.p2align	6, 0x0
	.amdhsa_kernel _Z27inclusive_scan_array_kernelILj65ELj5ELN6hipcub18BlockScanAlgorithmE0EfEvPT2_
		.amdhsa_group_segment_fixed_size 12
		.amdhsa_private_segment_fixed_size 0
		.amdhsa_kernarg_size 8
		.amdhsa_user_sgpr_count 15
		.amdhsa_user_sgpr_dispatch_ptr 0
		.amdhsa_user_sgpr_queue_ptr 0
		.amdhsa_user_sgpr_kernarg_segment_ptr 1
		.amdhsa_user_sgpr_dispatch_id 0
		.amdhsa_user_sgpr_private_segment_size 0
		.amdhsa_wavefront_size32 1
		.amdhsa_uses_dynamic_stack 0
		.amdhsa_enable_private_segment 0
		.amdhsa_system_sgpr_workgroup_id_x 1
		.amdhsa_system_sgpr_workgroup_id_y 0
		.amdhsa_system_sgpr_workgroup_id_z 0
		.amdhsa_system_sgpr_workgroup_info 0
		.amdhsa_system_vgpr_workitem_id 0
		.amdhsa_next_free_vgpr 23
		.amdhsa_next_free_sgpr 16
		.amdhsa_reserve_vcc 1
		.amdhsa_float_round_mode_32 0
		.amdhsa_float_round_mode_16_64 0
		.amdhsa_float_denorm_mode_32 3
		.amdhsa_float_denorm_mode_16_64 3
		.amdhsa_dx10_clamp 1
		.amdhsa_ieee_mode 1
		.amdhsa_fp16_overflow 0
		.amdhsa_workgroup_processor_mode 1
		.amdhsa_memory_ordered 1
		.amdhsa_forward_progress 0
		.amdhsa_shared_vgpr_count 0
		.amdhsa_exception_fp_ieee_invalid_op 0
		.amdhsa_exception_fp_denorm_src 0
		.amdhsa_exception_fp_ieee_div_zero 0
		.amdhsa_exception_fp_ieee_overflow 0
		.amdhsa_exception_fp_ieee_underflow 0
		.amdhsa_exception_fp_ieee_inexact 0
		.amdhsa_exception_int_div_zero 0
	.end_amdhsa_kernel
	.section	.text._Z27inclusive_scan_array_kernelILj65ELj5ELN6hipcub18BlockScanAlgorithmE0EfEvPT2_,"axG",@progbits,_Z27inclusive_scan_array_kernelILj65ELj5ELN6hipcub18BlockScanAlgorithmE0EfEvPT2_,comdat
.Lfunc_end182:
	.size	_Z27inclusive_scan_array_kernelILj65ELj5ELN6hipcub18BlockScanAlgorithmE0EfEvPT2_, .Lfunc_end182-_Z27inclusive_scan_array_kernelILj65ELj5ELN6hipcub18BlockScanAlgorithmE0EfEvPT2_
                                        ; -- End function
	.section	.AMDGPU.csdata,"",@progbits
; Kernel info:
; codeLenInByte = 788
; NumSgprs: 18
; NumVgprs: 23
; ScratchSize: 0
; MemoryBound: 0
; FloatMode: 240
; IeeeMode: 1
; LDSByteSize: 12 bytes/workgroup (compile time only)
; SGPRBlocks: 2
; VGPRBlocks: 2
; NumSGPRsForWavesPerEU: 18
; NumVGPRsForWavesPerEU: 23
; Occupancy: 16
; WaveLimiterHint : 0
; COMPUTE_PGM_RSRC2:SCRATCH_EN: 0
; COMPUTE_PGM_RSRC2:USER_SGPR: 15
; COMPUTE_PGM_RSRC2:TRAP_HANDLER: 0
; COMPUTE_PGM_RSRC2:TGID_X_EN: 1
; COMPUTE_PGM_RSRC2:TGID_Y_EN: 0
; COMPUTE_PGM_RSRC2:TGID_Z_EN: 0
; COMPUTE_PGM_RSRC2:TIDIG_COMP_CNT: 0
	.section	.text._Z27inclusive_scan_array_kernelILj37ELj2ELN6hipcub18BlockScanAlgorithmE0EfEvPT2_,"axG",@progbits,_Z27inclusive_scan_array_kernelILj37ELj2ELN6hipcub18BlockScanAlgorithmE0EfEvPT2_,comdat
	.protected	_Z27inclusive_scan_array_kernelILj37ELj2ELN6hipcub18BlockScanAlgorithmE0EfEvPT2_ ; -- Begin function _Z27inclusive_scan_array_kernelILj37ELj2ELN6hipcub18BlockScanAlgorithmE0EfEvPT2_
	.globl	_Z27inclusive_scan_array_kernelILj37ELj2ELN6hipcub18BlockScanAlgorithmE0EfEvPT2_
	.p2align	8
	.type	_Z27inclusive_scan_array_kernelILj37ELj2ELN6hipcub18BlockScanAlgorithmE0EfEvPT2_,@function
_Z27inclusive_scan_array_kernelILj37ELj2ELN6hipcub18BlockScanAlgorithmE0EfEvPT2_: ; @_Z27inclusive_scan_array_kernelILj37ELj2ELN6hipcub18BlockScanAlgorithmE0EfEvPT2_
; %bb.0:
	s_load_b64 s[0:1], s[0:1], 0x0
	s_mul_i32 s15, s15, 37
	v_mov_b32_e32 v2, 0
	v_add_lshl_u32 v1, s15, v0, 1
	v_mbcnt_lo_u32_b32 v5, -1, 0
	s_delay_alu instid0(VALU_DEP_2) | instskip(NEXT) | instid1(VALU_DEP_2)
	v_lshlrev_b64 v[1:2], 2, v[1:2]
	v_and_b32_e32 v8, 15, v5
	v_and_b32_e32 v9, 16, v5
	s_waitcnt lgkmcnt(0)
	s_delay_alu instid0(VALU_DEP_3) | instskip(NEXT) | instid1(VALU_DEP_4)
	v_add_co_u32 v1, vcc_lo, s0, v1
	v_add_co_ci_u32_e32 v2, vcc_lo, s1, v2, vcc_lo
	v_cmp_eq_u32_e32 vcc_lo, 0, v8
	s_mov_b32 s0, exec_lo
	global_load_b64 v[3:4], v[1:2], off
	s_waitcnt vmcnt(0)
	v_add_f32_e32 v6, v3, v4
	s_delay_alu instid0(VALU_DEP_1) | instskip(NEXT) | instid1(VALU_DEP_1)
	v_mov_b32_dpp v7, v6 row_shr:1 row_mask:0xf bank_mask:0xf
	v_add_f32_e32 v7, v6, v7
	s_delay_alu instid0(VALU_DEP_1) | instskip(NEXT) | instid1(VALU_DEP_1)
	v_cndmask_b32_e32 v6, v7, v6, vcc_lo
	v_mov_b32_dpp v7, v6 row_shr:2 row_mask:0xf bank_mask:0xf
	s_delay_alu instid0(VALU_DEP_1) | instskip(SKIP_1) | instid1(VALU_DEP_2)
	v_add_f32_e32 v7, v6, v7
	v_cmp_lt_u32_e32 vcc_lo, 1, v8
	v_cndmask_b32_e32 v6, v6, v7, vcc_lo
	v_cmp_lt_u32_e32 vcc_lo, 3, v8
	s_delay_alu instid0(VALU_DEP_2) | instskip(NEXT) | instid1(VALU_DEP_1)
	v_mov_b32_dpp v7, v6 row_shr:4 row_mask:0xf bank_mask:0xf
	v_add_f32_e32 v7, v6, v7
	s_delay_alu instid0(VALU_DEP_1) | instskip(SKIP_2) | instid1(VALU_DEP_3)
	v_cndmask_b32_e32 v6, v6, v7, vcc_lo
	v_cmp_lt_u32_e32 vcc_lo, 7, v8
	v_and_b32_e32 v8, 32, v0
	v_mov_b32_dpp v7, v6 row_shr:8 row_mask:0xf bank_mask:0xf
	s_delay_alu instid0(VALU_DEP_2) | instskip(NEXT) | instid1(VALU_DEP_1)
	v_min_u32_e32 v8, 5, v8
	v_dual_add_f32 v7, v6, v7 :: v_dual_add_nc_u32 v8, 31, v8
	s_delay_alu instid0(VALU_DEP_1)
	v_cndmask_b32_e32 v6, v6, v7, vcc_lo
	v_cmp_eq_u32_e32 vcc_lo, 0, v9
	ds_swizzle_b32 v7, v6 offset:swizzle(BROADCAST,32,15)
	s_waitcnt lgkmcnt(0)
	v_add_f32_e32 v10, v6, v7
	v_lshrrev_b32_e32 v7, 5, v0
	s_delay_alu instid0(VALU_DEP_2)
	v_cndmask_b32_e32 v6, v10, v6, vcc_lo
	v_cmpx_eq_u32_e64 v8, v0
	s_cbranch_execz .LBB183_2
; %bb.1:
	s_delay_alu instid0(VALU_DEP_3)
	v_lshlrev_b32_e32 v8, 2, v7
	ds_store_b32 v8, v6
.LBB183_2:
	s_or_b32 exec_lo, exec_lo, s0
	s_delay_alu instid0(SALU_CYCLE_1)
	s_mov_b32 s0, exec_lo
	s_waitcnt lgkmcnt(0)
	s_barrier
	buffer_gl0_inv
	v_cmpx_gt_u32_e32 2, v0
	s_cbranch_execz .LBB183_4
; %bb.3:
	v_and_b32_e32 v11, 1, v5
	s_delay_alu instid0(VALU_DEP_1) | instskip(SKIP_4) | instid1(VALU_DEP_1)
	v_cmp_eq_u32_e32 vcc_lo, 0, v11
	v_lshlrev_b32_e32 v8, 2, v0
	ds_load_b32 v9, v8
	s_waitcnt lgkmcnt(0)
	v_mov_b32_dpp v10, v9 row_shr:1 row_mask:0xf bank_mask:0xf
	v_add_f32_e32 v10, v9, v10
	s_delay_alu instid0(VALU_DEP_1)
	v_cndmask_b32_e32 v9, v10, v9, vcc_lo
	ds_store_b32 v8, v9
.LBB183_4:
	s_or_b32 exec_lo, exec_lo, s0
	s_delay_alu instid0(SALU_CYCLE_1)
	s_mov_b32 s0, exec_lo
	s_waitcnt lgkmcnt(0)
	s_barrier
	buffer_gl0_inv
                                        ; implicit-def: $vgpr8
	v_cmpx_lt_u32_e32 31, v0
	s_cbranch_execz .LBB183_6
; %bb.5:
	v_lshl_add_u32 v7, v7, 2, -4
	ds_load_b32 v8, v7
	s_waitcnt lgkmcnt(0)
	v_add_f32_e32 v6, v6, v8
.LBB183_6:
	s_or_b32 exec_lo, exec_lo, s0
	v_add_nc_u32_e32 v7, -1, v5
	s_delay_alu instid0(VALU_DEP_1) | instskip(SKIP_2) | instid1(VALU_DEP_2)
	v_cmp_gt_i32_e32 vcc_lo, 0, v7
	v_cndmask_b32_e32 v7, v7, v5, vcc_lo
	v_cmp_eq_u32_e32 vcc_lo, 0, v5
	v_lshlrev_b32_e32 v7, 2, v7
	ds_bpermute_b32 v6, v7, v6
	s_waitcnt lgkmcnt(0)
	v_cndmask_b32_e32 v5, v6, v8, vcc_lo
	v_cmp_eq_u32_e32 vcc_lo, 0, v0
	s_delay_alu instid0(VALU_DEP_2) | instskip(NEXT) | instid1(VALU_DEP_1)
	v_add_f32_e32 v5, v3, v5
	v_cndmask_b32_e32 v3, v5, v3, vcc_lo
	s_delay_alu instid0(VALU_DEP_1)
	v_add_f32_e32 v4, v4, v3
	global_store_b64 v[1:2], v[3:4], off
	s_nop 0
	s_sendmsg sendmsg(MSG_DEALLOC_VGPRS)
	s_endpgm
	.section	.rodata,"a",@progbits
	.p2align	6, 0x0
	.amdhsa_kernel _Z27inclusive_scan_array_kernelILj37ELj2ELN6hipcub18BlockScanAlgorithmE0EfEvPT2_
		.amdhsa_group_segment_fixed_size 8
		.amdhsa_private_segment_fixed_size 0
		.amdhsa_kernarg_size 8
		.amdhsa_user_sgpr_count 15
		.amdhsa_user_sgpr_dispatch_ptr 0
		.amdhsa_user_sgpr_queue_ptr 0
		.amdhsa_user_sgpr_kernarg_segment_ptr 1
		.amdhsa_user_sgpr_dispatch_id 0
		.amdhsa_user_sgpr_private_segment_size 0
		.amdhsa_wavefront_size32 1
		.amdhsa_uses_dynamic_stack 0
		.amdhsa_enable_private_segment 0
		.amdhsa_system_sgpr_workgroup_id_x 1
		.amdhsa_system_sgpr_workgroup_id_y 0
		.amdhsa_system_sgpr_workgroup_id_z 0
		.amdhsa_system_sgpr_workgroup_info 0
		.amdhsa_system_vgpr_workitem_id 0
		.amdhsa_next_free_vgpr 12
		.amdhsa_next_free_sgpr 16
		.amdhsa_reserve_vcc 1
		.amdhsa_float_round_mode_32 0
		.amdhsa_float_round_mode_16_64 0
		.amdhsa_float_denorm_mode_32 3
		.amdhsa_float_denorm_mode_16_64 3
		.amdhsa_dx10_clamp 1
		.amdhsa_ieee_mode 1
		.amdhsa_fp16_overflow 0
		.amdhsa_workgroup_processor_mode 1
		.amdhsa_memory_ordered 1
		.amdhsa_forward_progress 0
		.amdhsa_shared_vgpr_count 0
		.amdhsa_exception_fp_ieee_invalid_op 0
		.amdhsa_exception_fp_denorm_src 0
		.amdhsa_exception_fp_ieee_div_zero 0
		.amdhsa_exception_fp_ieee_overflow 0
		.amdhsa_exception_fp_ieee_underflow 0
		.amdhsa_exception_fp_ieee_inexact 0
		.amdhsa_exception_int_div_zero 0
	.end_amdhsa_kernel
	.section	.text._Z27inclusive_scan_array_kernelILj37ELj2ELN6hipcub18BlockScanAlgorithmE0EfEvPT2_,"axG",@progbits,_Z27inclusive_scan_array_kernelILj37ELj2ELN6hipcub18BlockScanAlgorithmE0EfEvPT2_,comdat
.Lfunc_end183:
	.size	_Z27inclusive_scan_array_kernelILj37ELj2ELN6hipcub18BlockScanAlgorithmE0EfEvPT2_, .Lfunc_end183-_Z27inclusive_scan_array_kernelILj37ELj2ELN6hipcub18BlockScanAlgorithmE0EfEvPT2_
                                        ; -- End function
	.section	.AMDGPU.csdata,"",@progbits
; Kernel info:
; codeLenInByte = 512
; NumSgprs: 18
; NumVgprs: 12
; ScratchSize: 0
; MemoryBound: 0
; FloatMode: 240
; IeeeMode: 1
; LDSByteSize: 8 bytes/workgroup (compile time only)
; SGPRBlocks: 2
; VGPRBlocks: 1
; NumSGPRsForWavesPerEU: 18
; NumVGPRsForWavesPerEU: 12
; Occupancy: 16
; WaveLimiterHint : 0
; COMPUTE_PGM_RSRC2:SCRATCH_EN: 0
; COMPUTE_PGM_RSRC2:USER_SGPR: 15
; COMPUTE_PGM_RSRC2:TRAP_HANDLER: 0
; COMPUTE_PGM_RSRC2:TGID_X_EN: 1
; COMPUTE_PGM_RSRC2:TGID_Y_EN: 0
; COMPUTE_PGM_RSRC2:TGID_Z_EN: 0
; COMPUTE_PGM_RSRC2:TIDIG_COMP_CNT: 0
	.section	.text._Z27inclusive_scan_array_kernelILj512ELj4ELN6hipcub18BlockScanAlgorithmE0EiEvPT2_,"axG",@progbits,_Z27inclusive_scan_array_kernelILj512ELj4ELN6hipcub18BlockScanAlgorithmE0EiEvPT2_,comdat
	.protected	_Z27inclusive_scan_array_kernelILj512ELj4ELN6hipcub18BlockScanAlgorithmE0EiEvPT2_ ; -- Begin function _Z27inclusive_scan_array_kernelILj512ELj4ELN6hipcub18BlockScanAlgorithmE0EiEvPT2_
	.globl	_Z27inclusive_scan_array_kernelILj512ELj4ELN6hipcub18BlockScanAlgorithmE0EiEvPT2_
	.p2align	8
	.type	_Z27inclusive_scan_array_kernelILj512ELj4ELN6hipcub18BlockScanAlgorithmE0EiEvPT2_,@function
_Z27inclusive_scan_array_kernelILj512ELj4ELN6hipcub18BlockScanAlgorithmE0EiEvPT2_: ; @_Z27inclusive_scan_array_kernelILj512ELj4ELN6hipcub18BlockScanAlgorithmE0EiEvPT2_
; %bb.0:
	s_load_b64 s[0:1], s[0:1], 0x0
	v_lshlrev_b32_e32 v8, 2, v0
	v_mov_b32_e32 v2, 0
	v_mbcnt_lo_u32_b32 v7, -1, 0
	v_or_b32_e32 v12, 31, v0
	s_mov_b32 s4, exec_lo
	v_lshl_or_b32 v1, s15, 11, v8
	s_delay_alu instid0(VALU_DEP_3) | instskip(NEXT) | instid1(VALU_DEP_2)
	v_and_b32_e32 v10, 15, v7
	v_lshlrev_b64 v[1:2], 2, v[1:2]
	s_delay_alu instid0(VALU_DEP_2) | instskip(SKIP_1) | instid1(VALU_DEP_2)
	v_cmp_lt_u32_e64 s2, 7, v10
	s_waitcnt lgkmcnt(0)
	v_add_co_u32 v5, vcc_lo, s0, v1
	s_delay_alu instid0(VALU_DEP_3)
	v_add_co_ci_u32_e32 v6, vcc_lo, s1, v2, vcc_lo
	v_cmp_eq_u32_e32 vcc_lo, 0, v10
	v_cmp_lt_u32_e64 s0, 1, v10
	v_cmp_lt_u32_e64 s1, 3, v10
	global_load_b128 v[1:4], v[5:6], off
	s_waitcnt vmcnt(0)
	v_add_nc_u32_e32 v9, v2, v1
	s_delay_alu instid0(VALU_DEP_1) | instskip(NEXT) | instid1(VALU_DEP_1)
	v_add3_u32 v9, v9, v3, v4
	v_mov_b32_dpp v11, v9 row_shr:1 row_mask:0xf bank_mask:0xf
	s_delay_alu instid0(VALU_DEP_1) | instskip(NEXT) | instid1(VALU_DEP_1)
	v_cndmask_b32_e64 v11, v11, 0, vcc_lo
	v_add_nc_u32_e32 v9, v11, v9
	s_delay_alu instid0(VALU_DEP_1) | instskip(NEXT) | instid1(VALU_DEP_1)
	v_mov_b32_dpp v11, v9 row_shr:2 row_mask:0xf bank_mask:0xf
	v_cndmask_b32_e64 v11, 0, v11, s0
	s_delay_alu instid0(VALU_DEP_1) | instskip(NEXT) | instid1(VALU_DEP_1)
	v_add_nc_u32_e32 v9, v9, v11
	v_mov_b32_dpp v11, v9 row_shr:4 row_mask:0xf bank_mask:0xf
	s_delay_alu instid0(VALU_DEP_1) | instskip(NEXT) | instid1(VALU_DEP_1)
	v_cndmask_b32_e64 v11, 0, v11, s1
	v_add_nc_u32_e32 v9, v9, v11
	s_delay_alu instid0(VALU_DEP_1) | instskip(NEXT) | instid1(VALU_DEP_1)
	v_mov_b32_dpp v11, v9 row_shr:8 row_mask:0xf bank_mask:0xf
	v_cndmask_b32_e64 v10, 0, v11, s2
	v_bfe_i32 v11, v7, 4, 1
	s_delay_alu instid0(VALU_DEP_2) | instskip(SKIP_4) | instid1(VALU_DEP_2)
	v_add_nc_u32_e32 v9, v9, v10
	ds_swizzle_b32 v10, v9 offset:swizzle(BROADCAST,32,15)
	s_waitcnt lgkmcnt(0)
	v_and_b32_e32 v11, v11, v10
	v_lshrrev_b32_e32 v10, 5, v0
	v_add_nc_u32_e32 v9, v9, v11
	v_cmpx_eq_u32_e64 v12, v0
	s_cbranch_execz .LBB184_2
; %bb.1:
	s_delay_alu instid0(VALU_DEP_3)
	v_lshlrev_b32_e32 v11, 2, v10
	ds_store_b32 v11, v9
.LBB184_2:
	s_or_b32 exec_lo, exec_lo, s4
	s_delay_alu instid0(SALU_CYCLE_1)
	s_mov_b32 s4, exec_lo
	s_waitcnt lgkmcnt(0)
	s_barrier
	buffer_gl0_inv
	v_cmpx_gt_u32_e32 16, v0
	s_cbranch_execz .LBB184_4
; %bb.3:
	ds_load_b32 v11, v8
	s_waitcnt lgkmcnt(0)
	v_mov_b32_dpp v12, v11 row_shr:1 row_mask:0xf bank_mask:0xf
	s_delay_alu instid0(VALU_DEP_1) | instskip(NEXT) | instid1(VALU_DEP_1)
	v_cndmask_b32_e64 v12, v12, 0, vcc_lo
	v_add_nc_u32_e32 v11, v12, v11
	s_delay_alu instid0(VALU_DEP_1) | instskip(NEXT) | instid1(VALU_DEP_1)
	v_mov_b32_dpp v12, v11 row_shr:2 row_mask:0xf bank_mask:0xf
	v_cndmask_b32_e64 v12, 0, v12, s0
	s_delay_alu instid0(VALU_DEP_1) | instskip(NEXT) | instid1(VALU_DEP_1)
	v_add_nc_u32_e32 v11, v11, v12
	v_mov_b32_dpp v12, v11 row_shr:4 row_mask:0xf bank_mask:0xf
	s_delay_alu instid0(VALU_DEP_1) | instskip(NEXT) | instid1(VALU_DEP_1)
	v_cndmask_b32_e64 v12, 0, v12, s1
	v_add_nc_u32_e32 v11, v11, v12
	s_delay_alu instid0(VALU_DEP_1) | instskip(NEXT) | instid1(VALU_DEP_1)
	v_mov_b32_dpp v12, v11 row_shr:8 row_mask:0xf bank_mask:0xf
	v_cndmask_b32_e64 v12, 0, v12, s2
	s_delay_alu instid0(VALU_DEP_1)
	v_add_nc_u32_e32 v11, v11, v12
	ds_store_b32 v8, v11
.LBB184_4:
	s_or_b32 exec_lo, exec_lo, s4
	s_delay_alu instid0(SALU_CYCLE_1)
	s_mov_b32 s0, exec_lo
	s_waitcnt lgkmcnt(0)
	s_barrier
	buffer_gl0_inv
                                        ; implicit-def: $vgpr8
	v_cmpx_lt_u32_e32 31, v0
	s_cbranch_execz .LBB184_6
; %bb.5:
	v_lshl_add_u32 v8, v10, 2, -4
	ds_load_b32 v8, v8
	s_waitcnt lgkmcnt(0)
	v_add_nc_u32_e32 v9, v8, v9
.LBB184_6:
	s_or_b32 exec_lo, exec_lo, s0
	v_add_nc_u32_e32 v10, -1, v7
	s_delay_alu instid0(VALU_DEP_1) | instskip(SKIP_2) | instid1(VALU_DEP_2)
	v_cmp_gt_i32_e32 vcc_lo, 0, v10
	v_cndmask_b32_e32 v10, v10, v7, vcc_lo
	v_cmp_eq_u32_e32 vcc_lo, 0, v7
	v_lshlrev_b32_e32 v10, 2, v10
	ds_bpermute_b32 v9, v10, v9
	s_waitcnt lgkmcnt(0)
	v_cndmask_b32_e32 v7, v9, v8, vcc_lo
	v_cmp_ne_u32_e32 vcc_lo, 0, v0
	s_delay_alu instid0(VALU_DEP_2) | instskip(NEXT) | instid1(VALU_DEP_1)
	v_cndmask_b32_e32 v0, 0, v7, vcc_lo
	v_add_nc_u32_e32 v0, v0, v1
	s_delay_alu instid0(VALU_DEP_1) | instskip(NEXT) | instid1(VALU_DEP_1)
	v_add_nc_u32_e32 v1, v0, v2
	v_add_nc_u32_e32 v2, v1, v3
	s_delay_alu instid0(VALU_DEP_1)
	v_add_nc_u32_e32 v3, v2, v4
	global_store_b128 v[5:6], v[0:3], off
	s_nop 0
	s_sendmsg sendmsg(MSG_DEALLOC_VGPRS)
	s_endpgm
	.section	.rodata,"a",@progbits
	.p2align	6, 0x0
	.amdhsa_kernel _Z27inclusive_scan_array_kernelILj512ELj4ELN6hipcub18BlockScanAlgorithmE0EiEvPT2_
		.amdhsa_group_segment_fixed_size 64
		.amdhsa_private_segment_fixed_size 0
		.amdhsa_kernarg_size 8
		.amdhsa_user_sgpr_count 15
		.amdhsa_user_sgpr_dispatch_ptr 0
		.amdhsa_user_sgpr_queue_ptr 0
		.amdhsa_user_sgpr_kernarg_segment_ptr 1
		.amdhsa_user_sgpr_dispatch_id 0
		.amdhsa_user_sgpr_private_segment_size 0
		.amdhsa_wavefront_size32 1
		.amdhsa_uses_dynamic_stack 0
		.amdhsa_enable_private_segment 0
		.amdhsa_system_sgpr_workgroup_id_x 1
		.amdhsa_system_sgpr_workgroup_id_y 0
		.amdhsa_system_sgpr_workgroup_id_z 0
		.amdhsa_system_sgpr_workgroup_info 0
		.amdhsa_system_vgpr_workitem_id 0
		.amdhsa_next_free_vgpr 13
		.amdhsa_next_free_sgpr 16
		.amdhsa_reserve_vcc 1
		.amdhsa_float_round_mode_32 0
		.amdhsa_float_round_mode_16_64 0
		.amdhsa_float_denorm_mode_32 3
		.amdhsa_float_denorm_mode_16_64 3
		.amdhsa_dx10_clamp 1
		.amdhsa_ieee_mode 1
		.amdhsa_fp16_overflow 0
		.amdhsa_workgroup_processor_mode 1
		.amdhsa_memory_ordered 1
		.amdhsa_forward_progress 0
		.amdhsa_shared_vgpr_count 0
		.amdhsa_exception_fp_ieee_invalid_op 0
		.amdhsa_exception_fp_denorm_src 0
		.amdhsa_exception_fp_ieee_div_zero 0
		.amdhsa_exception_fp_ieee_overflow 0
		.amdhsa_exception_fp_ieee_underflow 0
		.amdhsa_exception_fp_ieee_inexact 0
		.amdhsa_exception_int_div_zero 0
	.end_amdhsa_kernel
	.section	.text._Z27inclusive_scan_array_kernelILj512ELj4ELN6hipcub18BlockScanAlgorithmE0EiEvPT2_,"axG",@progbits,_Z27inclusive_scan_array_kernelILj512ELj4ELN6hipcub18BlockScanAlgorithmE0EiEvPT2_,comdat
.Lfunc_end184:
	.size	_Z27inclusive_scan_array_kernelILj512ELj4ELN6hipcub18BlockScanAlgorithmE0EiEvPT2_, .Lfunc_end184-_Z27inclusive_scan_array_kernelILj512ELj4ELN6hipcub18BlockScanAlgorithmE0EiEvPT2_
                                        ; -- End function
	.section	.AMDGPU.csdata,"",@progbits
; Kernel info:
; codeLenInByte = 620
; NumSgprs: 18
; NumVgprs: 13
; ScratchSize: 0
; MemoryBound: 0
; FloatMode: 240
; IeeeMode: 1
; LDSByteSize: 64 bytes/workgroup (compile time only)
; SGPRBlocks: 2
; VGPRBlocks: 1
; NumSGPRsForWavesPerEU: 18
; NumVGPRsForWavesPerEU: 13
; Occupancy: 16
; WaveLimiterHint : 0
; COMPUTE_PGM_RSRC2:SCRATCH_EN: 0
; COMPUTE_PGM_RSRC2:USER_SGPR: 15
; COMPUTE_PGM_RSRC2:TRAP_HANDLER: 0
; COMPUTE_PGM_RSRC2:TGID_X_EN: 1
; COMPUTE_PGM_RSRC2:TGID_Y_EN: 0
; COMPUTE_PGM_RSRC2:TGID_Z_EN: 0
; COMPUTE_PGM_RSRC2:TIDIG_COMP_CNT: 0
	.section	.text._Z27inclusive_scan_array_kernelILj256ELj3ELN6hipcub18BlockScanAlgorithmE0EjEvPT2_,"axG",@progbits,_Z27inclusive_scan_array_kernelILj256ELj3ELN6hipcub18BlockScanAlgorithmE0EjEvPT2_,comdat
	.protected	_Z27inclusive_scan_array_kernelILj256ELj3ELN6hipcub18BlockScanAlgorithmE0EjEvPT2_ ; -- Begin function _Z27inclusive_scan_array_kernelILj256ELj3ELN6hipcub18BlockScanAlgorithmE0EjEvPT2_
	.globl	_Z27inclusive_scan_array_kernelILj256ELj3ELN6hipcub18BlockScanAlgorithmE0EjEvPT2_
	.p2align	8
	.type	_Z27inclusive_scan_array_kernelILj256ELj3ELN6hipcub18BlockScanAlgorithmE0EjEvPT2_,@function
_Z27inclusive_scan_array_kernelILj256ELj3ELN6hipcub18BlockScanAlgorithmE0EjEvPT2_: ; @_Z27inclusive_scan_array_kernelILj256ELj3ELN6hipcub18BlockScanAlgorithmE0EjEvPT2_
; %bb.0:
	s_load_b64 s[0:1], s[0:1], 0x0
	v_lshl_or_b32 v1, s15, 8, v0
	v_mbcnt_lo_u32_b32 v10, -1, 0
	v_or_b32_e32 v14, 31, v0
	s_delay_alu instid0(VALU_DEP_3) | instskip(NEXT) | instid1(VALU_DEP_1)
	v_lshl_add_u32 v1, v1, 1, v1
	v_dual_mov_b32 v2, 0 :: v_dual_add_nc_u32 v3, 1, v1
	s_delay_alu instid0(VALU_DEP_1) | instskip(SKIP_2) | instid1(VALU_DEP_3)
	v_mov_b32_e32 v4, v2
	v_lshlrev_b64 v[5:6], 2, v[1:2]
	v_add_nc_u32_e32 v1, 2, v1
	v_lshlrev_b64 v[3:4], 2, v[3:4]
	s_delay_alu instid0(VALU_DEP_2) | instskip(SKIP_1) | instid1(VALU_DEP_4)
	v_lshlrev_b64 v[7:8], 2, v[1:2]
	s_waitcnt lgkmcnt(0)
	v_add_co_u32 v1, vcc_lo, s0, v5
	v_add_co_ci_u32_e32 v2, vcc_lo, s1, v6, vcc_lo
	s_delay_alu instid0(VALU_DEP_4)
	v_add_co_u32 v3, vcc_lo, s0, v3
	v_add_co_ci_u32_e32 v4, vcc_lo, s1, v4, vcc_lo
	v_add_co_u32 v5, vcc_lo, s0, v7
	v_add_co_ci_u32_e32 v6, vcc_lo, s1, v8, vcc_lo
	s_clause 0x2
	global_load_b32 v7, v[1:2], off
	global_load_b32 v8, v[3:4], off
	;; [unrolled: 1-line block ×3, first 2 shown]
	s_mov_b32 s0, exec_lo
	s_waitcnt vmcnt(0)
	v_add3_u32 v11, v8, v7, v9
	s_delay_alu instid0(VALU_DEP_1) | instskip(SKIP_1) | instid1(VALU_DEP_1)
	v_mov_b32_dpp v13, v11 row_shr:1 row_mask:0xf bank_mask:0xf
	v_and_b32_e32 v12, 15, v10
	v_cmp_ne_u32_e32 vcc_lo, 0, v12
	s_delay_alu instid0(VALU_DEP_3) | instskip(SKIP_1) | instid1(VALU_DEP_2)
	v_cndmask_b32_e32 v13, 0, v13, vcc_lo
	v_cmp_lt_u32_e32 vcc_lo, 1, v12
	v_add_nc_u32_e32 v11, v13, v11
	s_delay_alu instid0(VALU_DEP_1) | instskip(NEXT) | instid1(VALU_DEP_1)
	v_mov_b32_dpp v13, v11 row_shr:2 row_mask:0xf bank_mask:0xf
	v_cndmask_b32_e32 v13, 0, v13, vcc_lo
	v_cmp_lt_u32_e32 vcc_lo, 3, v12
	s_delay_alu instid0(VALU_DEP_2) | instskip(NEXT) | instid1(VALU_DEP_1)
	v_add_nc_u32_e32 v11, v11, v13
	v_mov_b32_dpp v13, v11 row_shr:4 row_mask:0xf bank_mask:0xf
	s_delay_alu instid0(VALU_DEP_1) | instskip(SKIP_1) | instid1(VALU_DEP_2)
	v_cndmask_b32_e32 v13, 0, v13, vcc_lo
	v_cmp_lt_u32_e32 vcc_lo, 7, v12
	v_add_nc_u32_e32 v11, v11, v13
	s_delay_alu instid0(VALU_DEP_1) | instskip(NEXT) | instid1(VALU_DEP_1)
	v_mov_b32_dpp v13, v11 row_shr:8 row_mask:0xf bank_mask:0xf
	v_cndmask_b32_e32 v12, 0, v13, vcc_lo
	v_bfe_i32 v13, v10, 4, 1
	s_delay_alu instid0(VALU_DEP_2) | instskip(SKIP_4) | instid1(VALU_DEP_2)
	v_add_nc_u32_e32 v11, v11, v12
	ds_swizzle_b32 v12, v11 offset:swizzle(BROADCAST,32,15)
	s_waitcnt lgkmcnt(0)
	v_and_b32_e32 v13, v13, v12
	v_lshrrev_b32_e32 v12, 5, v0
	v_add_nc_u32_e32 v11, v11, v13
	v_cmpx_eq_u32_e64 v14, v0
	s_cbranch_execz .LBB185_2
; %bb.1:
	s_delay_alu instid0(VALU_DEP_3)
	v_lshlrev_b32_e32 v13, 2, v12
	ds_store_b32 v13, v11
.LBB185_2:
	s_or_b32 exec_lo, exec_lo, s0
	s_delay_alu instid0(SALU_CYCLE_1)
	s_mov_b32 s0, exec_lo
	s_waitcnt lgkmcnt(0)
	s_barrier
	buffer_gl0_inv
	v_cmpx_gt_u32_e32 8, v0
	s_cbranch_execz .LBB185_4
; %bb.3:
	v_lshlrev_b32_e32 v13, 2, v0
	ds_load_b32 v14, v13
	s_waitcnt lgkmcnt(0)
	v_mov_b32_dpp v16, v14 row_shr:1 row_mask:0xf bank_mask:0xf
	v_and_b32_e32 v15, 7, v10
	s_delay_alu instid0(VALU_DEP_1) | instskip(NEXT) | instid1(VALU_DEP_3)
	v_cmp_ne_u32_e32 vcc_lo, 0, v15
	v_cndmask_b32_e32 v16, 0, v16, vcc_lo
	v_cmp_lt_u32_e32 vcc_lo, 1, v15
	s_delay_alu instid0(VALU_DEP_2) | instskip(NEXT) | instid1(VALU_DEP_1)
	v_add_nc_u32_e32 v14, v16, v14
	v_mov_b32_dpp v16, v14 row_shr:2 row_mask:0xf bank_mask:0xf
	s_delay_alu instid0(VALU_DEP_1) | instskip(SKIP_1) | instid1(VALU_DEP_2)
	v_cndmask_b32_e32 v16, 0, v16, vcc_lo
	v_cmp_lt_u32_e32 vcc_lo, 3, v15
	v_add_nc_u32_e32 v14, v14, v16
	s_delay_alu instid0(VALU_DEP_1) | instskip(NEXT) | instid1(VALU_DEP_1)
	v_mov_b32_dpp v16, v14 row_shr:4 row_mask:0xf bank_mask:0xf
	v_cndmask_b32_e32 v15, 0, v16, vcc_lo
	s_delay_alu instid0(VALU_DEP_1)
	v_add_nc_u32_e32 v14, v14, v15
	ds_store_b32 v13, v14
.LBB185_4:
	s_or_b32 exec_lo, exec_lo, s0
	s_delay_alu instid0(SALU_CYCLE_1)
	s_mov_b32 s0, exec_lo
	s_waitcnt lgkmcnt(0)
	s_barrier
	buffer_gl0_inv
                                        ; implicit-def: $vgpr13
	v_cmpx_lt_u32_e32 31, v0
	s_cbranch_execz .LBB185_6
; %bb.5:
	v_lshl_add_u32 v12, v12, 2, -4
	ds_load_b32 v13, v12
	s_waitcnt lgkmcnt(0)
	v_add_nc_u32_e32 v11, v13, v11
.LBB185_6:
	s_or_b32 exec_lo, exec_lo, s0
	v_add_nc_u32_e32 v12, -1, v10
	s_delay_alu instid0(VALU_DEP_1) | instskip(SKIP_2) | instid1(VALU_DEP_2)
	v_cmp_gt_i32_e32 vcc_lo, 0, v12
	v_cndmask_b32_e32 v12, v12, v10, vcc_lo
	v_cmp_eq_u32_e32 vcc_lo, 0, v10
	v_lshlrev_b32_e32 v12, 2, v12
	ds_bpermute_b32 v11, v12, v11
	s_waitcnt lgkmcnt(0)
	v_cndmask_b32_e32 v10, v11, v13, vcc_lo
	v_cmp_ne_u32_e32 vcc_lo, 0, v0
	s_delay_alu instid0(VALU_DEP_2) | instskip(NEXT) | instid1(VALU_DEP_1)
	v_cndmask_b32_e32 v0, 0, v10, vcc_lo
	v_add_nc_u32_e32 v0, v0, v7
	s_delay_alu instid0(VALU_DEP_1) | instskip(NEXT) | instid1(VALU_DEP_1)
	v_add_nc_u32_e32 v7, v0, v8
	v_add_nc_u32_e32 v8, v7, v9
	s_clause 0x2
	global_store_b32 v[1:2], v0, off
	global_store_b32 v[3:4], v7, off
	;; [unrolled: 1-line block ×3, first 2 shown]
	s_nop 0
	s_sendmsg sendmsg(MSG_DEALLOC_VGPRS)
	s_endpgm
	.section	.rodata,"a",@progbits
	.p2align	6, 0x0
	.amdhsa_kernel _Z27inclusive_scan_array_kernelILj256ELj3ELN6hipcub18BlockScanAlgorithmE0EjEvPT2_
		.amdhsa_group_segment_fixed_size 32
		.amdhsa_private_segment_fixed_size 0
		.amdhsa_kernarg_size 8
		.amdhsa_user_sgpr_count 15
		.amdhsa_user_sgpr_dispatch_ptr 0
		.amdhsa_user_sgpr_queue_ptr 0
		.amdhsa_user_sgpr_kernarg_segment_ptr 1
		.amdhsa_user_sgpr_dispatch_id 0
		.amdhsa_user_sgpr_private_segment_size 0
		.amdhsa_wavefront_size32 1
		.amdhsa_uses_dynamic_stack 0
		.amdhsa_enable_private_segment 0
		.amdhsa_system_sgpr_workgroup_id_x 1
		.amdhsa_system_sgpr_workgroup_id_y 0
		.amdhsa_system_sgpr_workgroup_id_z 0
		.amdhsa_system_sgpr_workgroup_info 0
		.amdhsa_system_vgpr_workitem_id 0
		.amdhsa_next_free_vgpr 17
		.amdhsa_next_free_sgpr 16
		.amdhsa_reserve_vcc 1
		.amdhsa_float_round_mode_32 0
		.amdhsa_float_round_mode_16_64 0
		.amdhsa_float_denorm_mode_32 3
		.amdhsa_float_denorm_mode_16_64 3
		.amdhsa_dx10_clamp 1
		.amdhsa_ieee_mode 1
		.amdhsa_fp16_overflow 0
		.amdhsa_workgroup_processor_mode 1
		.amdhsa_memory_ordered 1
		.amdhsa_forward_progress 0
		.amdhsa_shared_vgpr_count 0
		.amdhsa_exception_fp_ieee_invalid_op 0
		.amdhsa_exception_fp_denorm_src 0
		.amdhsa_exception_fp_ieee_div_zero 0
		.amdhsa_exception_fp_ieee_overflow 0
		.amdhsa_exception_fp_ieee_underflow 0
		.amdhsa_exception_fp_ieee_inexact 0
		.amdhsa_exception_int_div_zero 0
	.end_amdhsa_kernel
	.section	.text._Z27inclusive_scan_array_kernelILj256ELj3ELN6hipcub18BlockScanAlgorithmE0EjEvPT2_,"axG",@progbits,_Z27inclusive_scan_array_kernelILj256ELj3ELN6hipcub18BlockScanAlgorithmE0EjEvPT2_,comdat
.Lfunc_end185:
	.size	_Z27inclusive_scan_array_kernelILj256ELj3ELN6hipcub18BlockScanAlgorithmE0EjEvPT2_, .Lfunc_end185-_Z27inclusive_scan_array_kernelILj256ELj3ELN6hipcub18BlockScanAlgorithmE0EjEvPT2_
                                        ; -- End function
	.section	.AMDGPU.csdata,"",@progbits
; Kernel info:
; codeLenInByte = 664
; NumSgprs: 18
; NumVgprs: 17
; ScratchSize: 0
; MemoryBound: 0
; FloatMode: 240
; IeeeMode: 1
; LDSByteSize: 32 bytes/workgroup (compile time only)
; SGPRBlocks: 2
; VGPRBlocks: 2
; NumSGPRsForWavesPerEU: 18
; NumVGPRsForWavesPerEU: 17
; Occupancy: 16
; WaveLimiterHint : 0
; COMPUTE_PGM_RSRC2:SCRATCH_EN: 0
; COMPUTE_PGM_RSRC2:USER_SGPR: 15
; COMPUTE_PGM_RSRC2:TRAP_HANDLER: 0
; COMPUTE_PGM_RSRC2:TGID_X_EN: 1
; COMPUTE_PGM_RSRC2:TGID_Y_EN: 0
; COMPUTE_PGM_RSRC2:TGID_Z_EN: 0
; COMPUTE_PGM_RSRC2:TIDIG_COMP_CNT: 0
	.section	.text._Z27inclusive_scan_array_kernelILj32ELj2ELN6hipcub18BlockScanAlgorithmE0EfEvPT2_,"axG",@progbits,_Z27inclusive_scan_array_kernelILj32ELj2ELN6hipcub18BlockScanAlgorithmE0EfEvPT2_,comdat
	.protected	_Z27inclusive_scan_array_kernelILj32ELj2ELN6hipcub18BlockScanAlgorithmE0EfEvPT2_ ; -- Begin function _Z27inclusive_scan_array_kernelILj32ELj2ELN6hipcub18BlockScanAlgorithmE0EfEvPT2_
	.globl	_Z27inclusive_scan_array_kernelILj32ELj2ELN6hipcub18BlockScanAlgorithmE0EfEvPT2_
	.p2align	8
	.type	_Z27inclusive_scan_array_kernelILj32ELj2ELN6hipcub18BlockScanAlgorithmE0EfEvPT2_,@function
_Z27inclusive_scan_array_kernelILj32ELj2ELN6hipcub18BlockScanAlgorithmE0EfEvPT2_: ; @_Z27inclusive_scan_array_kernelILj32ELj2ELN6hipcub18BlockScanAlgorithmE0EfEvPT2_
; %bb.0:
	s_load_b64 s[0:1], s[0:1], 0x0
	v_lshlrev_b32_e32 v1, 1, v0
	v_mov_b32_e32 v5, 0
	v_mbcnt_lo_u32_b32 v6, -1, 0
	s_delay_alu instid0(VALU_DEP_3) | instskip(NEXT) | instid1(VALU_DEP_2)
	v_lshl_or_b32 v4, s15, 6, v1
	v_and_b32_e32 v9, 15, v6
	s_delay_alu instid0(VALU_DEP_2) | instskip(SKIP_1) | instid1(VALU_DEP_1)
	v_lshlrev_b64 v[1:2], 2, v[4:5]
	s_waitcnt lgkmcnt(0)
	v_add_co_u32 v1, vcc_lo, s0, v1
	s_delay_alu instid0(VALU_DEP_2)
	v_add_co_ci_u32_e32 v2, vcc_lo, s1, v2, vcc_lo
	v_cmp_eq_u32_e32 vcc_lo, 0, v9
	s_mov_b32 s0, exec_lo
	global_load_b64 v[3:4], v[1:2], off
	s_waitcnt vmcnt(0)
	v_add_f32_e32 v7, v3, v4
	s_delay_alu instid0(VALU_DEP_1) | instskip(NEXT) | instid1(VALU_DEP_1)
	v_mov_b32_dpp v8, v7 row_shr:1 row_mask:0xf bank_mask:0xf
	v_add_f32_e32 v8, v7, v8
	s_delay_alu instid0(VALU_DEP_1) | instskip(NEXT) | instid1(VALU_DEP_1)
	v_cndmask_b32_e32 v7, v8, v7, vcc_lo
	v_mov_b32_dpp v8, v7 row_shr:2 row_mask:0xf bank_mask:0xf
	s_delay_alu instid0(VALU_DEP_1) | instskip(SKIP_1) | instid1(VALU_DEP_2)
	v_add_f32_e32 v8, v7, v8
	v_cmp_lt_u32_e32 vcc_lo, 1, v9
	v_cndmask_b32_e32 v7, v7, v8, vcc_lo
	v_cmp_lt_u32_e32 vcc_lo, 3, v9
	s_delay_alu instid0(VALU_DEP_2) | instskip(NEXT) | instid1(VALU_DEP_1)
	v_mov_b32_dpp v8, v7 row_shr:4 row_mask:0xf bank_mask:0xf
	v_add_f32_e32 v8, v7, v8
	s_delay_alu instid0(VALU_DEP_1) | instskip(SKIP_2) | instid1(VALU_DEP_3)
	v_cndmask_b32_e32 v7, v7, v8, vcc_lo
	v_cmp_lt_u32_e32 vcc_lo, 7, v9
	v_and_b32_e32 v9, 16, v6
	v_mov_b32_dpp v8, v7 row_shr:8 row_mask:0xf bank_mask:0xf
	s_delay_alu instid0(VALU_DEP_1) | instskip(NEXT) | instid1(VALU_DEP_1)
	v_add_f32_e32 v8, v7, v8
	v_cndmask_b32_e32 v7, v7, v8, vcc_lo
	s_delay_alu instid0(VALU_DEP_4) | instskip(SKIP_3) | instid1(VALU_DEP_1)
	v_cmp_eq_u32_e32 vcc_lo, 0, v9
	ds_swizzle_b32 v8, v7 offset:swizzle(BROADCAST,32,15)
	s_waitcnt lgkmcnt(0)
	v_add_f32_e32 v8, v7, v8
	v_cndmask_b32_e32 v7, v8, v7, vcc_lo
	v_cmpx_eq_u32_e32 31, v0
	s_cbranch_execz .LBB186_2
; %bb.1:
	ds_store_b32 v5, v7
.LBB186_2:
	s_or_b32 exec_lo, exec_lo, s0
	v_add_nc_u32_e32 v5, -1, v6
	s_waitcnt vmcnt(0) lgkmcnt(0)
	s_waitcnt_vscnt null, 0x0
	; wave barrier
	s_waitcnt lgkmcnt(0)
	buffer_gl0_inv
	v_cmp_gt_i32_e32 vcc_lo, 0, v5
	v_cndmask_b32_e32 v5, v5, v6, vcc_lo
	v_cmp_eq_u32_e32 vcc_lo, 0, v0
	s_delay_alu instid0(VALU_DEP_2) | instskip(SKIP_3) | instid1(VALU_DEP_1)
	v_lshlrev_b32_e32 v5, 2, v5
	ds_bpermute_b32 v5, v5, v7
	s_waitcnt lgkmcnt(0)
	v_add_f32_e32 v5, v3, v5
	v_cndmask_b32_e32 v3, v5, v3, vcc_lo
	s_delay_alu instid0(VALU_DEP_1)
	v_add_f32_e32 v4, v4, v3
	global_store_b64 v[1:2], v[3:4], off
	s_nop 0
	s_sendmsg sendmsg(MSG_DEALLOC_VGPRS)
	s_endpgm
	.section	.rodata,"a",@progbits
	.p2align	6, 0x0
	.amdhsa_kernel _Z27inclusive_scan_array_kernelILj32ELj2ELN6hipcub18BlockScanAlgorithmE0EfEvPT2_
		.amdhsa_group_segment_fixed_size 4
		.amdhsa_private_segment_fixed_size 0
		.amdhsa_kernarg_size 8
		.amdhsa_user_sgpr_count 15
		.amdhsa_user_sgpr_dispatch_ptr 0
		.amdhsa_user_sgpr_queue_ptr 0
		.amdhsa_user_sgpr_kernarg_segment_ptr 1
		.amdhsa_user_sgpr_dispatch_id 0
		.amdhsa_user_sgpr_private_segment_size 0
		.amdhsa_wavefront_size32 1
		.amdhsa_uses_dynamic_stack 0
		.amdhsa_enable_private_segment 0
		.amdhsa_system_sgpr_workgroup_id_x 1
		.amdhsa_system_sgpr_workgroup_id_y 0
		.amdhsa_system_sgpr_workgroup_id_z 0
		.amdhsa_system_sgpr_workgroup_info 0
		.amdhsa_system_vgpr_workitem_id 0
		.amdhsa_next_free_vgpr 10
		.amdhsa_next_free_sgpr 16
		.amdhsa_reserve_vcc 1
		.amdhsa_float_round_mode_32 0
		.amdhsa_float_round_mode_16_64 0
		.amdhsa_float_denorm_mode_32 3
		.amdhsa_float_denorm_mode_16_64 3
		.amdhsa_dx10_clamp 1
		.amdhsa_ieee_mode 1
		.amdhsa_fp16_overflow 0
		.amdhsa_workgroup_processor_mode 1
		.amdhsa_memory_ordered 1
		.amdhsa_forward_progress 0
		.amdhsa_shared_vgpr_count 0
		.amdhsa_exception_fp_ieee_invalid_op 0
		.amdhsa_exception_fp_denorm_src 0
		.amdhsa_exception_fp_ieee_div_zero 0
		.amdhsa_exception_fp_ieee_overflow 0
		.amdhsa_exception_fp_ieee_underflow 0
		.amdhsa_exception_fp_ieee_inexact 0
		.amdhsa_exception_int_div_zero 0
	.end_amdhsa_kernel
	.section	.text._Z27inclusive_scan_array_kernelILj32ELj2ELN6hipcub18BlockScanAlgorithmE0EfEvPT2_,"axG",@progbits,_Z27inclusive_scan_array_kernelILj32ELj2ELN6hipcub18BlockScanAlgorithmE0EfEvPT2_,comdat
.Lfunc_end186:
	.size	_Z27inclusive_scan_array_kernelILj32ELj2ELN6hipcub18BlockScanAlgorithmE0EfEvPT2_, .Lfunc_end186-_Z27inclusive_scan_array_kernelILj32ELj2ELN6hipcub18BlockScanAlgorithmE0EfEvPT2_
                                        ; -- End function
	.section	.AMDGPU.csdata,"",@progbits
; Kernel info:
; codeLenInByte = 340
; NumSgprs: 18
; NumVgprs: 10
; ScratchSize: 0
; MemoryBound: 0
; FloatMode: 240
; IeeeMode: 1
; LDSByteSize: 4 bytes/workgroup (compile time only)
; SGPRBlocks: 2
; VGPRBlocks: 1
; NumSGPRsForWavesPerEU: 18
; NumVGPRsForWavesPerEU: 10
; Occupancy: 16
; WaveLimiterHint : 0
; COMPUTE_PGM_RSRC2:SCRATCH_EN: 0
; COMPUTE_PGM_RSRC2:USER_SGPR: 15
; COMPUTE_PGM_RSRC2:TRAP_HANDLER: 0
; COMPUTE_PGM_RSRC2:TGID_X_EN: 1
; COMPUTE_PGM_RSRC2:TGID_Y_EN: 0
; COMPUTE_PGM_RSRC2:TGID_Z_EN: 0
; COMPUTE_PGM_RSRC2:TIDIG_COMP_CNT: 0
	.section	.text._Z27inclusive_scan_array_kernelILj6ELj32ELN6hipcub18BlockScanAlgorithmE0EfEvPT2_,"axG",@progbits,_Z27inclusive_scan_array_kernelILj6ELj32ELN6hipcub18BlockScanAlgorithmE0EfEvPT2_,comdat
	.protected	_Z27inclusive_scan_array_kernelILj6ELj32ELN6hipcub18BlockScanAlgorithmE0EfEvPT2_ ; -- Begin function _Z27inclusive_scan_array_kernelILj6ELj32ELN6hipcub18BlockScanAlgorithmE0EfEvPT2_
	.globl	_Z27inclusive_scan_array_kernelILj6ELj32ELN6hipcub18BlockScanAlgorithmE0EfEvPT2_
	.p2align	8
	.type	_Z27inclusive_scan_array_kernelILj6ELj32ELN6hipcub18BlockScanAlgorithmE0EfEvPT2_,@function
_Z27inclusive_scan_array_kernelILj6ELj32ELN6hipcub18BlockScanAlgorithmE0EfEvPT2_: ; @_Z27inclusive_scan_array_kernelILj6ELj32ELN6hipcub18BlockScanAlgorithmE0EfEvPT2_
; %bb.0:
	s_load_b64 s[0:1], s[0:1], 0x0
	s_mul_i32 s15, s15, 6
	v_mov_b32_e32 v35, 0
	v_add_lshl_u32 v34, s15, v0, 5
	s_delay_alu instid0(VALU_DEP_1) | instskip(SKIP_1) | instid1(VALU_DEP_1)
	v_lshlrev_b64 v[1:2], 2, v[34:35]
	s_waitcnt lgkmcnt(0)
	v_add_co_u32 v33, vcc_lo, s0, v1
	s_delay_alu instid0(VALU_DEP_2)
	v_add_co_ci_u32_e32 v34, vcc_lo, s1, v2, vcc_lo
	s_mov_b32 s0, exec_lo
	s_clause 0x7
	global_load_b128 v[29:32], v[33:34], off
	global_load_b128 v[25:28], v[33:34], off offset:16
	global_load_b128 v[21:24], v[33:34], off offset:32
	;; [unrolled: 1-line block ×7, first 2 shown]
	s_waitcnt vmcnt(7)
	v_add_f32_e32 v36, v29, v30
	s_delay_alu instid0(VALU_DEP_1) | instskip(NEXT) | instid1(VALU_DEP_1)
	v_add_f32_e32 v36, v36, v31
	v_add_f32_e32 v36, v36, v32
	s_waitcnt vmcnt(6)
	s_delay_alu instid0(VALU_DEP_1) | instskip(NEXT) | instid1(VALU_DEP_1)
	v_add_f32_e32 v36, v36, v25
	v_add_f32_e32 v36, v36, v26
	s_delay_alu instid0(VALU_DEP_1) | instskip(NEXT) | instid1(VALU_DEP_1)
	v_add_f32_e32 v36, v36, v27
	v_add_f32_e32 v36, v36, v28
	s_waitcnt vmcnt(5)
	s_delay_alu instid0(VALU_DEP_1) | instskip(NEXT) | instid1(VALU_DEP_1)
	v_add_f32_e32 v36, v36, v21
	;; [unrolled: 7-line block ×7, first 2 shown]
	v_add_f32_e32 v36, v36, v2
	s_delay_alu instid0(VALU_DEP_1) | instskip(NEXT) | instid1(VALU_DEP_1)
	v_add_f32_e32 v36, v36, v3
	v_add_f32_e32 v37, v36, v4
	v_mbcnt_lo_u32_b32 v36, -1, 0
	s_delay_alu instid0(VALU_DEP_2) | instskip(NEXT) | instid1(VALU_DEP_1)
	v_mov_b32_dpp v38, v37 row_shr:1 row_mask:0xf bank_mask:0xf
	v_dual_add_f32 v38, v37, v38 :: v_dual_and_b32 v39, 7, v36
	s_delay_alu instid0(VALU_DEP_1) | instskip(NEXT) | instid1(VALU_DEP_2)
	v_cmp_eq_u32_e32 vcc_lo, 0, v39
	v_cndmask_b32_e32 v37, v38, v37, vcc_lo
	v_cmp_lt_u32_e32 vcc_lo, 1, v39
	s_delay_alu instid0(VALU_DEP_2) | instskip(NEXT) | instid1(VALU_DEP_1)
	v_mov_b32_dpp v38, v37 row_shr:2 row_mask:0xf bank_mask:0xf
	v_add_f32_e32 v38, v37, v38
	s_delay_alu instid0(VALU_DEP_1) | instskip(SKIP_1) | instid1(VALU_DEP_2)
	v_cndmask_b32_e32 v37, v37, v38, vcc_lo
	v_cmp_lt_u32_e32 vcc_lo, 3, v39
	v_mov_b32_dpp v38, v37 row_shr:4 row_mask:0xf bank_mask:0xf
	s_delay_alu instid0(VALU_DEP_1) | instskip(NEXT) | instid1(VALU_DEP_1)
	v_add_f32_e32 v38, v37, v38
	v_cndmask_b32_e32 v37, v37, v38, vcc_lo
	v_cmpx_eq_u32_e32 5, v0
	s_cbranch_execz .LBB187_2
; %bb.1:
	ds_store_b32 v35, v37
.LBB187_2:
	s_or_b32 exec_lo, exec_lo, s0
	v_add_nc_u32_e32 v35, -1, v36
	v_and_b32_e32 v38, 24, v36
	s_waitcnt vmcnt(0) lgkmcnt(0)
	s_waitcnt_vscnt null, 0x0
	; wave barrier
	s_waitcnt lgkmcnt(0)
	buffer_gl0_inv
	v_cmp_lt_i32_e32 vcc_lo, v35, v38
	v_cndmask_b32_e32 v35, v35, v36, vcc_lo
	v_cmp_eq_u32_e32 vcc_lo, 0, v0
	s_delay_alu instid0(VALU_DEP_2) | instskip(SKIP_3) | instid1(VALU_DEP_1)
	v_lshlrev_b32_e32 v35, 2, v35
	ds_bpermute_b32 v35, v35, v37
	s_waitcnt lgkmcnt(0)
	v_add_f32_e32 v35, v29, v35
	v_cndmask_b32_e32 v29, v35, v29, vcc_lo
	s_delay_alu instid0(VALU_DEP_1) | instskip(NEXT) | instid1(VALU_DEP_1)
	v_add_f32_e32 v30, v29, v30
	v_add_f32_e32 v31, v30, v31
	s_delay_alu instid0(VALU_DEP_1) | instskip(NEXT) | instid1(VALU_DEP_1)
	v_add_f32_e32 v32, v31, v32
	v_add_f32_e32 v25, v32, v25
	;; [unrolled: 3-line block ×6, first 2 shown]
	s_delay_alu instid0(VALU_DEP_1) | instskip(SKIP_4) | instid1(VALU_DEP_1)
	v_add_f32_e32 v14, v13, v14
	s_clause 0x1
	global_store_b128 v[33:34], v[29:32], off
	global_store_b128 v[33:34], v[25:28], off offset:16
	v_add_f32_e32 v15, v14, v15
	v_add_f32_e32 v16, v15, v16
	s_delay_alu instid0(VALU_DEP_1) | instskip(NEXT) | instid1(VALU_DEP_1)
	v_add_f32_e32 v17, v16, v17
	v_add_f32_e32 v18, v17, v18
	s_delay_alu instid0(VALU_DEP_1) | instskip(NEXT) | instid1(VALU_DEP_1)
	;; [unrolled: 3-line block ×8, first 2 shown]
	v_add_f32_e32 v2, v1, v3
	v_add_f32_e32 v3, v2, v4
	s_clause 0x5
	global_store_b128 v[33:34], v[21:24], off offset:32
	global_store_b128 v[33:34], v[13:16], off offset:48
	;; [unrolled: 1-line block ×6, first 2 shown]
	s_nop 0
	s_sendmsg sendmsg(MSG_DEALLOC_VGPRS)
	s_endpgm
	.section	.rodata,"a",@progbits
	.p2align	6, 0x0
	.amdhsa_kernel _Z27inclusive_scan_array_kernelILj6ELj32ELN6hipcub18BlockScanAlgorithmE0EfEvPT2_
		.amdhsa_group_segment_fixed_size 4
		.amdhsa_private_segment_fixed_size 0
		.amdhsa_kernarg_size 8
		.amdhsa_user_sgpr_count 15
		.amdhsa_user_sgpr_dispatch_ptr 0
		.amdhsa_user_sgpr_queue_ptr 0
		.amdhsa_user_sgpr_kernarg_segment_ptr 1
		.amdhsa_user_sgpr_dispatch_id 0
		.amdhsa_user_sgpr_private_segment_size 0
		.amdhsa_wavefront_size32 1
		.amdhsa_uses_dynamic_stack 0
		.amdhsa_enable_private_segment 0
		.amdhsa_system_sgpr_workgroup_id_x 1
		.amdhsa_system_sgpr_workgroup_id_y 0
		.amdhsa_system_sgpr_workgroup_id_z 0
		.amdhsa_system_sgpr_workgroup_info 0
		.amdhsa_system_vgpr_workitem_id 0
		.amdhsa_next_free_vgpr 40
		.amdhsa_next_free_sgpr 16
		.amdhsa_reserve_vcc 1
		.amdhsa_float_round_mode_32 0
		.amdhsa_float_round_mode_16_64 0
		.amdhsa_float_denorm_mode_32 3
		.amdhsa_float_denorm_mode_16_64 3
		.amdhsa_dx10_clamp 1
		.amdhsa_ieee_mode 1
		.amdhsa_fp16_overflow 0
		.amdhsa_workgroup_processor_mode 1
		.amdhsa_memory_ordered 1
		.amdhsa_forward_progress 0
		.amdhsa_shared_vgpr_count 0
		.amdhsa_exception_fp_ieee_invalid_op 0
		.amdhsa_exception_fp_denorm_src 0
		.amdhsa_exception_fp_ieee_div_zero 0
		.amdhsa_exception_fp_ieee_overflow 0
		.amdhsa_exception_fp_ieee_underflow 0
		.amdhsa_exception_fp_ieee_inexact 0
		.amdhsa_exception_int_div_zero 0
	.end_amdhsa_kernel
	.section	.text._Z27inclusive_scan_array_kernelILj6ELj32ELN6hipcub18BlockScanAlgorithmE0EfEvPT2_,"axG",@progbits,_Z27inclusive_scan_array_kernelILj6ELj32ELN6hipcub18BlockScanAlgorithmE0EfEvPT2_,comdat
.Lfunc_end187:
	.size	_Z27inclusive_scan_array_kernelILj6ELj32ELN6hipcub18BlockScanAlgorithmE0EfEvPT2_, .Lfunc_end187-_Z27inclusive_scan_array_kernelILj6ELj32ELN6hipcub18BlockScanAlgorithmE0EfEvPT2_
                                        ; -- End function
	.section	.AMDGPU.csdata,"",@progbits
; Kernel info:
; codeLenInByte = 792
; NumSgprs: 18
; NumVgprs: 40
; ScratchSize: 0
; MemoryBound: 0
; FloatMode: 240
; IeeeMode: 1
; LDSByteSize: 4 bytes/workgroup (compile time only)
; SGPRBlocks: 2
; VGPRBlocks: 4
; NumSGPRsForWavesPerEU: 18
; NumVGPRsForWavesPerEU: 40
; Occupancy: 16
; WaveLimiterHint : 0
; COMPUTE_PGM_RSRC2:SCRATCH_EN: 0
; COMPUTE_PGM_RSRC2:USER_SGPR: 15
; COMPUTE_PGM_RSRC2:TRAP_HANDLER: 0
; COMPUTE_PGM_RSRC2:TGID_X_EN: 1
; COMPUTE_PGM_RSRC2:TGID_Y_EN: 0
; COMPUTE_PGM_RSRC2:TGID_Z_EN: 0
; COMPUTE_PGM_RSRC2:TIDIG_COMP_CNT: 0
	.section	.text._Z34inclusive_scan_reduce_array_kernelILj16ELj5ELN6hipcub18BlockScanAlgorithmE1E12hip_bfloat16EvPT2_S4_,"axG",@progbits,_Z34inclusive_scan_reduce_array_kernelILj16ELj5ELN6hipcub18BlockScanAlgorithmE1E12hip_bfloat16EvPT2_S4_,comdat
	.protected	_Z34inclusive_scan_reduce_array_kernelILj16ELj5ELN6hipcub18BlockScanAlgorithmE1E12hip_bfloat16EvPT2_S4_ ; -- Begin function _Z34inclusive_scan_reduce_array_kernelILj16ELj5ELN6hipcub18BlockScanAlgorithmE1E12hip_bfloat16EvPT2_S4_
	.globl	_Z34inclusive_scan_reduce_array_kernelILj16ELj5ELN6hipcub18BlockScanAlgorithmE1E12hip_bfloat16EvPT2_S4_
	.p2align	8
	.type	_Z34inclusive_scan_reduce_array_kernelILj16ELj5ELN6hipcub18BlockScanAlgorithmE1E12hip_bfloat16EvPT2_S4_,@function
_Z34inclusive_scan_reduce_array_kernelILj16ELj5ELN6hipcub18BlockScanAlgorithmE1E12hip_bfloat16EvPT2_S4_: ; @_Z34inclusive_scan_reduce_array_kernelILj16ELj5ELN6hipcub18BlockScanAlgorithmE1E12hip_bfloat16EvPT2_S4_
; %bb.0:
	s_mov_b32 s4, s15
	s_load_b128 s[0:3], s[0:1], 0x0
	v_lshl_or_b32 v1, s4, 4, v0
	s_delay_alu instid0(VALU_DEP_1) | instskip(SKIP_1) | instid1(VALU_DEP_2)
	v_lshl_add_u32 v8, v1, 2, v1
	v_mov_b32_e32 v9, 0
	v_add_nc_u32_e32 v1, 1, v8
	s_delay_alu instid0(VALU_DEP_2)
	v_lshlrev_b64 v[10:11], 1, v[8:9]
	v_add_nc_u32_e32 v15, 2, v8
	v_add_nc_u32_e32 v3, 3, v8
	;; [unrolled: 1-line block ×3, first 2 shown]
	v_mov_b32_e32 v2, v9
	v_mov_b32_e32 v4, v9
	;; [unrolled: 1-line block ×3, first 2 shown]
	s_delay_alu instid0(VALU_DEP_4) | instskip(NEXT) | instid1(VALU_DEP_4)
	v_lshlrev_b64 v[5:6], 1, v[8:9]
	v_lshlrev_b64 v[1:2], 1, v[1:2]
	s_delay_alu instid0(VALU_DEP_4) | instskip(SKIP_1) | instid1(VALU_DEP_2)
	v_lshlrev_b64 v[3:4], 1, v[3:4]
	s_waitcnt lgkmcnt(0)
	v_add_co_u32 v1, vcc_lo, s0, v1
	s_delay_alu instid0(VALU_DEP_3) | instskip(NEXT) | instid1(VALU_DEP_3)
	v_add_co_ci_u32_e32 v2, vcc_lo, s1, v2, vcc_lo
	v_add_co_u32 v3, vcc_lo, s0, v3
	s_delay_alu instid0(VALU_DEP_4)
	v_add_co_ci_u32_e32 v4, vcc_lo, s1, v4, vcc_lo
	v_add_co_u32 v5, vcc_lo, s0, v5
	v_add_co_ci_u32_e32 v6, vcc_lo, s1, v6, vcc_lo
	v_add_co_u32 v7, vcc_lo, s0, v10
	v_add_co_ci_u32_e32 v8, vcc_lo, s1, v11, vcc_lo
	s_clause 0x3
	global_load_u16 v13, v[3:4], off
	global_load_u16 v14, v[5:6], off
	;; [unrolled: 1-line block ×4, first 2 shown]
	v_lshlrev_b64 v[9:10], 1, v[15:16]
	s_delay_alu instid0(VALU_DEP_1) | instskip(NEXT) | instid1(VALU_DEP_2)
	v_add_co_u32 v9, vcc_lo, s0, v9
	v_add_co_ci_u32_e32 v10, vcc_lo, s1, v10, vcc_lo
	global_load_u16 v12, v[9:10], off
	s_waitcnt vmcnt(2)
	v_lshlrev_b32_e32 v15, 16, v17
	s_waitcnt vmcnt(1)
	v_lshlrev_b32_e32 v17, 16, v11
	s_delay_alu instid0(VALU_DEP_1) | instskip(NEXT) | instid1(VALU_DEP_1)
	v_add_f32_e32 v16, v17, v15
	v_and_b32_e32 v18, 0x7f800000, v16
	s_delay_alu instid0(VALU_DEP_1) | instskip(SKIP_1) | instid1(SALU_CYCLE_1)
	v_cmp_ne_u32_e32 vcc_lo, 0x7f800000, v18
                                        ; implicit-def: $vgpr18
	s_and_saveexec_b32 s0, vcc_lo
	s_xor_b32 s0, exec_lo, s0
; %bb.1:
	v_bfe_u32 v18, v16, 16, 1
	s_delay_alu instid0(VALU_DEP_1)
	v_add3_u32 v18, v16, v18, 0x7fff
; %bb.2:
	s_and_not1_saveexec_b32 s0, s0
; %bb.3:
	v_and_b32_e32 v18, 0xffff, v16
	v_or_b32_e32 v19, 0x10000, v16
	s_delay_alu instid0(VALU_DEP_2) | instskip(NEXT) | instid1(VALU_DEP_2)
	v_cmp_eq_u32_e32 vcc_lo, 0, v18
	v_cndmask_b32_e32 v18, v19, v16, vcc_lo
; %bb.4:
	s_or_b32 exec_lo, exec_lo, s0
	s_delay_alu instid0(VALU_DEP_1) | instskip(SKIP_2) | instid1(VALU_DEP_1)
	v_and_b32_e32 v18, 0xffff0000, v18
	s_waitcnt vmcnt(0)
	v_lshlrev_b32_e32 v12, 16, v12
	v_add_f32_e32 v18, v18, v12
	s_delay_alu instid0(VALU_DEP_1) | instskip(NEXT) | instid1(VALU_DEP_1)
	v_and_b32_e32 v19, 0x7f800000, v18
	v_cmp_ne_u32_e32 vcc_lo, 0x7f800000, v19
                                        ; implicit-def: $vgpr19
	s_and_saveexec_b32 s0, vcc_lo
	s_delay_alu instid0(SALU_CYCLE_1)
	s_xor_b32 s0, exec_lo, s0
; %bb.5:
	v_bfe_u32 v19, v18, 16, 1
	s_delay_alu instid0(VALU_DEP_1)
	v_add3_u32 v19, v18, v19, 0x7fff
                                        ; implicit-def: $vgpr18
; %bb.6:
	s_and_not1_saveexec_b32 s0, s0
; %bb.7:
	v_and_b32_e32 v19, 0xffff, v18
	v_or_b32_e32 v20, 0x10000, v18
	s_delay_alu instid0(VALU_DEP_2) | instskip(NEXT) | instid1(VALU_DEP_2)
	v_cmp_eq_u32_e32 vcc_lo, 0, v19
	v_cndmask_b32_e32 v19, v20, v18, vcc_lo
; %bb.8:
	s_or_b32 exec_lo, exec_lo, s0
	s_delay_alu instid0(VALU_DEP_1) | instskip(SKIP_1) | instid1(VALU_DEP_1)
	v_and_b32_e32 v18, 0xffff0000, v19
	v_lshlrev_b32_e32 v13, 16, v13
	v_add_f32_e32 v18, v18, v13
	s_delay_alu instid0(VALU_DEP_1) | instskip(NEXT) | instid1(VALU_DEP_1)
	v_and_b32_e32 v19, 0x7f800000, v18
	v_cmp_ne_u32_e32 vcc_lo, 0x7f800000, v19
                                        ; implicit-def: $vgpr19
	s_and_saveexec_b32 s0, vcc_lo
	s_delay_alu instid0(SALU_CYCLE_1)
	s_xor_b32 s0, exec_lo, s0
; %bb.9:
	v_bfe_u32 v19, v18, 16, 1
	s_delay_alu instid0(VALU_DEP_1)
	v_add3_u32 v19, v18, v19, 0x7fff
                                        ; implicit-def: $vgpr18
; %bb.10:
	s_and_not1_saveexec_b32 s0, s0
; %bb.11:
	v_and_b32_e32 v19, 0xffff, v18
	v_or_b32_e32 v20, 0x10000, v18
	s_delay_alu instid0(VALU_DEP_2) | instskip(NEXT) | instid1(VALU_DEP_2)
	v_cmp_eq_u32_e32 vcc_lo, 0, v19
	v_cndmask_b32_e32 v19, v20, v18, vcc_lo
; %bb.12:
	s_or_b32 exec_lo, exec_lo, s0
	s_delay_alu instid0(VALU_DEP_1) | instskip(SKIP_1) | instid1(VALU_DEP_1)
	v_and_b32_e32 v18, 0xffff0000, v19
	v_lshlrev_b32_e32 v14, 16, v14
	v_add_f32_e32 v18, v18, v14
	s_delay_alu instid0(VALU_DEP_1) | instskip(NEXT) | instid1(VALU_DEP_1)
	v_and_b32_e32 v19, 0x7f800000, v18
	v_cmp_ne_u32_e32 vcc_lo, 0x7f800000, v19
                                        ; implicit-def: $vgpr19
	s_and_saveexec_b32 s0, vcc_lo
	s_delay_alu instid0(SALU_CYCLE_1)
	s_xor_b32 s0, exec_lo, s0
; %bb.13:
	v_bfe_u32 v19, v18, 16, 1
	s_delay_alu instid0(VALU_DEP_1)
	v_add3_u32 v19, v18, v19, 0x7fff
                                        ; implicit-def: $vgpr18
; %bb.14:
	s_and_not1_saveexec_b32 s0, s0
; %bb.15:
	v_and_b32_e32 v19, 0xffff, v18
	v_or_b32_e32 v20, 0x10000, v18
	s_delay_alu instid0(VALU_DEP_2) | instskip(NEXT) | instid1(VALU_DEP_2)
	v_cmp_eq_u32_e32 vcc_lo, 0, v19
	v_cndmask_b32_e32 v19, v20, v18, vcc_lo
; %bb.16:
	s_or_b32 exec_lo, exec_lo, s0
	s_delay_alu instid0(VALU_DEP_1) | instskip(SKIP_2) | instid1(VALU_DEP_2)
	v_lshrrev_b32_e32 v21, 16, v19
	v_and_b32_e32 v20, 0xffff0000, v19
	s_mov_b32 s0, exec_lo
                                        ; implicit-def: $vgpr22
	v_mov_b32_dpp v18, v21 row_shr:1 row_mask:0xf bank_mask:0xf
	s_delay_alu instid0(VALU_DEP_1) | instskip(NEXT) | instid1(VALU_DEP_1)
	v_lshlrev_b32_e32 v18, 16, v18
	v_add_f32_e32 v18, v20, v18
	s_delay_alu instid0(VALU_DEP_1) | instskip(NEXT) | instid1(VALU_DEP_1)
	v_and_b32_e32 v19, 0x7f800000, v18
	v_cmpx_ne_u32_e32 0x7f800000, v19
	s_xor_b32 s0, exec_lo, s0
; %bb.17:
	v_bfe_u32 v19, v18, 16, 1
	s_delay_alu instid0(VALU_DEP_1)
	v_add3_u32 v22, v18, v19, 0x7fff
                                        ; implicit-def: $vgpr18
; %bb.18:
	s_and_not1_saveexec_b32 s0, s0
; %bb.19:
	v_and_b32_e32 v19, 0xffff, v18
	v_or_b32_e32 v22, 0x10000, v18
	s_delay_alu instid0(VALU_DEP_2) | instskip(NEXT) | instid1(VALU_DEP_2)
	v_cmp_eq_u32_e32 vcc_lo, 0, v19
	v_cndmask_b32_e32 v22, v22, v18, vcc_lo
; %bb.20:
	s_or_b32 exec_lo, exec_lo, s0
	v_mbcnt_lo_u32_b32 v18, -1, 0
	s_delay_alu instid0(VALU_DEP_2) | instskip(SKIP_1) | instid1(VALU_DEP_3)
	v_lshrrev_b32_e32 v23, 16, v22
	v_and_b32_e32 v22, 0xffff0000, v22
	v_and_b32_e32 v19, 15, v18
	s_delay_alu instid0(VALU_DEP_1) | instskip(NEXT) | instid1(VALU_DEP_3)
	v_cmp_eq_u32_e32 vcc_lo, 0, v19
	v_dual_cndmask_b32 v20, v22, v20 :: v_dual_cndmask_b32 v21, v23, v21
	s_delay_alu instid0(VALU_DEP_1) | instskip(NEXT) | instid1(VALU_DEP_1)
	v_mov_b32_dpp v23, v21 row_shr:2 row_mask:0xf bank_mask:0xf
	v_lshlrev_b32_e32 v22, 16, v23
	s_delay_alu instid0(VALU_DEP_1) | instskip(NEXT) | instid1(VALU_DEP_1)
	v_add_f32_e32 v23, v20, v22
	v_and_b32_e32 v22, 0x7f800000, v23
	s_delay_alu instid0(VALU_DEP_1) | instskip(SKIP_1) | instid1(SALU_CYCLE_1)
	v_cmp_ne_u32_e32 vcc_lo, 0x7f800000, v22
                                        ; implicit-def: $vgpr22
	s_and_saveexec_b32 s0, vcc_lo
	s_xor_b32 s0, exec_lo, s0
; %bb.21:
	v_bfe_u32 v22, v23, 16, 1
	s_delay_alu instid0(VALU_DEP_1)
	v_add3_u32 v22, v23, v22, 0x7fff
                                        ; implicit-def: $vgpr23
; %bb.22:
	s_and_not1_saveexec_b32 s0, s0
; %bb.23:
	v_and_b32_e32 v22, 0xffff, v23
	v_or_b32_e32 v24, 0x10000, v23
	s_delay_alu instid0(VALU_DEP_2) | instskip(NEXT) | instid1(VALU_DEP_2)
	v_cmp_eq_u32_e32 vcc_lo, 0, v22
	v_cndmask_b32_e32 v22, v24, v23, vcc_lo
; %bb.24:
	s_or_b32 exec_lo, exec_lo, s0
	s_delay_alu instid0(VALU_DEP_1) | instskip(SKIP_1) | instid1(VALU_DEP_2)
	v_lshrrev_b32_e32 v23, 16, v22
	v_cmp_lt_u32_e32 vcc_lo, 1, v19
	v_dual_cndmask_b32 v21, v21, v23 :: v_dual_and_b32 v22, 0xffff0000, v22
	s_delay_alu instid0(VALU_DEP_1) | instskip(NEXT) | instid1(VALU_DEP_2)
	v_cndmask_b32_e32 v20, v20, v22, vcc_lo
	v_mov_b32_dpp v23, v21 row_shr:4 row_mask:0xf bank_mask:0xf
	s_delay_alu instid0(VALU_DEP_1) | instskip(NEXT) | instid1(VALU_DEP_1)
	v_lshlrev_b32_e32 v22, 16, v23
	v_add_f32_e32 v23, v20, v22
	s_delay_alu instid0(VALU_DEP_1) | instskip(NEXT) | instid1(VALU_DEP_1)
	v_and_b32_e32 v22, 0x7f800000, v23
	v_cmp_ne_u32_e32 vcc_lo, 0x7f800000, v22
                                        ; implicit-def: $vgpr22
	s_and_saveexec_b32 s0, vcc_lo
	s_delay_alu instid0(SALU_CYCLE_1)
	s_xor_b32 s0, exec_lo, s0
; %bb.25:
	v_bfe_u32 v22, v23, 16, 1
	s_delay_alu instid0(VALU_DEP_1)
	v_add3_u32 v22, v23, v22, 0x7fff
                                        ; implicit-def: $vgpr23
; %bb.26:
	s_and_not1_saveexec_b32 s0, s0
; %bb.27:
	v_and_b32_e32 v22, 0xffff, v23
	v_or_b32_e32 v24, 0x10000, v23
	s_delay_alu instid0(VALU_DEP_2) | instskip(NEXT) | instid1(VALU_DEP_2)
	v_cmp_eq_u32_e32 vcc_lo, 0, v22
	v_cndmask_b32_e32 v22, v24, v23, vcc_lo
; %bb.28:
	s_or_b32 exec_lo, exec_lo, s0
	s_delay_alu instid0(VALU_DEP_1) | instskip(SKIP_1) | instid1(VALU_DEP_2)
	v_lshrrev_b32_e32 v23, 16, v22
	v_cmp_lt_u32_e32 vcc_lo, 3, v19
	v_dual_cndmask_b32 v21, v21, v23 :: v_dual_and_b32 v22, 0xffff0000, v22
	s_delay_alu instid0(VALU_DEP_1) | instskip(NEXT) | instid1(VALU_DEP_2)
	v_cndmask_b32_e32 v20, v20, v22, vcc_lo
	v_mov_b32_dpp v23, v21 row_shr:8 row_mask:0xf bank_mask:0xf
	s_delay_alu instid0(VALU_DEP_1) | instskip(NEXT) | instid1(VALU_DEP_1)
	v_lshlrev_b32_e32 v22, 16, v23
	v_add_f32_e32 v20, v20, v22
	s_delay_alu instid0(VALU_DEP_1) | instskip(NEXT) | instid1(VALU_DEP_1)
	v_and_b32_e32 v22, 0x7f800000, v20
	v_cmp_ne_u32_e32 vcc_lo, 0x7f800000, v22
                                        ; implicit-def: $vgpr22
	s_and_saveexec_b32 s0, vcc_lo
	s_delay_alu instid0(SALU_CYCLE_1)
	s_xor_b32 s0, exec_lo, s0
; %bb.29:
	v_bfe_u32 v22, v20, 16, 1
	s_delay_alu instid0(VALU_DEP_1)
	v_add3_u32 v22, v20, v22, 0x7fff
                                        ; implicit-def: $vgpr20
; %bb.30:
	s_and_not1_saveexec_b32 s0, s0
; %bb.31:
	v_and_b32_e32 v22, 0xffff, v20
	v_or_b32_e32 v23, 0x10000, v20
	s_delay_alu instid0(VALU_DEP_2) | instskip(NEXT) | instid1(VALU_DEP_2)
	v_cmp_eq_u32_e32 vcc_lo, 0, v22
	v_cndmask_b32_e32 v22, v23, v20, vcc_lo
; %bb.32:
	s_or_b32 exec_lo, exec_lo, s0
	s_delay_alu instid0(VALU_DEP_1) | instskip(SKIP_2) | instid1(VALU_DEP_2)
	v_lshrrev_b32_e32 v20, 16, v22
	v_cmp_lt_u32_e32 vcc_lo, 7, v19
	s_mov_b32 s0, exec_lo
	v_cndmask_b32_e32 v19, v21, v20, vcc_lo
	v_cmpx_eq_u32_e32 15, v0
	s_cbranch_execz .LBB188_34
; %bb.33:
	v_mov_b32_e32 v20, 0
	ds_store_b16 v20, v19
.LBB188_34:
	s_or_b32 exec_lo, exec_lo, s0
	v_add_nc_u32_e32 v20, -1, v18
	v_and_b32_e32 v21, 16, v18
	s_mov_b32 s1, exec_lo
	s_waitcnt vmcnt(0) lgkmcnt(0)
	s_waitcnt_vscnt null, 0x0
	; wave barrier
	s_waitcnt lgkmcnt(0)
	buffer_gl0_inv
	v_cmp_lt_i32_e32 vcc_lo, v20, v21
	v_cndmask_b32_e32 v18, v20, v18, vcc_lo
	v_cmp_eq_u32_e32 vcc_lo, 0, v0
	s_delay_alu instid0(VALU_DEP_2)
	v_lshlrev_b32_e32 v18, 2, v18
	ds_bpermute_b32 v18, v18, v19
	v_cmpx_ne_u32_e32 0, v0
	s_cbranch_execz .LBB188_40
; %bb.35:
	s_waitcnt lgkmcnt(0)
	v_lshlrev_b32_e32 v0, 16, v18
	s_delay_alu instid0(VALU_DEP_1) | instskip(NEXT) | instid1(VALU_DEP_1)
	v_add_f32_e32 v11, v17, v0
	v_and_b32_e32 v0, 0x7f800000, v11
	s_delay_alu instid0(VALU_DEP_1) | instskip(NEXT) | instid1(VALU_DEP_1)
	v_cmp_ne_u32_e64 s0, 0x7f800000, v0
                                        ; implicit-def: $vgpr0
	s_and_saveexec_b32 s5, s0
	s_delay_alu instid0(SALU_CYCLE_1)
	s_xor_b32 s0, exec_lo, s5
; %bb.36:
	v_bfe_u32 v0, v11, 16, 1
	s_delay_alu instid0(VALU_DEP_1)
	v_add3_u32 v0, v11, v0, 0x7fff
                                        ; implicit-def: $vgpr11
; %bb.37:
	s_and_not1_saveexec_b32 s5, s0
; %bb.38:
	v_and_b32_e32 v0, 0xffff, v11
	v_or_b32_e32 v16, 0x10000, v11
	s_delay_alu instid0(VALU_DEP_2) | instskip(NEXT) | instid1(VALU_DEP_1)
	v_cmp_eq_u32_e64 s0, 0, v0
	v_cndmask_b32_e64 v0, v16, v11, s0
; %bb.39:
	s_or_b32 exec_lo, exec_lo, s5
	s_delay_alu instid0(VALU_DEP_1) | instskip(SKIP_1) | instid1(VALU_DEP_2)
	v_and_b32_e32 v16, 0xffff0000, v0
	v_lshrrev_b32_e32 v11, 16, v0
	v_add_f32_e32 v16, v15, v16
.LBB188_40:
	s_or_b32 exec_lo, exec_lo, s1
	s_delay_alu instid0(VALU_DEP_1) | instskip(NEXT) | instid1(VALU_DEP_1)
	v_and_b32_e32 v0, 0x7f800000, v16
	v_cmp_ne_u32_e64 s0, 0x7f800000, v0
                                        ; implicit-def: $vgpr0
	s_delay_alu instid0(VALU_DEP_1) | instskip(NEXT) | instid1(SALU_CYCLE_1)
	s_and_saveexec_b32 s1, s0
	s_xor_b32 s0, exec_lo, s1
; %bb.41:
	v_bfe_u32 v0, v16, 16, 1
	s_delay_alu instid0(VALU_DEP_1)
	v_add3_u32 v0, v16, v0, 0x7fff
                                        ; implicit-def: $vgpr16
; %bb.42:
	s_and_not1_saveexec_b32 s1, s0
; %bb.43:
	v_and_b32_e32 v0, 0xffff, v16
	v_or_b32_e32 v15, 0x10000, v16
	s_delay_alu instid0(VALU_DEP_2) | instskip(NEXT) | instid1(VALU_DEP_1)
	v_cmp_eq_u32_e64 s0, 0, v0
	v_cndmask_b32_e64 v0, v15, v16, s0
; %bb.44:
	s_or_b32 exec_lo, exec_lo, s1
	s_delay_alu instid0(VALU_DEP_1) | instskip(NEXT) | instid1(VALU_DEP_1)
	v_and_b32_e32 v15, 0xffff0000, v0
	v_add_f32_e32 v15, v15, v12
	s_delay_alu instid0(VALU_DEP_1) | instskip(NEXT) | instid1(VALU_DEP_1)
	v_and_b32_e32 v12, 0x7f800000, v15
	v_cmp_ne_u32_e64 s0, 0x7f800000, v12
                                        ; implicit-def: $vgpr12
	s_delay_alu instid0(VALU_DEP_1) | instskip(NEXT) | instid1(SALU_CYCLE_1)
	s_and_saveexec_b32 s1, s0
	s_xor_b32 s0, exec_lo, s1
; %bb.45:
	v_bfe_u32 v12, v15, 16, 1
	s_delay_alu instid0(VALU_DEP_1)
	v_add3_u32 v12, v15, v12, 0x7fff
                                        ; implicit-def: $vgpr15
; %bb.46:
	s_and_not1_saveexec_b32 s1, s0
; %bb.47:
	v_and_b32_e32 v12, 0xffff, v15
	v_or_b32_e32 v16, 0x10000, v15
	s_delay_alu instid0(VALU_DEP_2) | instskip(NEXT) | instid1(VALU_DEP_1)
	v_cmp_eq_u32_e64 s0, 0, v12
	v_cndmask_b32_e64 v12, v16, v15, s0
; %bb.48:
	s_or_b32 exec_lo, exec_lo, s1
	s_delay_alu instid0(VALU_DEP_1) | instskip(NEXT) | instid1(VALU_DEP_1)
	v_and_b32_e32 v15, 0xffff0000, v12
	v_add_f32_e32 v15, v15, v13
	s_delay_alu instid0(VALU_DEP_1) | instskip(NEXT) | instid1(VALU_DEP_1)
	v_and_b32_e32 v13, 0x7f800000, v15
	v_cmp_ne_u32_e64 s0, 0x7f800000, v13
                                        ; implicit-def: $vgpr13
	s_delay_alu instid0(VALU_DEP_1) | instskip(NEXT) | instid1(SALU_CYCLE_1)
	s_and_saveexec_b32 s1, s0
	s_xor_b32 s0, exec_lo, s1
; %bb.49:
	v_bfe_u32 v13, v15, 16, 1
	s_delay_alu instid0(VALU_DEP_1)
	v_add3_u32 v13, v15, v13, 0x7fff
                                        ; implicit-def: $vgpr15
; %bb.50:
	s_and_not1_saveexec_b32 s1, s0
; %bb.51:
	v_and_b32_e32 v13, 0xffff, v15
	v_or_b32_e32 v16, 0x10000, v15
	s_delay_alu instid0(VALU_DEP_2) | instskip(NEXT) | instid1(VALU_DEP_1)
	v_cmp_eq_u32_e64 s0, 0, v13
	v_cndmask_b32_e64 v13, v16, v15, s0
; %bb.52:
	s_or_b32 exec_lo, exec_lo, s1
	s_delay_alu instid0(VALU_DEP_1) | instskip(NEXT) | instid1(VALU_DEP_1)
	v_and_b32_e32 v15, 0xffff0000, v13
	v_add_f32_e32 v15, v15, v14
	s_delay_alu instid0(VALU_DEP_1) | instskip(NEXT) | instid1(VALU_DEP_1)
	v_and_b32_e32 v14, 0x7f800000, v15
	v_cmp_ne_u32_e64 s0, 0x7f800000, v14
                                        ; implicit-def: $vgpr14
	s_delay_alu instid0(VALU_DEP_1) | instskip(NEXT) | instid1(SALU_CYCLE_1)
	s_and_saveexec_b32 s1, s0
	s_xor_b32 s0, exec_lo, s1
; %bb.53:
	v_bfe_u32 v14, v15, 16, 1
	s_delay_alu instid0(VALU_DEP_1)
	v_add3_u32 v14, v15, v14, 0x7fff
                                        ; implicit-def: $vgpr15
; %bb.54:
	s_and_not1_saveexec_b32 s1, s0
; %bb.55:
	v_and_b32_e32 v14, 0xffff, v15
	v_or_b32_e32 v16, 0x10000, v15
	s_delay_alu instid0(VALU_DEP_2) | instskip(NEXT) | instid1(VALU_DEP_1)
	v_cmp_eq_u32_e64 s0, 0, v14
	v_cndmask_b32_e64 v14, v16, v15, s0
; %bb.56:
	s_or_b32 exec_lo, exec_lo, s1
	s_clause 0x4
	global_store_b16 v[7:8], v11, off
	global_store_d16_hi_b16 v[1:2], v0, off
	global_store_d16_hi_b16 v[9:10], v12, off
	;; [unrolled: 1-line block ×4, first 2 shown]
	s_and_saveexec_b32 s0, vcc_lo
	s_cbranch_execz .LBB188_58
; %bb.57:
	v_mov_b32_e32 v0, 0
	s_mov_b32 s5, 0
	s_delay_alu instid0(SALU_CYCLE_1) | instskip(NEXT) | instid1(SALU_CYCLE_1)
	s_lshl_b64 s[0:1], s[4:5], 1
	s_add_u32 s0, s2, s0
	ds_load_u16 v1, v0
	s_addc_u32 s1, s3, s1
	s_waitcnt lgkmcnt(0)
	global_store_b16 v0, v1, s[0:1]
.LBB188_58:
	s_nop 0
	s_sendmsg sendmsg(MSG_DEALLOC_VGPRS)
	s_endpgm
	.section	.rodata,"a",@progbits
	.p2align	6, 0x0
	.amdhsa_kernel _Z34inclusive_scan_reduce_array_kernelILj16ELj5ELN6hipcub18BlockScanAlgorithmE1E12hip_bfloat16EvPT2_S4_
		.amdhsa_group_segment_fixed_size 2
		.amdhsa_private_segment_fixed_size 0
		.amdhsa_kernarg_size 16
		.amdhsa_user_sgpr_count 15
		.amdhsa_user_sgpr_dispatch_ptr 0
		.amdhsa_user_sgpr_queue_ptr 0
		.amdhsa_user_sgpr_kernarg_segment_ptr 1
		.amdhsa_user_sgpr_dispatch_id 0
		.amdhsa_user_sgpr_private_segment_size 0
		.amdhsa_wavefront_size32 1
		.amdhsa_uses_dynamic_stack 0
		.amdhsa_enable_private_segment 0
		.amdhsa_system_sgpr_workgroup_id_x 1
		.amdhsa_system_sgpr_workgroup_id_y 0
		.amdhsa_system_sgpr_workgroup_id_z 0
		.amdhsa_system_sgpr_workgroup_info 0
		.amdhsa_system_vgpr_workitem_id 0
		.amdhsa_next_free_vgpr 25
		.amdhsa_next_free_sgpr 16
		.amdhsa_reserve_vcc 1
		.amdhsa_float_round_mode_32 0
		.amdhsa_float_round_mode_16_64 0
		.amdhsa_float_denorm_mode_32 3
		.amdhsa_float_denorm_mode_16_64 3
		.amdhsa_dx10_clamp 1
		.amdhsa_ieee_mode 1
		.amdhsa_fp16_overflow 0
		.amdhsa_workgroup_processor_mode 1
		.amdhsa_memory_ordered 1
		.amdhsa_forward_progress 0
		.amdhsa_shared_vgpr_count 0
		.amdhsa_exception_fp_ieee_invalid_op 0
		.amdhsa_exception_fp_denorm_src 0
		.amdhsa_exception_fp_ieee_div_zero 0
		.amdhsa_exception_fp_ieee_overflow 0
		.amdhsa_exception_fp_ieee_underflow 0
		.amdhsa_exception_fp_ieee_inexact 0
		.amdhsa_exception_int_div_zero 0
	.end_amdhsa_kernel
	.section	.text._Z34inclusive_scan_reduce_array_kernelILj16ELj5ELN6hipcub18BlockScanAlgorithmE1E12hip_bfloat16EvPT2_S4_,"axG",@progbits,_Z34inclusive_scan_reduce_array_kernelILj16ELj5ELN6hipcub18BlockScanAlgorithmE1E12hip_bfloat16EvPT2_S4_,comdat
.Lfunc_end188:
	.size	_Z34inclusive_scan_reduce_array_kernelILj16ELj5ELN6hipcub18BlockScanAlgorithmE1E12hip_bfloat16EvPT2_S4_, .Lfunc_end188-_Z34inclusive_scan_reduce_array_kernelILj16ELj5ELN6hipcub18BlockScanAlgorithmE1E12hip_bfloat16EvPT2_S4_
                                        ; -- End function
	.section	.AMDGPU.csdata,"",@progbits
; Kernel info:
; codeLenInByte = 2084
; NumSgprs: 18
; NumVgprs: 25
; ScratchSize: 0
; MemoryBound: 0
; FloatMode: 240
; IeeeMode: 1
; LDSByteSize: 2 bytes/workgroup (compile time only)
; SGPRBlocks: 2
; VGPRBlocks: 3
; NumSGPRsForWavesPerEU: 18
; NumVGPRsForWavesPerEU: 25
; Occupancy: 16
; WaveLimiterHint : 0
; COMPUTE_PGM_RSRC2:SCRATCH_EN: 0
; COMPUTE_PGM_RSRC2:USER_SGPR: 15
; COMPUTE_PGM_RSRC2:TRAP_HANDLER: 0
; COMPUTE_PGM_RSRC2:TGID_X_EN: 1
; COMPUTE_PGM_RSRC2:TGID_Y_EN: 0
; COMPUTE_PGM_RSRC2:TGID_Z_EN: 0
; COMPUTE_PGM_RSRC2:TIDIG_COMP_CNT: 0
	.section	.text._Z34inclusive_scan_reduce_array_kernelILj65ELj5ELN6hipcub18BlockScanAlgorithmE1E6__halfEvPT2_S4_,"axG",@progbits,_Z34inclusive_scan_reduce_array_kernelILj65ELj5ELN6hipcub18BlockScanAlgorithmE1E6__halfEvPT2_S4_,comdat
	.protected	_Z34inclusive_scan_reduce_array_kernelILj65ELj5ELN6hipcub18BlockScanAlgorithmE1E6__halfEvPT2_S4_ ; -- Begin function _Z34inclusive_scan_reduce_array_kernelILj65ELj5ELN6hipcub18BlockScanAlgorithmE1E6__halfEvPT2_S4_
	.globl	_Z34inclusive_scan_reduce_array_kernelILj65ELj5ELN6hipcub18BlockScanAlgorithmE1E6__halfEvPT2_S4_
	.p2align	8
	.type	_Z34inclusive_scan_reduce_array_kernelILj65ELj5ELN6hipcub18BlockScanAlgorithmE1E6__halfEvPT2_S4_,@function
_Z34inclusive_scan_reduce_array_kernelILj65ELj5ELN6hipcub18BlockScanAlgorithmE1E6__halfEvPT2_S4_: ; @_Z34inclusive_scan_reduce_array_kernelILj65ELj5ELN6hipcub18BlockScanAlgorithmE1E6__halfEvPT2_S4_
; %bb.0:
	s_mov_b32 s4, s15
	s_load_b128 s[0:3], s[0:1], 0x0
	v_mad_u64_u32 v[1:2], null, 0x41, s4, v[0:1]
	v_lshlrev_b32_e32 v17, 1, v0
	s_delay_alu instid0(VALU_DEP_2) | instskip(NEXT) | instid1(VALU_DEP_1)
	v_lshl_add_u32 v1, v1, 2, v1
	v_dual_mov_b32 v2, 0 :: v_dual_add_nc_u32 v3, 1, v1
	s_delay_alu instid0(VALU_DEP_1) | instskip(SKIP_3) | instid1(VALU_DEP_4)
	v_dual_mov_b32 v4, v2 :: v_dual_add_nc_u32 v5, 2, v1
	v_lshlrev_b64 v[9:10], 1, v[1:2]
	v_dual_mov_b32 v6, v2 :: v_dual_add_nc_u32 v7, 3, v1
	v_dual_mov_b32 v8, v2 :: v_dual_add_nc_u32 v1, 4, v1
	v_lshlrev_b64 v[3:4], 1, v[3:4]
	s_delay_alu instid0(VALU_DEP_3) | instskip(NEXT) | instid1(VALU_DEP_3)
	v_lshlrev_b64 v[5:6], 1, v[5:6]
	v_lshlrev_b64 v[7:8], 1, v[7:8]
	s_delay_alu instid0(VALU_DEP_4)
	v_lshlrev_b64 v[14:15], 1, v[1:2]
	s_waitcnt lgkmcnt(0)
	v_add_co_u32 v1, vcc_lo, s0, v9
	v_add_co_ci_u32_e32 v2, vcc_lo, s1, v10, vcc_lo
	v_add_co_u32 v3, vcc_lo, s0, v3
	v_add_co_ci_u32_e32 v4, vcc_lo, s1, v4, vcc_lo
	;; [unrolled: 2-line block ×3, first 2 shown]
	s_clause 0x1
	global_load_u16 v11, v[1:2], off
	global_load_u16 v12, v[3:4], off
	v_add_co_u32 v7, vcc_lo, s0, v7
	v_add_co_ci_u32_e32 v8, vcc_lo, s1, v8, vcc_lo
	global_load_u16 v13, v[5:6], off
	v_add_co_u32 v9, vcc_lo, s0, v14
	v_add_co_ci_u32_e32 v10, vcc_lo, s1, v15, vcc_lo
	s_clause 0x1
	global_load_u16 v14, v[7:8], off
	global_load_u16 v15, v[9:10], off
	s_mov_b32 s0, exec_lo
	s_waitcnt vmcnt(3)
	v_add_f16_e32 v16, v11, v12
	s_waitcnt vmcnt(2)
	s_delay_alu instid0(VALU_DEP_1) | instskip(SKIP_1) | instid1(VALU_DEP_1)
	v_add_f16_e32 v16, v16, v13
	s_waitcnt vmcnt(1)
	v_add_f16_e32 v16, v16, v14
	s_waitcnt vmcnt(0)
	s_delay_alu instid0(VALU_DEP_1)
	v_add_f16_e32 v16, v16, v15
	ds_store_b16 v17, v16
	s_waitcnt lgkmcnt(0)
	s_barrier
	buffer_gl0_inv
	v_cmpx_gt_u32_e32 32, v0
	s_cbranch_execz .LBB189_2
; %bb.1:
	v_mul_u32_u24_e32 v18, 3, v0
	v_mbcnt_lo_u32_b32 v24, -1, 0
	s_delay_alu instid0(VALU_DEP_1) | instskip(NEXT) | instid1(VALU_DEP_3)
	v_add_nc_u32_e32 v26, -1, v24
	v_lshlrev_b32_e32 v18, 1, v18
	ds_load_u16 v19, v18
	ds_load_u16 v20, v18 offset:2
	ds_load_u16 v21, v18 offset:4
	s_waitcnt lgkmcnt(1)
	v_add_f16_e32 v22, v19, v20
	s_waitcnt lgkmcnt(0)
	s_delay_alu instid0(VALU_DEP_1) | instskip(NEXT) | instid1(VALU_DEP_1)
	v_add_f16_e32 v22, v22, v21
	v_and_b32_e32 v23, 0xffff, v22
	s_delay_alu instid0(VALU_DEP_1) | instskip(NEXT) | instid1(VALU_DEP_1)
	v_mov_b32_dpp v23, v23 row_shr:1 row_mask:0xf bank_mask:0xf
	v_add_f16_e32 v23, v22, v23
	v_and_b32_e32 v25, 15, v24
	s_delay_alu instid0(VALU_DEP_1) | instskip(NEXT) | instid1(VALU_DEP_3)
	v_cmp_eq_u32_e32 vcc_lo, 0, v25
	v_cndmask_b32_e32 v22, v23, v22, vcc_lo
	v_cmp_lt_u32_e32 vcc_lo, 1, v25
	s_delay_alu instid0(VALU_DEP_2) | instskip(NEXT) | instid1(VALU_DEP_1)
	v_and_b32_e32 v23, 0xffff, v22
	v_mov_b32_dpp v23, v23 row_shr:2 row_mask:0xf bank_mask:0xf
	s_delay_alu instid0(VALU_DEP_1) | instskip(NEXT) | instid1(VALU_DEP_1)
	v_add_f16_e32 v23, v22, v23
	v_cndmask_b32_e32 v22, v22, v23, vcc_lo
	v_cmp_lt_u32_e32 vcc_lo, 3, v25
	s_delay_alu instid0(VALU_DEP_2) | instskip(NEXT) | instid1(VALU_DEP_1)
	v_and_b32_e32 v23, 0xffff, v22
	v_mov_b32_dpp v23, v23 row_shr:4 row_mask:0xf bank_mask:0xf
	s_delay_alu instid0(VALU_DEP_1) | instskip(NEXT) | instid1(VALU_DEP_1)
	v_add_f16_e32 v23, v22, v23
	v_cndmask_b32_e32 v22, v22, v23, vcc_lo
	v_cmp_lt_u32_e32 vcc_lo, 7, v25
	v_and_b32_e32 v25, 16, v24
	s_delay_alu instid0(VALU_DEP_3) | instskip(NEXT) | instid1(VALU_DEP_1)
	v_and_b32_e32 v23, 0xffff, v22
	v_mov_b32_dpp v23, v23 row_shr:8 row_mask:0xf bank_mask:0xf
	s_delay_alu instid0(VALU_DEP_1) | instskip(NEXT) | instid1(VALU_DEP_1)
	v_add_f16_e32 v23, v22, v23
	v_cndmask_b32_e32 v22, v22, v23, vcc_lo
	v_cmp_eq_u32_e32 vcc_lo, 0, v25
	s_delay_alu instid0(VALU_DEP_2) | instskip(SKIP_3) | instid1(VALU_DEP_1)
	v_and_b32_e32 v23, 0xffff, v22
	ds_swizzle_b32 v23, v23 offset:swizzle(BROADCAST,32,15)
	s_waitcnt lgkmcnt(0)
	v_add_f16_e32 v23, v22, v23
	v_cndmask_b32_e32 v22, v23, v22, vcc_lo
	v_cmp_gt_i32_e32 vcc_lo, 0, v26
	v_cndmask_b32_e32 v23, v26, v24, vcc_lo
	v_cmp_eq_u32_e32 vcc_lo, 0, v0
	s_delay_alu instid0(VALU_DEP_2) | instskip(SKIP_4) | instid1(VALU_DEP_1)
	v_lshlrev_b32_e32 v23, 2, v23
	v_and_b32_e32 v22, 0xffff, v22
	ds_bpermute_b32 v22, v23, v22
	s_waitcnt lgkmcnt(0)
	v_add_f16_e32 v19, v19, v22
	v_cndmask_b32_e32 v19, v19, v16, vcc_lo
	s_delay_alu instid0(VALU_DEP_1) | instskip(NEXT) | instid1(VALU_DEP_1)
	v_add_f16_e32 v20, v20, v19
	v_add_f16_e32 v21, v21, v20
	ds_store_b16 v18, v19
	ds_store_b16 v18, v20 offset:2
	ds_store_b16 v18, v21 offset:4
.LBB189_2:
	s_or_b32 exec_lo, exec_lo, s0
	v_cmp_eq_u32_e32 vcc_lo, 0, v0
	s_mov_b32 s1, exec_lo
	s_waitcnt lgkmcnt(0)
	s_barrier
	buffer_gl0_inv
	v_cmpx_ne_u32_e32 0, v0
	s_cbranch_execz .LBB189_4
; %bb.3:
	v_add_nc_u32_e32 v0, -2, v17
	ds_load_u16 v16, v0
.LBB189_4:
	s_or_b32 exec_lo, exec_lo, s1
	s_waitcnt lgkmcnt(0)
	v_add_f16_e32 v0, v16, v11
	s_delay_alu instid0(VALU_DEP_1) | instskip(NEXT) | instid1(VALU_DEP_1)
	v_cndmask_b32_e32 v0, v0, v11, vcc_lo
	v_add_f16_e32 v11, v0, v12
	s_delay_alu instid0(VALU_DEP_1) | instskip(NEXT) | instid1(VALU_DEP_1)
	v_add_f16_e32 v12, v11, v13
	v_add_f16_e32 v13, v12, v14
	s_delay_alu instid0(VALU_DEP_1)
	v_add_f16_e32 v14, v13, v15
	s_clause 0x4
	global_store_b16 v[1:2], v0, off
	global_store_b16 v[3:4], v11, off
	;; [unrolled: 1-line block ×5, first 2 shown]
	s_and_saveexec_b32 s0, vcc_lo
	s_cbranch_execz .LBB189_6
; %bb.5:
	v_mov_b32_e32 v0, 0
	s_mov_b32 s5, 0
	s_delay_alu instid0(SALU_CYCLE_1) | instskip(NEXT) | instid1(SALU_CYCLE_1)
	s_lshl_b64 s[0:1], s[4:5], 1
	s_add_u32 s0, s2, s0
	ds_load_u16 v1, v0 offset:128
	s_addc_u32 s1, s3, s1
	s_waitcnt lgkmcnt(0)
	global_store_b16 v0, v1, s[0:1]
.LBB189_6:
	s_nop 0
	s_sendmsg sendmsg(MSG_DEALLOC_VGPRS)
	s_endpgm
	.section	.rodata,"a",@progbits
	.p2align	6, 0x0
	.amdhsa_kernel _Z34inclusive_scan_reduce_array_kernelILj65ELj5ELN6hipcub18BlockScanAlgorithmE1E6__halfEvPT2_S4_
		.amdhsa_group_segment_fixed_size 192
		.amdhsa_private_segment_fixed_size 0
		.amdhsa_kernarg_size 16
		.amdhsa_user_sgpr_count 15
		.amdhsa_user_sgpr_dispatch_ptr 0
		.amdhsa_user_sgpr_queue_ptr 0
		.amdhsa_user_sgpr_kernarg_segment_ptr 1
		.amdhsa_user_sgpr_dispatch_id 0
		.amdhsa_user_sgpr_private_segment_size 0
		.amdhsa_wavefront_size32 1
		.amdhsa_uses_dynamic_stack 0
		.amdhsa_enable_private_segment 0
		.amdhsa_system_sgpr_workgroup_id_x 1
		.amdhsa_system_sgpr_workgroup_id_y 0
		.amdhsa_system_sgpr_workgroup_id_z 0
		.amdhsa_system_sgpr_workgroup_info 0
		.amdhsa_system_vgpr_workitem_id 0
		.amdhsa_next_free_vgpr 27
		.amdhsa_next_free_sgpr 16
		.amdhsa_reserve_vcc 1
		.amdhsa_float_round_mode_32 0
		.amdhsa_float_round_mode_16_64 0
		.amdhsa_float_denorm_mode_32 3
		.amdhsa_float_denorm_mode_16_64 3
		.amdhsa_dx10_clamp 1
		.amdhsa_ieee_mode 1
		.amdhsa_fp16_overflow 0
		.amdhsa_workgroup_processor_mode 1
		.amdhsa_memory_ordered 1
		.amdhsa_forward_progress 0
		.amdhsa_shared_vgpr_count 0
		.amdhsa_exception_fp_ieee_invalid_op 0
		.amdhsa_exception_fp_denorm_src 0
		.amdhsa_exception_fp_ieee_div_zero 0
		.amdhsa_exception_fp_ieee_overflow 0
		.amdhsa_exception_fp_ieee_underflow 0
		.amdhsa_exception_fp_ieee_inexact 0
		.amdhsa_exception_int_div_zero 0
	.end_amdhsa_kernel
	.section	.text._Z34inclusive_scan_reduce_array_kernelILj65ELj5ELN6hipcub18BlockScanAlgorithmE1E6__halfEvPT2_S4_,"axG",@progbits,_Z34inclusive_scan_reduce_array_kernelILj65ELj5ELN6hipcub18BlockScanAlgorithmE1E6__halfEvPT2_S4_,comdat
.Lfunc_end189:
	.size	_Z34inclusive_scan_reduce_array_kernelILj65ELj5ELN6hipcub18BlockScanAlgorithmE1E6__halfEvPT2_S4_, .Lfunc_end189-_Z34inclusive_scan_reduce_array_kernelILj65ELj5ELN6hipcub18BlockScanAlgorithmE1E6__halfEvPT2_S4_
                                        ; -- End function
	.section	.AMDGPU.csdata,"",@progbits
; Kernel info:
; codeLenInByte = 852
; NumSgprs: 18
; NumVgprs: 27
; ScratchSize: 0
; MemoryBound: 0
; FloatMode: 240
; IeeeMode: 1
; LDSByteSize: 192 bytes/workgroup (compile time only)
; SGPRBlocks: 2
; VGPRBlocks: 3
; NumSGPRsForWavesPerEU: 18
; NumVGPRsForWavesPerEU: 27
; Occupancy: 16
; WaveLimiterHint : 0
; COMPUTE_PGM_RSRC2:SCRATCH_EN: 0
; COMPUTE_PGM_RSRC2:USER_SGPR: 15
; COMPUTE_PGM_RSRC2:TRAP_HANDLER: 0
; COMPUTE_PGM_RSRC2:TGID_X_EN: 1
; COMPUTE_PGM_RSRC2:TGID_Y_EN: 0
; COMPUTE_PGM_RSRC2:TGID_Z_EN: 0
; COMPUTE_PGM_RSRC2:TIDIG_COMP_CNT: 0
	.section	.text._Z34inclusive_scan_reduce_array_kernelILj255ELj15ELN6hipcub18BlockScanAlgorithmE1EfEvPT2_S3_,"axG",@progbits,_Z34inclusive_scan_reduce_array_kernelILj255ELj15ELN6hipcub18BlockScanAlgorithmE1EfEvPT2_S3_,comdat
	.protected	_Z34inclusive_scan_reduce_array_kernelILj255ELj15ELN6hipcub18BlockScanAlgorithmE1EfEvPT2_S3_ ; -- Begin function _Z34inclusive_scan_reduce_array_kernelILj255ELj15ELN6hipcub18BlockScanAlgorithmE1EfEvPT2_S3_
	.globl	_Z34inclusive_scan_reduce_array_kernelILj255ELj15ELN6hipcub18BlockScanAlgorithmE1EfEvPT2_S3_
	.p2align	8
	.type	_Z34inclusive_scan_reduce_array_kernelILj255ELj15ELN6hipcub18BlockScanAlgorithmE1EfEvPT2_S3_,@function
_Z34inclusive_scan_reduce_array_kernelILj255ELj15ELN6hipcub18BlockScanAlgorithmE1EfEvPT2_S3_: ; @_Z34inclusive_scan_reduce_array_kernelILj255ELj15ELN6hipcub18BlockScanAlgorithmE1EfEvPT2_S3_
; %bb.0:
	s_mov_b32 s4, s15
	s_load_b128 s[0:3], s[0:1], 0x0
	v_mad_u64_u32 v[1:2], null, 0xff, s4, v[0:1]
	v_lshrrev_b32_e32 v47, 5, v0
	s_delay_alu instid0(VALU_DEP_1) | instskip(NEXT) | instid1(VALU_DEP_3)
	v_add_lshl_u32 v47, v47, v0, 2
	v_mul_lo_u32 v27, v1, 15
	s_delay_alu instid0(VALU_DEP_1) | instskip(NEXT) | instid1(VALU_DEP_1)
	v_dual_mov_b32 v28, 0 :: v_dual_add_nc_u32 v1, 1, v27
	v_dual_mov_b32 v2, v28 :: v_dual_add_nc_u32 v3, 2, v27
	v_lshlrev_b64 v[9:10], 2, v[27:28]
	v_dual_mov_b32 v4, v28 :: v_dual_add_nc_u32 v5, 3, v27
	s_delay_alu instid0(VALU_DEP_3) | instskip(SKIP_1) | instid1(VALU_DEP_3)
	v_lshlrev_b64 v[11:12], 2, v[1:2]
	v_dual_mov_b32 v6, v28 :: v_dual_add_nc_u32 v7, 4, v27
	v_lshlrev_b64 v[13:14], 2, v[3:4]
	s_waitcnt lgkmcnt(0)
	v_add_co_u32 v1, vcc_lo, s0, v9
	v_mov_b32_e32 v8, v28
	v_add_co_ci_u32_e32 v2, vcc_lo, s1, v10, vcc_lo
	v_lshlrev_b64 v[15:16], 2, v[5:6]
	v_add_co_u32 v3, vcc_lo, s0, v11
	v_add_nc_u32_e32 v11, 5, v27
	v_add_co_ci_u32_e32 v4, vcc_lo, s1, v12, vcc_lo
	v_lshlrev_b64 v[17:18], 2, v[7:8]
	v_add_co_u32 v5, vcc_lo, s0, v13
	v_add_co_ci_u32_e32 v6, vcc_lo, s1, v14, vcc_lo
	v_add_co_u32 v7, vcc_lo, s0, v15
	v_add_co_ci_u32_e32 v8, vcc_lo, s1, v16, vcc_lo
	v_add_co_u32 v9, vcc_lo, s0, v17
	v_dual_mov_b32 v12, v28 :: v_dual_add_nc_u32 v13, 6, v27
	v_add_co_ci_u32_e32 v10, vcc_lo, s1, v18, vcc_lo
	s_clause 0x4
	global_load_b32 v31, v[1:2], off
	global_load_b32 v32, v[3:4], off
	;; [unrolled: 1-line block ×5, first 2 shown]
	v_dual_mov_b32 v14, v28 :: v_dual_add_nc_u32 v15, 7, v27
	v_lshlrev_b64 v[11:12], 2, v[11:12]
	v_dual_mov_b32 v16, v28 :: v_dual_add_nc_u32 v17, 8, v27
	s_delay_alu instid0(VALU_DEP_3) | instskip(SKIP_1) | instid1(VALU_DEP_4)
	v_lshlrev_b64 v[13:14], 2, v[13:14]
	v_dual_mov_b32 v18, v28 :: v_dual_add_nc_u32 v19, 9, v27
	v_add_co_u32 v11, vcc_lo, s0, v11
	s_delay_alu instid0(VALU_DEP_4)
	v_lshlrev_b64 v[15:16], 2, v[15:16]
	v_add_co_ci_u32_e32 v12, vcc_lo, s1, v12, vcc_lo
	v_add_co_u32 v13, vcc_lo, s0, v13
	v_add_co_ci_u32_e32 v14, vcc_lo, s1, v14, vcc_lo
	v_dual_mov_b32 v20, v28 :: v_dual_add_nc_u32 v21, 10, v27
	v_add_co_u32 v15, vcc_lo, s0, v15
	global_load_b32 v36, v[11:12], off
	v_lshlrev_b64 v[17:18], 2, v[17:18]
	v_add_co_ci_u32_e32 v16, vcc_lo, s1, v16, vcc_lo
	v_lshlrev_b64 v[19:20], 2, v[19:20]
	s_clause 0x1
	global_load_b32 v37, v[13:14], off
	global_load_b32 v38, v[15:16], off
	v_add_co_u32 v17, vcc_lo, s0, v17
	v_dual_mov_b32 v22, v28 :: v_dual_add_nc_u32 v23, 11, v27
	v_add_co_ci_u32_e32 v18, vcc_lo, s1, v18, vcc_lo
	v_add_co_u32 v19, vcc_lo, s0, v19
	v_dual_mov_b32 v24, v28 :: v_dual_add_nc_u32 v25, 12, v27
	v_add_co_ci_u32_e32 v20, vcc_lo, s1, v20, vcc_lo
	v_lshlrev_b64 v[21:22], 2, v[21:22]
	v_dual_mov_b32 v26, v28 :: v_dual_add_nc_u32 v29, 13, v27
	s_clause 0x1
	global_load_b32 v39, v[17:18], off
	global_load_b32 v40, v[19:20], off
	v_lshlrev_b64 v[23:24], 2, v[23:24]
	v_dual_mov_b32 v30, v28 :: v_dual_add_nc_u32 v27, 14, v27
	v_add_co_u32 v21, vcc_lo, s0, v21
	v_lshlrev_b64 v[25:26], 2, v[25:26]
	v_add_co_ci_u32_e32 v22, vcc_lo, s1, v22, vcc_lo
	v_add_co_u32 v23, vcc_lo, s0, v23
	v_add_co_ci_u32_e32 v24, vcc_lo, s1, v24, vcc_lo
	s_delay_alu instid0(VALU_DEP_4)
	v_add_co_u32 v25, vcc_lo, s0, v25
	global_load_b32 v41, v[21:22], off
	v_lshlrev_b64 v[29:30], 2, v[29:30]
	v_add_co_ci_u32_e32 v26, vcc_lo, s1, v26, vcc_lo
	v_lshlrev_b64 v[44:45], 2, v[27:28]
	s_clause 0x1
	global_load_b32 v42, v[23:24], off
	global_load_b32 v43, v[25:26], off
	v_add_co_u32 v27, vcc_lo, s0, v29
	v_add_co_ci_u32_e32 v28, vcc_lo, s1, v30, vcc_lo
	v_add_co_u32 v29, vcc_lo, s0, v44
	v_add_co_ci_u32_e32 v30, vcc_lo, s1, v45, vcc_lo
	s_clause 0x1
	global_load_b32 v45, v[27:28], off
	global_load_b32 v44, v[29:30], off
	s_mov_b32 s0, exec_lo
	s_waitcnt vmcnt(13)
	v_add_f32_e32 v46, v31, v32
	s_waitcnt vmcnt(12)
	s_delay_alu instid0(VALU_DEP_1) | instskip(SKIP_1) | instid1(VALU_DEP_1)
	v_add_f32_e32 v46, v33, v46
	s_waitcnt vmcnt(11)
	v_add_f32_e32 v46, v34, v46
	s_waitcnt vmcnt(10)
	s_delay_alu instid0(VALU_DEP_1) | instskip(SKIP_1) | instid1(VALU_DEP_1)
	v_add_f32_e32 v46, v35, v46
	;; [unrolled: 5-line block ×6, first 2 shown]
	s_waitcnt vmcnt(1)
	v_add_f32_e32 v46, v45, v46
	s_waitcnt vmcnt(0)
	s_delay_alu instid0(VALU_DEP_1)
	v_add_f32_e32 v46, v44, v46
	ds_store_b32 v47, v46
	s_waitcnt lgkmcnt(0)
	s_barrier
	buffer_gl0_inv
	v_cmpx_gt_u32_e32 32, v0
	s_cbranch_execz .LBB190_2
; %bb.1:
	v_and_b32_e32 v47, 0xfc, v0
	v_mbcnt_lo_u32_b32 v57, -1, 0
	s_delay_alu instid0(VALU_DEP_2) | instskip(NEXT) | instid1(VALU_DEP_2)
	v_lshl_or_b32 v55, v0, 5, v47
	v_and_b32_e32 v60, 16, v57
	ds_load_2addr_b32 v[47:48], v55 offset1:1
	ds_load_2addr_b32 v[49:50], v55 offset0:2 offset1:3
	ds_load_2addr_b32 v[51:52], v55 offset0:4 offset1:5
	;; [unrolled: 1-line block ×3, first 2 shown]
	v_and_b32_e32 v59, 15, v57
	s_delay_alu instid0(VALU_DEP_1) | instskip(SKIP_3) | instid1(VALU_DEP_1)
	v_cmp_eq_u32_e32 vcc_lo, 0, v59
	s_waitcnt lgkmcnt(3)
	v_add_f32_e32 v56, v47, v48
	s_waitcnt lgkmcnt(2)
	v_add_f32_e32 v56, v56, v49
	s_delay_alu instid0(VALU_DEP_1) | instskip(SKIP_1) | instid1(VALU_DEP_1)
	v_add_f32_e32 v56, v56, v50
	s_waitcnt lgkmcnt(1)
	v_add_f32_e32 v56, v56, v51
	s_delay_alu instid0(VALU_DEP_1) | instskip(SKIP_1) | instid1(VALU_DEP_1)
	v_add_f32_e32 v56, v56, v52
	s_waitcnt lgkmcnt(0)
	v_add_f32_e32 v56, v56, v53
	s_delay_alu instid0(VALU_DEP_1) | instskip(NEXT) | instid1(VALU_DEP_1)
	v_add_f32_e32 v56, v56, v54
	v_mov_b32_dpp v58, v56 row_shr:1 row_mask:0xf bank_mask:0xf
	s_delay_alu instid0(VALU_DEP_1) | instskip(NEXT) | instid1(VALU_DEP_1)
	v_add_f32_e32 v58, v56, v58
	v_cndmask_b32_e32 v56, v58, v56, vcc_lo
	v_cmp_lt_u32_e32 vcc_lo, 1, v59
	s_delay_alu instid0(VALU_DEP_2) | instskip(NEXT) | instid1(VALU_DEP_1)
	v_mov_b32_dpp v58, v56 row_shr:2 row_mask:0xf bank_mask:0xf
	v_add_f32_e32 v58, v56, v58
	s_delay_alu instid0(VALU_DEP_1) | instskip(SKIP_1) | instid1(VALU_DEP_2)
	v_cndmask_b32_e32 v56, v56, v58, vcc_lo
	v_cmp_lt_u32_e32 vcc_lo, 3, v59
	v_mov_b32_dpp v58, v56 row_shr:4 row_mask:0xf bank_mask:0xf
	s_delay_alu instid0(VALU_DEP_1) | instskip(NEXT) | instid1(VALU_DEP_1)
	v_add_f32_e32 v58, v56, v58
	v_cndmask_b32_e32 v56, v56, v58, vcc_lo
	v_cmp_lt_u32_e32 vcc_lo, 7, v59
	v_add_nc_u32_e32 v59, -1, v57
	s_delay_alu instid0(VALU_DEP_3) | instskip(NEXT) | instid1(VALU_DEP_1)
	v_mov_b32_dpp v58, v56 row_shr:8 row_mask:0xf bank_mask:0xf
	v_add_f32_e32 v58, v56, v58
	s_delay_alu instid0(VALU_DEP_1) | instskip(NEXT) | instid1(VALU_DEP_4)
	v_cndmask_b32_e32 v56, v56, v58, vcc_lo
	v_cmp_gt_i32_e32 vcc_lo, 0, v59
	ds_swizzle_b32 v58, v56 offset:swizzle(BROADCAST,32,15)
	v_cndmask_b32_e32 v57, v59, v57, vcc_lo
	v_cmp_eq_u32_e32 vcc_lo, 0, v60
	s_waitcnt lgkmcnt(0)
	s_delay_alu instid0(VALU_DEP_2) | instskip(NEXT) | instid1(VALU_DEP_1)
	v_dual_add_f32 v58, v56, v58 :: v_dual_lshlrev_b32 v57, 2, v57
	v_cndmask_b32_e32 v56, v58, v56, vcc_lo
	v_cmp_eq_u32_e32 vcc_lo, 0, v0
	ds_bpermute_b32 v56, v57, v56
	s_waitcnt lgkmcnt(0)
	v_add_f32_e32 v47, v47, v56
	s_delay_alu instid0(VALU_DEP_1) | instskip(NEXT) | instid1(VALU_DEP_1)
	v_cndmask_b32_e32 v47, v47, v46, vcc_lo
	v_add_f32_e32 v48, v48, v47
	s_delay_alu instid0(VALU_DEP_1) | instskip(NEXT) | instid1(VALU_DEP_1)
	v_add_f32_e32 v49, v49, v48
	v_add_f32_e32 v50, v50, v49
	s_delay_alu instid0(VALU_DEP_1) | instskip(NEXT) | instid1(VALU_DEP_1)
	v_add_f32_e32 v51, v51, v50
	;; [unrolled: 3-line block ×3, first 2 shown]
	v_add_f32_e32 v54, v54, v53
	ds_store_2addr_b32 v55, v47, v48 offset1:1
	ds_store_2addr_b32 v55, v49, v50 offset0:2 offset1:3
	ds_store_2addr_b32 v55, v51, v52 offset0:4 offset1:5
	;; [unrolled: 1-line block ×3, first 2 shown]
.LBB190_2:
	s_or_b32 exec_lo, exec_lo, s0
	v_cmp_eq_u32_e32 vcc_lo, 0, v0
	s_mov_b32 s1, exec_lo
	s_waitcnt lgkmcnt(0)
	s_barrier
	buffer_gl0_inv
	v_cmpx_ne_u32_e32 0, v0
	s_cbranch_execz .LBB190_4
; %bb.3:
	v_add_nc_u32_e32 v0, -1, v0
	s_delay_alu instid0(VALU_DEP_1) | instskip(NEXT) | instid1(VALU_DEP_1)
	v_lshrrev_b32_e32 v46, 5, v0
	v_add_lshl_u32 v0, v46, v0, 2
	ds_load_b32 v46, v0
.LBB190_4:
	s_or_b32 exec_lo, exec_lo, s1
	s_waitcnt lgkmcnt(0)
	v_add_f32_e32 v0, v31, v46
	s_delay_alu instid0(VALU_DEP_1) | instskip(NEXT) | instid1(VALU_DEP_1)
	v_cndmask_b32_e32 v0, v0, v31, vcc_lo
	v_add_f32_e32 v31, v32, v0
	s_delay_alu instid0(VALU_DEP_1) | instskip(NEXT) | instid1(VALU_DEP_1)
	v_add_f32_e32 v32, v33, v31
	v_add_f32_e32 v33, v34, v32
	s_delay_alu instid0(VALU_DEP_1) | instskip(NEXT) | instid1(VALU_DEP_1)
	v_add_f32_e32 v34, v35, v33
	;; [unrolled: 3-line block ×4, first 2 shown]
	v_add_f32_e32 v39, v40, v38
	s_clause 0x7
	global_store_b32 v[1:2], v0, off
	global_store_b32 v[3:4], v31, off
	;; [unrolled: 1-line block ×8, first 2 shown]
	v_add_f32_e32 v40, v41, v39
	s_delay_alu instid0(VALU_DEP_1) | instskip(NEXT) | instid1(VALU_DEP_1)
	v_add_f32_e32 v41, v42, v40
	v_add_f32_e32 v42, v43, v41
	s_delay_alu instid0(VALU_DEP_1) | instskip(NEXT) | instid1(VALU_DEP_1)
	v_add_f32_e32 v43, v45, v42
	v_add_f32_e32 v0, v44, v43
	s_clause 0x6
	global_store_b32 v[17:18], v38, off
	global_store_b32 v[19:20], v39, off
	;; [unrolled: 1-line block ×7, first 2 shown]
	s_and_saveexec_b32 s0, vcc_lo
	s_cbranch_execz .LBB190_6
; %bb.5:
	v_mov_b32_e32 v0, 0
	s_mov_b32 s5, 0
	s_delay_alu instid0(SALU_CYCLE_1) | instskip(NEXT) | instid1(SALU_CYCLE_1)
	s_lshl_b64 s[0:1], s[4:5], 2
	s_add_u32 s0, s2, s0
	ds_load_b32 v1, v0 offset:1044
	s_addc_u32 s1, s3, s1
	s_waitcnt lgkmcnt(0)
	global_store_b32 v0, v1, s[0:1]
.LBB190_6:
	s_nop 0
	s_sendmsg sendmsg(MSG_DEALLOC_VGPRS)
	s_endpgm
	.section	.rodata,"a",@progbits
	.p2align	6, 0x0
	.amdhsa_kernel _Z34inclusive_scan_reduce_array_kernelILj255ELj15ELN6hipcub18BlockScanAlgorithmE1EfEvPT2_S3_
		.amdhsa_group_segment_fixed_size 1056
		.amdhsa_private_segment_fixed_size 0
		.amdhsa_kernarg_size 16
		.amdhsa_user_sgpr_count 15
		.amdhsa_user_sgpr_dispatch_ptr 0
		.amdhsa_user_sgpr_queue_ptr 0
		.amdhsa_user_sgpr_kernarg_segment_ptr 1
		.amdhsa_user_sgpr_dispatch_id 0
		.amdhsa_user_sgpr_private_segment_size 0
		.amdhsa_wavefront_size32 1
		.amdhsa_uses_dynamic_stack 0
		.amdhsa_enable_private_segment 0
		.amdhsa_system_sgpr_workgroup_id_x 1
		.amdhsa_system_sgpr_workgroup_id_y 0
		.amdhsa_system_sgpr_workgroup_id_z 0
		.amdhsa_system_sgpr_workgroup_info 0
		.amdhsa_system_vgpr_workitem_id 0
		.amdhsa_next_free_vgpr 61
		.amdhsa_next_free_sgpr 16
		.amdhsa_reserve_vcc 1
		.amdhsa_float_round_mode_32 0
		.amdhsa_float_round_mode_16_64 0
		.amdhsa_float_denorm_mode_32 3
		.amdhsa_float_denorm_mode_16_64 3
		.amdhsa_dx10_clamp 1
		.amdhsa_ieee_mode 1
		.amdhsa_fp16_overflow 0
		.amdhsa_workgroup_processor_mode 1
		.amdhsa_memory_ordered 1
		.amdhsa_forward_progress 0
		.amdhsa_shared_vgpr_count 0
		.amdhsa_exception_fp_ieee_invalid_op 0
		.amdhsa_exception_fp_denorm_src 0
		.amdhsa_exception_fp_ieee_div_zero 0
		.amdhsa_exception_fp_ieee_overflow 0
		.amdhsa_exception_fp_ieee_underflow 0
		.amdhsa_exception_fp_ieee_inexact 0
		.amdhsa_exception_int_div_zero 0
	.end_amdhsa_kernel
	.section	.text._Z34inclusive_scan_reduce_array_kernelILj255ELj15ELN6hipcub18BlockScanAlgorithmE1EfEvPT2_S3_,"axG",@progbits,_Z34inclusive_scan_reduce_array_kernelILj255ELj15ELN6hipcub18BlockScanAlgorithmE1EfEvPT2_S3_,comdat
.Lfunc_end190:
	.size	_Z34inclusive_scan_reduce_array_kernelILj255ELj15ELN6hipcub18BlockScanAlgorithmE1EfEvPT2_S3_, .Lfunc_end190-_Z34inclusive_scan_reduce_array_kernelILj255ELj15ELN6hipcub18BlockScanAlgorithmE1EfEvPT2_S3_
                                        ; -- End function
	.section	.AMDGPU.csdata,"",@progbits
; Kernel info:
; codeLenInByte = 1532
; NumSgprs: 18
; NumVgprs: 61
; ScratchSize: 0
; MemoryBound: 0
; FloatMode: 240
; IeeeMode: 1
; LDSByteSize: 1056 bytes/workgroup (compile time only)
; SGPRBlocks: 2
; VGPRBlocks: 7
; NumSGPRsForWavesPerEU: 18
; NumVGPRsForWavesPerEU: 61
; Occupancy: 16
; WaveLimiterHint : 0
; COMPUTE_PGM_RSRC2:SCRATCH_EN: 0
; COMPUTE_PGM_RSRC2:USER_SGPR: 15
; COMPUTE_PGM_RSRC2:TRAP_HANDLER: 0
; COMPUTE_PGM_RSRC2:TGID_X_EN: 1
; COMPUTE_PGM_RSRC2:TGID_Y_EN: 0
; COMPUTE_PGM_RSRC2:TGID_Z_EN: 0
; COMPUTE_PGM_RSRC2:TIDIG_COMP_CNT: 0
	.section	.text._Z34inclusive_scan_reduce_array_kernelILj162ELj7ELN6hipcub18BlockScanAlgorithmE1EfEvPT2_S3_,"axG",@progbits,_Z34inclusive_scan_reduce_array_kernelILj162ELj7ELN6hipcub18BlockScanAlgorithmE1EfEvPT2_S3_,comdat
	.protected	_Z34inclusive_scan_reduce_array_kernelILj162ELj7ELN6hipcub18BlockScanAlgorithmE1EfEvPT2_S3_ ; -- Begin function _Z34inclusive_scan_reduce_array_kernelILj162ELj7ELN6hipcub18BlockScanAlgorithmE1EfEvPT2_S3_
	.globl	_Z34inclusive_scan_reduce_array_kernelILj162ELj7ELN6hipcub18BlockScanAlgorithmE1EfEvPT2_S3_
	.p2align	8
	.type	_Z34inclusive_scan_reduce_array_kernelILj162ELj7ELN6hipcub18BlockScanAlgorithmE1EfEvPT2_S3_,@function
_Z34inclusive_scan_reduce_array_kernelILj162ELj7ELN6hipcub18BlockScanAlgorithmE1EfEvPT2_S3_: ; @_Z34inclusive_scan_reduce_array_kernelILj162ELj7ELN6hipcub18BlockScanAlgorithmE1EfEvPT2_S3_
; %bb.0:
	s_mov_b32 s4, s15
	s_load_b128 s[0:3], s[0:1], 0x0
	v_mad_u64_u32 v[1:2], null, 0xa2, s4, v[0:1]
	v_lshlrev_b32_e32 v23, 2, v0
	s_delay_alu instid0(VALU_DEP_2) | instskip(NEXT) | instid1(VALU_DEP_1)
	v_mul_lo_u32 v11, v1, 7
	v_dual_mov_b32 v12, 0 :: v_dual_add_nc_u32 v1, 1, v11
	s_delay_alu instid0(VALU_DEP_1) | instskip(SKIP_2) | instid1(VALU_DEP_3)
	v_dual_mov_b32 v2, v12 :: v_dual_add_nc_u32 v3, 2, v11
	v_lshlrev_b64 v[9:10], 2, v[11:12]
	v_dual_mov_b32 v4, v12 :: v_dual_add_nc_u32 v5, 3, v11
	v_lshlrev_b64 v[13:14], 2, v[1:2]
	v_dual_mov_b32 v6, v12 :: v_dual_add_nc_u32 v7, 4, v11
	s_waitcnt lgkmcnt(0)
	s_delay_alu instid0(VALU_DEP_4)
	v_add_co_u32 v1, vcc_lo, s0, v9
	v_lshlrev_b64 v[15:16], 2, v[3:4]
	v_add_co_ci_u32_e32 v2, vcc_lo, s1, v10, vcc_lo
	v_mov_b32_e32 v8, v12
	v_add_co_u32 v3, vcc_lo, s0, v13
	v_add_nc_u32_e32 v13, 5, v11
	v_lshlrev_b64 v[17:18], 2, v[5:6]
	v_add_co_ci_u32_e32 v4, vcc_lo, s1, v14, vcc_lo
	v_add_co_u32 v5, vcc_lo, s0, v15
	v_lshlrev_b64 v[19:20], 2, v[7:8]
	v_add_co_ci_u32_e32 v6, vcc_lo, s1, v16, vcc_lo
	s_clause 0x1
	global_load_b32 v15, v[1:2], off
	global_load_b32 v16, v[3:4], off
	v_dual_mov_b32 v14, v12 :: v_dual_add_nc_u32 v11, 6, v11
	v_add_co_u32 v7, vcc_lo, s0, v17
	v_add_co_ci_u32_e32 v8, vcc_lo, s1, v18, vcc_lo
	v_add_co_u32 v9, vcc_lo, s0, v19
	global_load_b32 v17, v[5:6], off
	v_lshlrev_b64 v[13:14], 2, v[13:14]
	v_add_co_ci_u32_e32 v10, vcc_lo, s1, v20, vcc_lo
	v_lshlrev_b64 v[20:21], 2, v[11:12]
	s_clause 0x1
	global_load_b32 v18, v[7:8], off
	global_load_b32 v19, v[9:10], off
	v_add_co_u32 v11, vcc_lo, s0, v13
	v_add_co_ci_u32_e32 v12, vcc_lo, s1, v14, vcc_lo
	v_add_co_u32 v13, vcc_lo, s0, v20
	v_add_co_ci_u32_e32 v14, vcc_lo, s1, v21, vcc_lo
	s_clause 0x1
	global_load_b32 v20, v[11:12], off
	global_load_b32 v21, v[13:14], off
	s_mov_b32 s0, exec_lo
	s_waitcnt vmcnt(5)
	v_add_f32_e32 v22, v15, v16
	s_waitcnt vmcnt(4)
	s_delay_alu instid0(VALU_DEP_1) | instskip(SKIP_1) | instid1(VALU_DEP_1)
	v_add_f32_e32 v22, v17, v22
	s_waitcnt vmcnt(3)
	v_add_f32_e32 v22, v18, v22
	s_waitcnt vmcnt(2)
	s_delay_alu instid0(VALU_DEP_1) | instskip(SKIP_1) | instid1(VALU_DEP_1)
	v_add_f32_e32 v22, v19, v22
	s_waitcnt vmcnt(1)
	v_add_f32_e32 v22, v20, v22
	s_waitcnt vmcnt(0)
	s_delay_alu instid0(VALU_DEP_1)
	v_add_f32_e32 v22, v21, v22
	ds_store_b32 v23, v22
	s_waitcnt lgkmcnt(0)
	s_barrier
	buffer_gl0_inv
	v_cmpx_gt_u32_e32 32, v0
	s_cbranch_execz .LBB191_2
; %bb.1:
	v_mul_u32_u24_e32 v24, 6, v0
	v_mbcnt_lo_u32_b32 v32, -1, 0
	s_delay_alu instid0(VALU_DEP_2) | instskip(NEXT) | instid1(VALU_DEP_2)
	v_lshlrev_b32_e32 v30, 2, v24
	v_and_b32_e32 v35, 16, v32
	ds_load_2addr_b32 v[24:25], v30 offset1:1
	ds_load_2addr_b32 v[26:27], v30 offset0:2 offset1:3
	ds_load_2addr_b32 v[28:29], v30 offset0:4 offset1:5
	v_and_b32_e32 v34, 15, v32
	s_delay_alu instid0(VALU_DEP_1) | instskip(SKIP_3) | instid1(VALU_DEP_1)
	v_cmp_eq_u32_e32 vcc_lo, 0, v34
	s_waitcnt lgkmcnt(2)
	v_add_f32_e32 v31, v24, v25
	s_waitcnt lgkmcnt(1)
	v_add_f32_e32 v31, v31, v26
	s_delay_alu instid0(VALU_DEP_1) | instskip(SKIP_1) | instid1(VALU_DEP_1)
	v_add_f32_e32 v31, v31, v27
	s_waitcnt lgkmcnt(0)
	v_add_f32_e32 v31, v31, v28
	s_delay_alu instid0(VALU_DEP_1) | instskip(NEXT) | instid1(VALU_DEP_1)
	v_add_f32_e32 v31, v31, v29
	v_mov_b32_dpp v33, v31 row_shr:1 row_mask:0xf bank_mask:0xf
	s_delay_alu instid0(VALU_DEP_1) | instskip(NEXT) | instid1(VALU_DEP_1)
	v_add_f32_e32 v33, v31, v33
	v_cndmask_b32_e32 v31, v33, v31, vcc_lo
	v_cmp_lt_u32_e32 vcc_lo, 1, v34
	s_delay_alu instid0(VALU_DEP_2) | instskip(NEXT) | instid1(VALU_DEP_1)
	v_mov_b32_dpp v33, v31 row_shr:2 row_mask:0xf bank_mask:0xf
	v_add_f32_e32 v33, v31, v33
	s_delay_alu instid0(VALU_DEP_1) | instskip(SKIP_1) | instid1(VALU_DEP_2)
	v_cndmask_b32_e32 v31, v31, v33, vcc_lo
	v_cmp_lt_u32_e32 vcc_lo, 3, v34
	v_mov_b32_dpp v33, v31 row_shr:4 row_mask:0xf bank_mask:0xf
	s_delay_alu instid0(VALU_DEP_1) | instskip(NEXT) | instid1(VALU_DEP_1)
	v_add_f32_e32 v33, v31, v33
	v_cndmask_b32_e32 v31, v31, v33, vcc_lo
	v_cmp_lt_u32_e32 vcc_lo, 7, v34
	v_add_nc_u32_e32 v34, -1, v32
	s_delay_alu instid0(VALU_DEP_3) | instskip(NEXT) | instid1(VALU_DEP_1)
	v_mov_b32_dpp v33, v31 row_shr:8 row_mask:0xf bank_mask:0xf
	v_add_f32_e32 v33, v31, v33
	s_delay_alu instid0(VALU_DEP_1) | instskip(NEXT) | instid1(VALU_DEP_4)
	v_cndmask_b32_e32 v31, v31, v33, vcc_lo
	v_cmp_gt_i32_e32 vcc_lo, 0, v34
	ds_swizzle_b32 v33, v31 offset:swizzle(BROADCAST,32,15)
	v_cndmask_b32_e32 v32, v34, v32, vcc_lo
	v_cmp_eq_u32_e32 vcc_lo, 0, v35
	s_waitcnt lgkmcnt(0)
	s_delay_alu instid0(VALU_DEP_2) | instskip(NEXT) | instid1(VALU_DEP_1)
	v_dual_add_f32 v33, v31, v33 :: v_dual_lshlrev_b32 v32, 2, v32
	v_cndmask_b32_e32 v31, v33, v31, vcc_lo
	v_cmp_eq_u32_e32 vcc_lo, 0, v0
	ds_bpermute_b32 v31, v32, v31
	s_waitcnt lgkmcnt(0)
	v_add_f32_e32 v24, v24, v31
	s_delay_alu instid0(VALU_DEP_1) | instskip(NEXT) | instid1(VALU_DEP_1)
	v_cndmask_b32_e32 v24, v24, v22, vcc_lo
	v_add_f32_e32 v25, v25, v24
	s_delay_alu instid0(VALU_DEP_1) | instskip(NEXT) | instid1(VALU_DEP_1)
	v_add_f32_e32 v26, v26, v25
	v_add_f32_e32 v27, v27, v26
	s_delay_alu instid0(VALU_DEP_1) | instskip(NEXT) | instid1(VALU_DEP_1)
	v_add_f32_e32 v28, v28, v27
	v_add_f32_e32 v29, v29, v28
	ds_store_2addr_b32 v30, v24, v25 offset1:1
	ds_store_2addr_b32 v30, v26, v27 offset0:2 offset1:3
	ds_store_2addr_b32 v30, v28, v29 offset0:4 offset1:5
.LBB191_2:
	s_or_b32 exec_lo, exec_lo, s0
	v_cmp_eq_u32_e32 vcc_lo, 0, v0
	s_mov_b32 s1, exec_lo
	s_waitcnt lgkmcnt(0)
	s_barrier
	buffer_gl0_inv
	v_cmpx_ne_u32_e32 0, v0
	s_cbranch_execz .LBB191_4
; %bb.3:
	v_add_nc_u32_e32 v0, -4, v23
	ds_load_b32 v22, v0
.LBB191_4:
	s_or_b32 exec_lo, exec_lo, s1
	s_waitcnt lgkmcnt(0)
	v_add_f32_e32 v0, v15, v22
	s_delay_alu instid0(VALU_DEP_1) | instskip(NEXT) | instid1(VALU_DEP_1)
	v_cndmask_b32_e32 v0, v0, v15, vcc_lo
	v_add_f32_e32 v15, v16, v0
	s_delay_alu instid0(VALU_DEP_1) | instskip(NEXT) | instid1(VALU_DEP_1)
	v_add_f32_e32 v16, v17, v15
	v_add_f32_e32 v17, v18, v16
	s_delay_alu instid0(VALU_DEP_1) | instskip(NEXT) | instid1(VALU_DEP_1)
	v_add_f32_e32 v18, v19, v17
	v_add_f32_e32 v19, v20, v18
	s_delay_alu instid0(VALU_DEP_1)
	v_add_f32_e32 v20, v21, v19
	s_clause 0x6
	global_store_b32 v[1:2], v0, off
	global_store_b32 v[3:4], v15, off
	;; [unrolled: 1-line block ×7, first 2 shown]
	s_and_saveexec_b32 s0, vcc_lo
	s_cbranch_execz .LBB191_6
; %bb.5:
	v_mov_b32_e32 v0, 0
	s_mov_b32 s5, 0
	s_delay_alu instid0(SALU_CYCLE_1) | instskip(NEXT) | instid1(SALU_CYCLE_1)
	s_lshl_b64 s[0:1], s[4:5], 2
	s_add_u32 s0, s2, s0
	ds_load_b32 v1, v0 offset:644
	s_addc_u32 s1, s3, s1
	s_waitcnt lgkmcnt(0)
	global_store_b32 v0, v1, s[0:1]
.LBB191_6:
	s_nop 0
	s_sendmsg sendmsg(MSG_DEALLOC_VGPRS)
	s_endpgm
	.section	.rodata,"a",@progbits
	.p2align	6, 0x0
	.amdhsa_kernel _Z34inclusive_scan_reduce_array_kernelILj162ELj7ELN6hipcub18BlockScanAlgorithmE1EfEvPT2_S3_
		.amdhsa_group_segment_fixed_size 768
		.amdhsa_private_segment_fixed_size 0
		.amdhsa_kernarg_size 16
		.amdhsa_user_sgpr_count 15
		.amdhsa_user_sgpr_dispatch_ptr 0
		.amdhsa_user_sgpr_queue_ptr 0
		.amdhsa_user_sgpr_kernarg_segment_ptr 1
		.amdhsa_user_sgpr_dispatch_id 0
		.amdhsa_user_sgpr_private_segment_size 0
		.amdhsa_wavefront_size32 1
		.amdhsa_uses_dynamic_stack 0
		.amdhsa_enable_private_segment 0
		.amdhsa_system_sgpr_workgroup_id_x 1
		.amdhsa_system_sgpr_workgroup_id_y 0
		.amdhsa_system_sgpr_workgroup_id_z 0
		.amdhsa_system_sgpr_workgroup_info 0
		.amdhsa_system_vgpr_workitem_id 0
		.amdhsa_next_free_vgpr 36
		.amdhsa_next_free_sgpr 16
		.amdhsa_reserve_vcc 1
		.amdhsa_float_round_mode_32 0
		.amdhsa_float_round_mode_16_64 0
		.amdhsa_float_denorm_mode_32 3
		.amdhsa_float_denorm_mode_16_64 3
		.amdhsa_dx10_clamp 1
		.amdhsa_ieee_mode 1
		.amdhsa_fp16_overflow 0
		.amdhsa_workgroup_processor_mode 1
		.amdhsa_memory_ordered 1
		.amdhsa_forward_progress 0
		.amdhsa_shared_vgpr_count 0
		.amdhsa_exception_fp_ieee_invalid_op 0
		.amdhsa_exception_fp_denorm_src 0
		.amdhsa_exception_fp_ieee_div_zero 0
		.amdhsa_exception_fp_ieee_overflow 0
		.amdhsa_exception_fp_ieee_underflow 0
		.amdhsa_exception_fp_ieee_inexact 0
		.amdhsa_exception_int_div_zero 0
	.end_amdhsa_kernel
	.section	.text._Z34inclusive_scan_reduce_array_kernelILj162ELj7ELN6hipcub18BlockScanAlgorithmE1EfEvPT2_S3_,"axG",@progbits,_Z34inclusive_scan_reduce_array_kernelILj162ELj7ELN6hipcub18BlockScanAlgorithmE1EfEvPT2_S3_,comdat
.Lfunc_end191:
	.size	_Z34inclusive_scan_reduce_array_kernelILj162ELj7ELN6hipcub18BlockScanAlgorithmE1EfEvPT2_S3_, .Lfunc_end191-_Z34inclusive_scan_reduce_array_kernelILj162ELj7ELN6hipcub18BlockScanAlgorithmE1EfEvPT2_S3_
                                        ; -- End function
	.section	.AMDGPU.csdata,"",@progbits
; Kernel info:
; codeLenInByte = 956
; NumSgprs: 18
; NumVgprs: 36
; ScratchSize: 0
; MemoryBound: 0
; FloatMode: 240
; IeeeMode: 1
; LDSByteSize: 768 bytes/workgroup (compile time only)
; SGPRBlocks: 2
; VGPRBlocks: 4
; NumSGPRsForWavesPerEU: 18
; NumVGPRsForWavesPerEU: 36
; Occupancy: 15
; WaveLimiterHint : 0
; COMPUTE_PGM_RSRC2:SCRATCH_EN: 0
; COMPUTE_PGM_RSRC2:USER_SGPR: 15
; COMPUTE_PGM_RSRC2:TRAP_HANDLER: 0
; COMPUTE_PGM_RSRC2:TGID_X_EN: 1
; COMPUTE_PGM_RSRC2:TGID_Y_EN: 0
; COMPUTE_PGM_RSRC2:TGID_Z_EN: 0
; COMPUTE_PGM_RSRC2:TIDIG_COMP_CNT: 0
	.section	.text._Z34inclusive_scan_reduce_array_kernelILj65ELj5ELN6hipcub18BlockScanAlgorithmE1EfEvPT2_S3_,"axG",@progbits,_Z34inclusive_scan_reduce_array_kernelILj65ELj5ELN6hipcub18BlockScanAlgorithmE1EfEvPT2_S3_,comdat
	.protected	_Z34inclusive_scan_reduce_array_kernelILj65ELj5ELN6hipcub18BlockScanAlgorithmE1EfEvPT2_S3_ ; -- Begin function _Z34inclusive_scan_reduce_array_kernelILj65ELj5ELN6hipcub18BlockScanAlgorithmE1EfEvPT2_S3_
	.globl	_Z34inclusive_scan_reduce_array_kernelILj65ELj5ELN6hipcub18BlockScanAlgorithmE1EfEvPT2_S3_
	.p2align	8
	.type	_Z34inclusive_scan_reduce_array_kernelILj65ELj5ELN6hipcub18BlockScanAlgorithmE1EfEvPT2_S3_,@function
_Z34inclusive_scan_reduce_array_kernelILj65ELj5ELN6hipcub18BlockScanAlgorithmE1EfEvPT2_S3_: ; @_Z34inclusive_scan_reduce_array_kernelILj65ELj5ELN6hipcub18BlockScanAlgorithmE1EfEvPT2_S3_
; %bb.0:
	s_mov_b32 s4, s15
	s_load_b128 s[0:3], s[0:1], 0x0
	v_mad_u64_u32 v[1:2], null, 0x41, s4, v[0:1]
	v_lshlrev_b32_e32 v17, 2, v0
	s_delay_alu instid0(VALU_DEP_2) | instskip(NEXT) | instid1(VALU_DEP_1)
	v_lshl_add_u32 v1, v1, 2, v1
	v_dual_mov_b32 v2, 0 :: v_dual_add_nc_u32 v3, 1, v1
	s_delay_alu instid0(VALU_DEP_1) | instskip(SKIP_3) | instid1(VALU_DEP_4)
	v_dual_mov_b32 v4, v2 :: v_dual_add_nc_u32 v5, 2, v1
	v_lshlrev_b64 v[9:10], 2, v[1:2]
	v_dual_mov_b32 v6, v2 :: v_dual_add_nc_u32 v7, 3, v1
	v_dual_mov_b32 v8, v2 :: v_dual_add_nc_u32 v1, 4, v1
	v_lshlrev_b64 v[3:4], 2, v[3:4]
	s_delay_alu instid0(VALU_DEP_3) | instskip(NEXT) | instid1(VALU_DEP_3)
	v_lshlrev_b64 v[5:6], 2, v[5:6]
	v_lshlrev_b64 v[7:8], 2, v[7:8]
	s_delay_alu instid0(VALU_DEP_4)
	v_lshlrev_b64 v[14:15], 2, v[1:2]
	s_waitcnt lgkmcnt(0)
	v_add_co_u32 v1, vcc_lo, s0, v9
	v_add_co_ci_u32_e32 v2, vcc_lo, s1, v10, vcc_lo
	v_add_co_u32 v3, vcc_lo, s0, v3
	v_add_co_ci_u32_e32 v4, vcc_lo, s1, v4, vcc_lo
	;; [unrolled: 2-line block ×3, first 2 shown]
	s_clause 0x1
	global_load_b32 v11, v[1:2], off
	global_load_b32 v12, v[3:4], off
	v_add_co_u32 v7, vcc_lo, s0, v7
	v_add_co_ci_u32_e32 v8, vcc_lo, s1, v8, vcc_lo
	global_load_b32 v13, v[5:6], off
	v_add_co_u32 v9, vcc_lo, s0, v14
	v_add_co_ci_u32_e32 v10, vcc_lo, s1, v15, vcc_lo
	s_clause 0x1
	global_load_b32 v14, v[7:8], off
	global_load_b32 v15, v[9:10], off
	s_mov_b32 s0, exec_lo
	s_waitcnt vmcnt(3)
	v_add_f32_e32 v16, v11, v12
	s_waitcnt vmcnt(2)
	s_delay_alu instid0(VALU_DEP_1) | instskip(SKIP_1) | instid1(VALU_DEP_1)
	v_add_f32_e32 v16, v13, v16
	s_waitcnt vmcnt(1)
	v_add_f32_e32 v16, v14, v16
	s_waitcnt vmcnt(0)
	s_delay_alu instid0(VALU_DEP_1)
	v_add_f32_e32 v16, v15, v16
	ds_store_b32 v17, v16
	s_waitcnt lgkmcnt(0)
	s_barrier
	buffer_gl0_inv
	v_cmpx_gt_u32_e32 32, v0
	s_cbranch_execz .LBB192_2
; %bb.1:
	v_mul_u32_u24_e32 v18, 3, v0
	v_mbcnt_lo_u32_b32 v23, -1, 0
	s_delay_alu instid0(VALU_DEP_2) | instskip(NEXT) | instid1(VALU_DEP_2)
	v_lshlrev_b32_e32 v20, 2, v18
	v_and_b32_e32 v26, 16, v23
	ds_load_2addr_b32 v[18:19], v20 offset1:1
	ds_load_b32 v21, v20 offset:8
	v_and_b32_e32 v25, 15, v23
	s_delay_alu instid0(VALU_DEP_1) | instskip(SKIP_3) | instid1(VALU_DEP_1)
	v_cmp_eq_u32_e32 vcc_lo, 0, v25
	s_waitcnt lgkmcnt(1)
	v_add_f32_e32 v22, v18, v19
	s_waitcnt lgkmcnt(0)
	v_add_f32_e32 v22, v22, v21
	s_delay_alu instid0(VALU_DEP_1) | instskip(NEXT) | instid1(VALU_DEP_1)
	v_mov_b32_dpp v24, v22 row_shr:1 row_mask:0xf bank_mask:0xf
	v_add_f32_e32 v24, v22, v24
	s_delay_alu instid0(VALU_DEP_1) | instskip(SKIP_1) | instid1(VALU_DEP_2)
	v_cndmask_b32_e32 v22, v24, v22, vcc_lo
	v_cmp_lt_u32_e32 vcc_lo, 1, v25
	v_mov_b32_dpp v24, v22 row_shr:2 row_mask:0xf bank_mask:0xf
	s_delay_alu instid0(VALU_DEP_1) | instskip(NEXT) | instid1(VALU_DEP_1)
	v_add_f32_e32 v24, v22, v24
	v_cndmask_b32_e32 v22, v22, v24, vcc_lo
	v_cmp_lt_u32_e32 vcc_lo, 3, v25
	s_delay_alu instid0(VALU_DEP_2) | instskip(NEXT) | instid1(VALU_DEP_1)
	v_mov_b32_dpp v24, v22 row_shr:4 row_mask:0xf bank_mask:0xf
	v_add_f32_e32 v24, v22, v24
	s_delay_alu instid0(VALU_DEP_1) | instskip(SKIP_2) | instid1(VALU_DEP_3)
	v_cndmask_b32_e32 v22, v22, v24, vcc_lo
	v_cmp_lt_u32_e32 vcc_lo, 7, v25
	v_add_nc_u32_e32 v25, -1, v23
	v_mov_b32_dpp v24, v22 row_shr:8 row_mask:0xf bank_mask:0xf
	s_delay_alu instid0(VALU_DEP_1) | instskip(NEXT) | instid1(VALU_DEP_1)
	v_add_f32_e32 v24, v22, v24
	v_cndmask_b32_e32 v22, v22, v24, vcc_lo
	s_delay_alu instid0(VALU_DEP_4) | instskip(SKIP_4) | instid1(VALU_DEP_2)
	v_cmp_gt_i32_e32 vcc_lo, 0, v25
	ds_swizzle_b32 v24, v22 offset:swizzle(BROADCAST,32,15)
	v_cndmask_b32_e32 v23, v25, v23, vcc_lo
	v_cmp_eq_u32_e32 vcc_lo, 0, v26
	s_waitcnt lgkmcnt(0)
	v_dual_add_f32 v24, v22, v24 :: v_dual_lshlrev_b32 v23, 2, v23
	s_delay_alu instid0(VALU_DEP_1) | instskip(SKIP_4) | instid1(VALU_DEP_1)
	v_cndmask_b32_e32 v22, v24, v22, vcc_lo
	v_cmp_eq_u32_e32 vcc_lo, 0, v0
	ds_bpermute_b32 v22, v23, v22
	s_waitcnt lgkmcnt(0)
	v_add_f32_e32 v18, v18, v22
	v_cndmask_b32_e32 v18, v18, v16, vcc_lo
	s_delay_alu instid0(VALU_DEP_1) | instskip(NEXT) | instid1(VALU_DEP_1)
	v_add_f32_e32 v19, v19, v18
	v_add_f32_e32 v21, v21, v19
	ds_store_2addr_b32 v20, v18, v19 offset1:1
	ds_store_b32 v20, v21 offset:8
.LBB192_2:
	s_or_b32 exec_lo, exec_lo, s0
	v_cmp_eq_u32_e32 vcc_lo, 0, v0
	s_mov_b32 s1, exec_lo
	s_waitcnt lgkmcnt(0)
	s_barrier
	buffer_gl0_inv
	v_cmpx_ne_u32_e32 0, v0
	s_cbranch_execz .LBB192_4
; %bb.3:
	v_add_nc_u32_e32 v0, -4, v17
	ds_load_b32 v16, v0
.LBB192_4:
	s_or_b32 exec_lo, exec_lo, s1
	s_waitcnt lgkmcnt(0)
	v_add_f32_e32 v0, v11, v16
	s_delay_alu instid0(VALU_DEP_1) | instskip(NEXT) | instid1(VALU_DEP_1)
	v_cndmask_b32_e32 v0, v0, v11, vcc_lo
	v_add_f32_e32 v11, v12, v0
	s_delay_alu instid0(VALU_DEP_1) | instskip(NEXT) | instid1(VALU_DEP_1)
	v_add_f32_e32 v12, v13, v11
	v_add_f32_e32 v13, v14, v12
	s_delay_alu instid0(VALU_DEP_1)
	v_add_f32_e32 v14, v15, v13
	s_clause 0x4
	global_store_b32 v[1:2], v0, off
	global_store_b32 v[3:4], v11, off
	;; [unrolled: 1-line block ×5, first 2 shown]
	s_and_saveexec_b32 s0, vcc_lo
	s_cbranch_execz .LBB192_6
; %bb.5:
	v_mov_b32_e32 v0, 0
	s_mov_b32 s5, 0
	s_delay_alu instid0(SALU_CYCLE_1) | instskip(NEXT) | instid1(SALU_CYCLE_1)
	s_lshl_b64 s[0:1], s[4:5], 2
	s_add_u32 s0, s2, s0
	ds_load_b32 v1, v0 offset:256
	s_addc_u32 s1, s3, s1
	s_waitcnt lgkmcnt(0)
	global_store_b32 v0, v1, s[0:1]
.LBB192_6:
	s_nop 0
	s_sendmsg sendmsg(MSG_DEALLOC_VGPRS)
	s_endpgm
	.section	.rodata,"a",@progbits
	.p2align	6, 0x0
	.amdhsa_kernel _Z34inclusive_scan_reduce_array_kernelILj65ELj5ELN6hipcub18BlockScanAlgorithmE1EfEvPT2_S3_
		.amdhsa_group_segment_fixed_size 384
		.amdhsa_private_segment_fixed_size 0
		.amdhsa_kernarg_size 16
		.amdhsa_user_sgpr_count 15
		.amdhsa_user_sgpr_dispatch_ptr 0
		.amdhsa_user_sgpr_queue_ptr 0
		.amdhsa_user_sgpr_kernarg_segment_ptr 1
		.amdhsa_user_sgpr_dispatch_id 0
		.amdhsa_user_sgpr_private_segment_size 0
		.amdhsa_wavefront_size32 1
		.amdhsa_uses_dynamic_stack 0
		.amdhsa_enable_private_segment 0
		.amdhsa_system_sgpr_workgroup_id_x 1
		.amdhsa_system_sgpr_workgroup_id_y 0
		.amdhsa_system_sgpr_workgroup_id_z 0
		.amdhsa_system_sgpr_workgroup_info 0
		.amdhsa_system_vgpr_workitem_id 0
		.amdhsa_next_free_vgpr 27
		.amdhsa_next_free_sgpr 16
		.amdhsa_reserve_vcc 1
		.amdhsa_float_round_mode_32 0
		.amdhsa_float_round_mode_16_64 0
		.amdhsa_float_denorm_mode_32 3
		.amdhsa_float_denorm_mode_16_64 3
		.amdhsa_dx10_clamp 1
		.amdhsa_ieee_mode 1
		.amdhsa_fp16_overflow 0
		.amdhsa_workgroup_processor_mode 1
		.amdhsa_memory_ordered 1
		.amdhsa_forward_progress 0
		.amdhsa_shared_vgpr_count 0
		.amdhsa_exception_fp_ieee_invalid_op 0
		.amdhsa_exception_fp_denorm_src 0
		.amdhsa_exception_fp_ieee_div_zero 0
		.amdhsa_exception_fp_ieee_overflow 0
		.amdhsa_exception_fp_ieee_underflow 0
		.amdhsa_exception_fp_ieee_inexact 0
		.amdhsa_exception_int_div_zero 0
	.end_amdhsa_kernel
	.section	.text._Z34inclusive_scan_reduce_array_kernelILj65ELj5ELN6hipcub18BlockScanAlgorithmE1EfEvPT2_S3_,"axG",@progbits,_Z34inclusive_scan_reduce_array_kernelILj65ELj5ELN6hipcub18BlockScanAlgorithmE1EfEvPT2_S3_,comdat
.Lfunc_end192:
	.size	_Z34inclusive_scan_reduce_array_kernelILj65ELj5ELN6hipcub18BlockScanAlgorithmE1EfEvPT2_S3_, .Lfunc_end192-_Z34inclusive_scan_reduce_array_kernelILj65ELj5ELN6hipcub18BlockScanAlgorithmE1EfEvPT2_S3_
                                        ; -- End function
	.section	.AMDGPU.csdata,"",@progbits
; Kernel info:
; codeLenInByte = 780
; NumSgprs: 18
; NumVgprs: 27
; ScratchSize: 0
; MemoryBound: 0
; FloatMode: 240
; IeeeMode: 1
; LDSByteSize: 384 bytes/workgroup (compile time only)
; SGPRBlocks: 2
; VGPRBlocks: 3
; NumSGPRsForWavesPerEU: 18
; NumVGPRsForWavesPerEU: 27
; Occupancy: 16
; WaveLimiterHint : 0
; COMPUTE_PGM_RSRC2:SCRATCH_EN: 0
; COMPUTE_PGM_RSRC2:USER_SGPR: 15
; COMPUTE_PGM_RSRC2:TRAP_HANDLER: 0
; COMPUTE_PGM_RSRC2:TGID_X_EN: 1
; COMPUTE_PGM_RSRC2:TGID_Y_EN: 0
; COMPUTE_PGM_RSRC2:TGID_Z_EN: 0
; COMPUTE_PGM_RSRC2:TIDIG_COMP_CNT: 0
	.section	.text._Z34inclusive_scan_reduce_array_kernelILj37ELj2ELN6hipcub18BlockScanAlgorithmE1EfEvPT2_S3_,"axG",@progbits,_Z34inclusive_scan_reduce_array_kernelILj37ELj2ELN6hipcub18BlockScanAlgorithmE1EfEvPT2_S3_,comdat
	.protected	_Z34inclusive_scan_reduce_array_kernelILj37ELj2ELN6hipcub18BlockScanAlgorithmE1EfEvPT2_S3_ ; -- Begin function _Z34inclusive_scan_reduce_array_kernelILj37ELj2ELN6hipcub18BlockScanAlgorithmE1EfEvPT2_S3_
	.globl	_Z34inclusive_scan_reduce_array_kernelILj37ELj2ELN6hipcub18BlockScanAlgorithmE1EfEvPT2_S3_
	.p2align	8
	.type	_Z34inclusive_scan_reduce_array_kernelILj37ELj2ELN6hipcub18BlockScanAlgorithmE1EfEvPT2_S3_,@function
_Z34inclusive_scan_reduce_array_kernelILj37ELj2ELN6hipcub18BlockScanAlgorithmE1EfEvPT2_S3_: ; @_Z34inclusive_scan_reduce_array_kernelILj37ELj2ELN6hipcub18BlockScanAlgorithmE1EfEvPT2_S3_
; %bb.0:
	s_load_b128 s[0:3], s[0:1], 0x0
	s_mul_i32 s5, s15, 37
	v_mov_b32_e32 v2, 0
	v_add_lshl_u32 v1, s5, v0, 1
	v_lshrrev_b32_e32 v5, 5, v0
	s_mov_b32 s4, s15
	s_delay_alu instid0(VALU_DEP_2) | instskip(NEXT) | instid1(VALU_DEP_2)
	v_lshlrev_b64 v[1:2], 2, v[1:2]
	v_add_lshl_u32 v6, v5, v0, 2
	s_waitcnt lgkmcnt(0)
	s_delay_alu instid0(VALU_DEP_2) | instskip(NEXT) | instid1(VALU_DEP_3)
	v_add_co_u32 v1, vcc_lo, s0, v1
	v_add_co_ci_u32_e32 v2, vcc_lo, s1, v2, vcc_lo
	s_mov_b32 s0, exec_lo
	global_load_b64 v[3:4], v[1:2], off
	s_waitcnt vmcnt(0)
	v_add_f32_e32 v5, v3, v4
	ds_store_b32 v6, v5
	s_waitcnt lgkmcnt(0)
	s_barrier
	buffer_gl0_inv
	v_cmpx_gt_u32_e32 32, v0
	s_cbranch_execz .LBB193_2
; %bb.1:
	v_lshrrev_b32_e32 v6, 2, v0
	v_mbcnt_lo_u32_b32 v10, -1, 0
	s_delay_alu instid0(VALU_DEP_2) | instskip(NEXT) | instid1(VALU_DEP_2)
	v_and_b32_e32 v6, 12, v6
	v_and_b32_e32 v13, 16, v10
	;; [unrolled: 1-line block ×3, first 2 shown]
	s_delay_alu instid0(VALU_DEP_3) | instskip(NEXT) | instid1(VALU_DEP_2)
	v_lshl_or_b32 v8, v0, 3, v6
	v_cmp_eq_u32_e32 vcc_lo, 0, v12
	ds_load_2addr_b32 v[6:7], v8 offset1:1
	s_waitcnt lgkmcnt(0)
	v_add_f32_e32 v9, v6, v7
	s_delay_alu instid0(VALU_DEP_1) | instskip(NEXT) | instid1(VALU_DEP_1)
	v_mov_b32_dpp v11, v9 row_shr:1 row_mask:0xf bank_mask:0xf
	v_add_f32_e32 v11, v9, v11
	s_delay_alu instid0(VALU_DEP_1) | instskip(SKIP_1) | instid1(VALU_DEP_2)
	v_cndmask_b32_e32 v9, v11, v9, vcc_lo
	v_cmp_lt_u32_e32 vcc_lo, 1, v12
	v_mov_b32_dpp v11, v9 row_shr:2 row_mask:0xf bank_mask:0xf
	s_delay_alu instid0(VALU_DEP_1) | instskip(NEXT) | instid1(VALU_DEP_1)
	v_add_f32_e32 v11, v9, v11
	v_cndmask_b32_e32 v9, v9, v11, vcc_lo
	v_cmp_lt_u32_e32 vcc_lo, 3, v12
	s_delay_alu instid0(VALU_DEP_2) | instskip(NEXT) | instid1(VALU_DEP_1)
	v_mov_b32_dpp v11, v9 row_shr:4 row_mask:0xf bank_mask:0xf
	v_add_f32_e32 v11, v9, v11
	s_delay_alu instid0(VALU_DEP_1) | instskip(SKIP_2) | instid1(VALU_DEP_3)
	v_cndmask_b32_e32 v9, v9, v11, vcc_lo
	v_cmp_lt_u32_e32 vcc_lo, 7, v12
	v_add_nc_u32_e32 v12, -1, v10
	v_mov_b32_dpp v11, v9 row_shr:8 row_mask:0xf bank_mask:0xf
	s_delay_alu instid0(VALU_DEP_1) | instskip(NEXT) | instid1(VALU_DEP_1)
	v_add_f32_e32 v11, v9, v11
	v_cndmask_b32_e32 v9, v9, v11, vcc_lo
	s_delay_alu instid0(VALU_DEP_4) | instskip(SKIP_4) | instid1(VALU_DEP_2)
	v_cmp_gt_i32_e32 vcc_lo, 0, v12
	ds_swizzle_b32 v11, v9 offset:swizzle(BROADCAST,32,15)
	v_cndmask_b32_e32 v10, v12, v10, vcc_lo
	v_cmp_eq_u32_e32 vcc_lo, 0, v13
	s_waitcnt lgkmcnt(0)
	v_dual_add_f32 v11, v9, v11 :: v_dual_lshlrev_b32 v10, 2, v10
	s_delay_alu instid0(VALU_DEP_1) | instskip(SKIP_4) | instid1(VALU_DEP_1)
	v_cndmask_b32_e32 v9, v11, v9, vcc_lo
	v_cmp_eq_u32_e32 vcc_lo, 0, v0
	ds_bpermute_b32 v9, v10, v9
	s_waitcnt lgkmcnt(0)
	v_add_f32_e32 v6, v6, v9
	v_cndmask_b32_e32 v6, v6, v5, vcc_lo
	s_delay_alu instid0(VALU_DEP_1)
	v_add_f32_e32 v7, v7, v6
	ds_store_2addr_b32 v8, v6, v7 offset1:1
.LBB193_2:
	s_or_b32 exec_lo, exec_lo, s0
	v_cmp_eq_u32_e32 vcc_lo, 0, v0
	s_mov_b32 s1, exec_lo
	s_waitcnt lgkmcnt(0)
	s_barrier
	buffer_gl0_inv
	v_cmpx_ne_u32_e32 0, v0
	s_cbranch_execz .LBB193_4
; %bb.3:
	v_add_nc_u32_e32 v0, -1, v0
	s_delay_alu instid0(VALU_DEP_1) | instskip(NEXT) | instid1(VALU_DEP_1)
	v_lshrrev_b32_e32 v5, 5, v0
	v_add_lshl_u32 v0, v5, v0, 2
	ds_load_b32 v5, v0
.LBB193_4:
	s_or_b32 exec_lo, exec_lo, s1
	s_waitcnt lgkmcnt(0)
	v_add_f32_e32 v0, v3, v5
	s_delay_alu instid0(VALU_DEP_1) | instskip(NEXT) | instid1(VALU_DEP_1)
	v_cndmask_b32_e32 v3, v0, v3, vcc_lo
	v_add_f32_e32 v4, v4, v3
	global_store_b64 v[1:2], v[3:4], off
	s_and_saveexec_b32 s0, vcc_lo
	s_cbranch_execz .LBB193_6
; %bb.5:
	v_mov_b32_e32 v0, 0
	s_mov_b32 s5, 0
	s_delay_alu instid0(SALU_CYCLE_1) | instskip(NEXT) | instid1(SALU_CYCLE_1)
	s_lshl_b64 s[0:1], s[4:5], 2
	s_add_u32 s0, s2, s0
	ds_load_b32 v1, v0 offset:148
	s_addc_u32 s1, s3, s1
	s_waitcnt lgkmcnt(0)
	global_store_b32 v0, v1, s[0:1]
.LBB193_6:
	s_nop 0
	s_sendmsg sendmsg(MSG_DEALLOC_VGPRS)
	s_endpgm
	.section	.rodata,"a",@progbits
	.p2align	6, 0x0
	.amdhsa_kernel _Z34inclusive_scan_reduce_array_kernelILj37ELj2ELN6hipcub18BlockScanAlgorithmE1EfEvPT2_S3_
		.amdhsa_group_segment_fixed_size 264
		.amdhsa_private_segment_fixed_size 0
		.amdhsa_kernarg_size 16
		.amdhsa_user_sgpr_count 15
		.amdhsa_user_sgpr_dispatch_ptr 0
		.amdhsa_user_sgpr_queue_ptr 0
		.amdhsa_user_sgpr_kernarg_segment_ptr 1
		.amdhsa_user_sgpr_dispatch_id 0
		.amdhsa_user_sgpr_private_segment_size 0
		.amdhsa_wavefront_size32 1
		.amdhsa_uses_dynamic_stack 0
		.amdhsa_enable_private_segment 0
		.amdhsa_system_sgpr_workgroup_id_x 1
		.amdhsa_system_sgpr_workgroup_id_y 0
		.amdhsa_system_sgpr_workgroup_id_z 0
		.amdhsa_system_sgpr_workgroup_info 0
		.amdhsa_system_vgpr_workitem_id 0
		.amdhsa_next_free_vgpr 14
		.amdhsa_next_free_sgpr 16
		.amdhsa_reserve_vcc 1
		.amdhsa_float_round_mode_32 0
		.amdhsa_float_round_mode_16_64 0
		.amdhsa_float_denorm_mode_32 3
		.amdhsa_float_denorm_mode_16_64 3
		.amdhsa_dx10_clamp 1
		.amdhsa_ieee_mode 1
		.amdhsa_fp16_overflow 0
		.amdhsa_workgroup_processor_mode 1
		.amdhsa_memory_ordered 1
		.amdhsa_forward_progress 0
		.amdhsa_shared_vgpr_count 0
		.amdhsa_exception_fp_ieee_invalid_op 0
		.amdhsa_exception_fp_denorm_src 0
		.amdhsa_exception_fp_ieee_div_zero 0
		.amdhsa_exception_fp_ieee_overflow 0
		.amdhsa_exception_fp_ieee_underflow 0
		.amdhsa_exception_fp_ieee_inexact 0
		.amdhsa_exception_int_div_zero 0
	.end_amdhsa_kernel
	.section	.text._Z34inclusive_scan_reduce_array_kernelILj37ELj2ELN6hipcub18BlockScanAlgorithmE1EfEvPT2_S3_,"axG",@progbits,_Z34inclusive_scan_reduce_array_kernelILj37ELj2ELN6hipcub18BlockScanAlgorithmE1EfEvPT2_S3_,comdat
.Lfunc_end193:
	.size	_Z34inclusive_scan_reduce_array_kernelILj37ELj2ELN6hipcub18BlockScanAlgorithmE1EfEvPT2_S3_, .Lfunc_end193-_Z34inclusive_scan_reduce_array_kernelILj37ELj2ELN6hipcub18BlockScanAlgorithmE1EfEvPT2_S3_
                                        ; -- End function
	.section	.AMDGPU.csdata,"",@progbits
; Kernel info:
; codeLenInByte = 532
; NumSgprs: 18
; NumVgprs: 14
; ScratchSize: 0
; MemoryBound: 0
; FloatMode: 240
; IeeeMode: 1
; LDSByteSize: 264 bytes/workgroup (compile time only)
; SGPRBlocks: 2
; VGPRBlocks: 1
; NumSGPRsForWavesPerEU: 18
; NumVGPRsForWavesPerEU: 14
; Occupancy: 16
; WaveLimiterHint : 0
; COMPUTE_PGM_RSRC2:SCRATCH_EN: 0
; COMPUTE_PGM_RSRC2:USER_SGPR: 15
; COMPUTE_PGM_RSRC2:TRAP_HANDLER: 0
; COMPUTE_PGM_RSRC2:TGID_X_EN: 1
; COMPUTE_PGM_RSRC2:TGID_Y_EN: 0
; COMPUTE_PGM_RSRC2:TGID_Z_EN: 0
; COMPUTE_PGM_RSRC2:TIDIG_COMP_CNT: 0
	.section	.text._Z34inclusive_scan_reduce_array_kernelILj512ELj4ELN6hipcub18BlockScanAlgorithmE1EjEvPT2_S3_,"axG",@progbits,_Z34inclusive_scan_reduce_array_kernelILj512ELj4ELN6hipcub18BlockScanAlgorithmE1EjEvPT2_S3_,comdat
	.protected	_Z34inclusive_scan_reduce_array_kernelILj512ELj4ELN6hipcub18BlockScanAlgorithmE1EjEvPT2_S3_ ; -- Begin function _Z34inclusive_scan_reduce_array_kernelILj512ELj4ELN6hipcub18BlockScanAlgorithmE1EjEvPT2_S3_
	.globl	_Z34inclusive_scan_reduce_array_kernelILj512ELj4ELN6hipcub18BlockScanAlgorithmE1EjEvPT2_S3_
	.p2align	8
	.type	_Z34inclusive_scan_reduce_array_kernelILj512ELj4ELN6hipcub18BlockScanAlgorithmE1EjEvPT2_S3_,@function
_Z34inclusive_scan_reduce_array_kernelILj512ELj4ELN6hipcub18BlockScanAlgorithmE1EjEvPT2_S3_: ; @_Z34inclusive_scan_reduce_array_kernelILj512ELj4ELN6hipcub18BlockScanAlgorithmE1EjEvPT2_S3_
; %bb.0:
	s_load_b128 s[0:3], s[0:1], 0x0
	v_lshlrev_b32_e32 v1, 2, v0
	s_mov_b32 s4, s15
	v_mov_b32_e32 v7, 0
	v_lshrrev_b32_e32 v8, 5, v0
	s_delay_alu instid0(VALU_DEP_3) | instskip(NEXT) | instid1(VALU_DEP_2)
	v_lshl_or_b32 v6, s4, 11, v1
	v_add_lshl_u32 v10, v8, v0, 2
	s_delay_alu instid0(VALU_DEP_2) | instskip(SKIP_1) | instid1(VALU_DEP_1)
	v_lshlrev_b64 v[1:2], 2, v[6:7]
	s_waitcnt lgkmcnt(0)
	v_add_co_u32 v5, vcc_lo, s0, v1
	s_delay_alu instid0(VALU_DEP_2) | instskip(SKIP_4) | instid1(VALU_DEP_1)
	v_add_co_ci_u32_e32 v6, vcc_lo, s1, v2, vcc_lo
	s_mov_b32 s0, exec_lo
	global_load_b128 v[1:4], v[5:6], off
	s_waitcnt vmcnt(0)
	v_add_nc_u32_e32 v9, v2, v1
	v_add3_u32 v8, v9, v3, v4
	ds_store_b32 v10, v8
	s_waitcnt lgkmcnt(0)
	s_barrier
	buffer_gl0_inv
	v_cmpx_gt_u32_e32 32, v0
	s_cbranch_execz .LBB194_2
; %bb.1:
	v_lshlrev_b32_e32 v9, 1, v0
	v_mbcnt_lo_u32_b32 v27, -1, 0
	s_delay_alu instid0(VALU_DEP_2) | instskip(NEXT) | instid1(VALU_DEP_2)
	v_and_b32_e32 v9, 0x3fc, v9
	v_bfe_i32 v30, v27, 4, 1
	s_delay_alu instid0(VALU_DEP_2)
	v_lshl_or_b32 v25, v0, 6, v9
	ds_load_2addr_b32 v[9:10], v25 offset1:1
	ds_load_2addr_b32 v[11:12], v25 offset0:2 offset1:3
	ds_load_2addr_b32 v[13:14], v25 offset0:4 offset1:5
	;; [unrolled: 1-line block ×4, first 2 shown]
	s_waitcnt lgkmcnt(4)
	v_add_nc_u32_e32 v19, v10, v9
	s_waitcnt lgkmcnt(3)
	s_delay_alu instid0(VALU_DEP_1)
	v_add3_u32 v21, v19, v11, v12
	ds_load_2addr_b32 v[19:20], v25 offset0:10 offset1:11
	s_waitcnt lgkmcnt(3)
	v_add3_u32 v26, v21, v13, v14
	ds_load_2addr_b32 v[21:22], v25 offset0:12 offset1:13
	ds_load_2addr_b32 v[23:24], v25 offset0:14 offset1:15
	s_waitcnt lgkmcnt(4)
	v_add3_u32 v26, v26, v15, v16
	s_waitcnt lgkmcnt(3)
	s_delay_alu instid0(VALU_DEP_1) | instskip(SKIP_1) | instid1(VALU_DEP_1)
	v_add3_u32 v26, v26, v17, v18
	s_waitcnt lgkmcnt(2)
	v_add3_u32 v26, v26, v19, v20
	s_waitcnt lgkmcnt(1)
	s_delay_alu instid0(VALU_DEP_1) | instskip(SKIP_1) | instid1(VALU_DEP_1)
	v_add3_u32 v26, v26, v21, v22
	s_waitcnt lgkmcnt(0)
	v_add3_u32 v26, v26, v23, v24
	s_delay_alu instid0(VALU_DEP_1) | instskip(SKIP_1) | instid1(VALU_DEP_1)
	v_mov_b32_dpp v29, v26 row_shr:1 row_mask:0xf bank_mask:0xf
	v_and_b32_e32 v28, 15, v27
	v_cmp_ne_u32_e32 vcc_lo, 0, v28
	s_delay_alu instid0(VALU_DEP_3) | instskip(SKIP_1) | instid1(VALU_DEP_2)
	v_cndmask_b32_e32 v29, 0, v29, vcc_lo
	v_cmp_lt_u32_e32 vcc_lo, 1, v28
	v_add_nc_u32_e32 v26, v29, v26
	s_delay_alu instid0(VALU_DEP_1) | instskip(NEXT) | instid1(VALU_DEP_1)
	v_mov_b32_dpp v29, v26 row_shr:2 row_mask:0xf bank_mask:0xf
	v_cndmask_b32_e32 v29, 0, v29, vcc_lo
	v_cmp_lt_u32_e32 vcc_lo, 3, v28
	s_delay_alu instid0(VALU_DEP_2) | instskip(NEXT) | instid1(VALU_DEP_1)
	v_add_nc_u32_e32 v26, v26, v29
	v_mov_b32_dpp v29, v26 row_shr:4 row_mask:0xf bank_mask:0xf
	s_delay_alu instid0(VALU_DEP_1) | instskip(SKIP_1) | instid1(VALU_DEP_2)
	v_cndmask_b32_e32 v29, 0, v29, vcc_lo
	v_cmp_lt_u32_e32 vcc_lo, 7, v28
	v_add_nc_u32_e32 v26, v26, v29
	s_delay_alu instid0(VALU_DEP_1) | instskip(NEXT) | instid1(VALU_DEP_1)
	v_mov_b32_dpp v29, v26 row_shr:8 row_mask:0xf bank_mask:0xf
	v_dual_cndmask_b32 v28, 0, v29 :: v_dual_add_nc_u32 v29, -1, v27
	s_delay_alu instid0(VALU_DEP_1) | instskip(NEXT) | instid1(VALU_DEP_2)
	v_add_nc_u32_e32 v26, v26, v28
	v_cmp_gt_i32_e32 vcc_lo, 0, v29
	ds_swizzle_b32 v28, v26 offset:swizzle(BROADCAST,32,15)
	v_cndmask_b32_e32 v27, v29, v27, vcc_lo
	v_cmp_eq_u32_e32 vcc_lo, 0, v0
	s_delay_alu instid0(VALU_DEP_2) | instskip(SKIP_2) | instid1(VALU_DEP_1)
	v_lshlrev_b32_e32 v27, 2, v27
	s_waitcnt lgkmcnt(0)
	v_and_b32_e32 v28, v30, v28
	v_add_nc_u32_e32 v26, v26, v28
	ds_bpermute_b32 v26, v27, v26
	s_waitcnt lgkmcnt(0)
	v_add_nc_u32_e32 v9, v26, v9
	s_delay_alu instid0(VALU_DEP_1) | instskip(NEXT) | instid1(VALU_DEP_1)
	v_cndmask_b32_e32 v8, v9, v8, vcc_lo
	v_add_nc_u32_e32 v9, v8, v10
	s_delay_alu instid0(VALU_DEP_1) | instskip(NEXT) | instid1(VALU_DEP_1)
	v_add_nc_u32_e32 v10, v9, v11
	v_add_nc_u32_e32 v11, v10, v12
	s_delay_alu instid0(VALU_DEP_1) | instskip(NEXT) | instid1(VALU_DEP_1)
	v_add_nc_u32_e32 v12, v11, v13
	;; [unrolled: 3-line block ×7, first 2 shown]
	v_add_nc_u32_e32 v23, v22, v24
	ds_store_2addr_b32 v25, v8, v9 offset1:1
	ds_store_2addr_b32 v25, v10, v11 offset0:2 offset1:3
	ds_store_2addr_b32 v25, v12, v13 offset0:4 offset1:5
	;; [unrolled: 1-line block ×7, first 2 shown]
.LBB194_2:
	s_or_b32 exec_lo, exec_lo, s0
	v_cmp_eq_u32_e32 vcc_lo, 0, v0
	s_mov_b32 s1, exec_lo
	s_waitcnt lgkmcnt(0)
	s_barrier
	buffer_gl0_inv
	v_cmpx_ne_u32_e32 0, v0
	s_cbranch_execz .LBB194_4
; %bb.3:
	v_add_nc_u32_e32 v0, -1, v0
	s_delay_alu instid0(VALU_DEP_1) | instskip(NEXT) | instid1(VALU_DEP_1)
	v_lshrrev_b32_e32 v7, 5, v0
	v_add_lshl_u32 v0, v7, v0, 2
	ds_load_b32 v7, v0
.LBB194_4:
	s_or_b32 exec_lo, exec_lo, s1
	s_waitcnt lgkmcnt(0)
	v_add_nc_u32_e32 v0, v7, v1
	s_delay_alu instid0(VALU_DEP_1) | instskip(NEXT) | instid1(VALU_DEP_1)
	v_add_nc_u32_e32 v1, v0, v2
	v_add_nc_u32_e32 v2, v1, v3
	s_delay_alu instid0(VALU_DEP_1)
	v_add_nc_u32_e32 v3, v2, v4
	global_store_b128 v[5:6], v[0:3], off
	s_and_saveexec_b32 s0, vcc_lo
	s_cbranch_execz .LBB194_6
; %bb.5:
	v_mov_b32_e32 v0, 0
	s_mov_b32 s5, 0
	s_delay_alu instid0(SALU_CYCLE_1) | instskip(NEXT) | instid1(SALU_CYCLE_1)
	s_lshl_b64 s[0:1], s[4:5], 2
	s_add_u32 s0, s2, s0
	ds_load_b32 v1, v0 offset:2104
	s_addc_u32 s1, s3, s1
	s_waitcnt lgkmcnt(0)
	global_store_b32 v0, v1, s[0:1]
.LBB194_6:
	s_nop 0
	s_sendmsg sendmsg(MSG_DEALLOC_VGPRS)
	s_endpgm
	.section	.rodata,"a",@progbits
	.p2align	6, 0x0
	.amdhsa_kernel _Z34inclusive_scan_reduce_array_kernelILj512ELj4ELN6hipcub18BlockScanAlgorithmE1EjEvPT2_S3_
		.amdhsa_group_segment_fixed_size 2112
		.amdhsa_private_segment_fixed_size 0
		.amdhsa_kernarg_size 16
		.amdhsa_user_sgpr_count 15
		.amdhsa_user_sgpr_dispatch_ptr 0
		.amdhsa_user_sgpr_queue_ptr 0
		.amdhsa_user_sgpr_kernarg_segment_ptr 1
		.amdhsa_user_sgpr_dispatch_id 0
		.amdhsa_user_sgpr_private_segment_size 0
		.amdhsa_wavefront_size32 1
		.amdhsa_uses_dynamic_stack 0
		.amdhsa_enable_private_segment 0
		.amdhsa_system_sgpr_workgroup_id_x 1
		.amdhsa_system_sgpr_workgroup_id_y 0
		.amdhsa_system_sgpr_workgroup_id_z 0
		.amdhsa_system_sgpr_workgroup_info 0
		.amdhsa_system_vgpr_workitem_id 0
		.amdhsa_next_free_vgpr 31
		.amdhsa_next_free_sgpr 16
		.amdhsa_reserve_vcc 1
		.amdhsa_float_round_mode_32 0
		.amdhsa_float_round_mode_16_64 0
		.amdhsa_float_denorm_mode_32 3
		.amdhsa_float_denorm_mode_16_64 3
		.amdhsa_dx10_clamp 1
		.amdhsa_ieee_mode 1
		.amdhsa_fp16_overflow 0
		.amdhsa_workgroup_processor_mode 1
		.amdhsa_memory_ordered 1
		.amdhsa_forward_progress 0
		.amdhsa_shared_vgpr_count 0
		.amdhsa_exception_fp_ieee_invalid_op 0
		.amdhsa_exception_fp_denorm_src 0
		.amdhsa_exception_fp_ieee_div_zero 0
		.amdhsa_exception_fp_ieee_overflow 0
		.amdhsa_exception_fp_ieee_underflow 0
		.amdhsa_exception_fp_ieee_inexact 0
		.amdhsa_exception_int_div_zero 0
	.end_amdhsa_kernel
	.section	.text._Z34inclusive_scan_reduce_array_kernelILj512ELj4ELN6hipcub18BlockScanAlgorithmE1EjEvPT2_S3_,"axG",@progbits,_Z34inclusive_scan_reduce_array_kernelILj512ELj4ELN6hipcub18BlockScanAlgorithmE1EjEvPT2_S3_,comdat
.Lfunc_end194:
	.size	_Z34inclusive_scan_reduce_array_kernelILj512ELj4ELN6hipcub18BlockScanAlgorithmE1EjEvPT2_S3_, .Lfunc_end194-_Z34inclusive_scan_reduce_array_kernelILj512ELj4ELN6hipcub18BlockScanAlgorithmE1EjEvPT2_S3_
                                        ; -- End function
	.section	.AMDGPU.csdata,"",@progbits
; Kernel info:
; codeLenInByte = 848
; NumSgprs: 18
; NumVgprs: 31
; ScratchSize: 0
; MemoryBound: 0
; FloatMode: 240
; IeeeMode: 1
; LDSByteSize: 2112 bytes/workgroup (compile time only)
; SGPRBlocks: 2
; VGPRBlocks: 3
; NumSGPRsForWavesPerEU: 18
; NumVGPRsForWavesPerEU: 31
; Occupancy: 16
; WaveLimiterHint : 0
; COMPUTE_PGM_RSRC2:SCRATCH_EN: 0
; COMPUTE_PGM_RSRC2:USER_SGPR: 15
; COMPUTE_PGM_RSRC2:TRAP_HANDLER: 0
; COMPUTE_PGM_RSRC2:TGID_X_EN: 1
; COMPUTE_PGM_RSRC2:TGID_Y_EN: 0
; COMPUTE_PGM_RSRC2:TGID_Z_EN: 0
; COMPUTE_PGM_RSRC2:TIDIG_COMP_CNT: 0
	.section	.text._Z34inclusive_scan_reduce_array_kernelILj256ELj3ELN6hipcub18BlockScanAlgorithmE1EiEvPT2_S3_,"axG",@progbits,_Z34inclusive_scan_reduce_array_kernelILj256ELj3ELN6hipcub18BlockScanAlgorithmE1EiEvPT2_S3_,comdat
	.protected	_Z34inclusive_scan_reduce_array_kernelILj256ELj3ELN6hipcub18BlockScanAlgorithmE1EiEvPT2_S3_ ; -- Begin function _Z34inclusive_scan_reduce_array_kernelILj256ELj3ELN6hipcub18BlockScanAlgorithmE1EiEvPT2_S3_
	.globl	_Z34inclusive_scan_reduce_array_kernelILj256ELj3ELN6hipcub18BlockScanAlgorithmE1EiEvPT2_S3_
	.p2align	8
	.type	_Z34inclusive_scan_reduce_array_kernelILj256ELj3ELN6hipcub18BlockScanAlgorithmE1EiEvPT2_S3_,@function
_Z34inclusive_scan_reduce_array_kernelILj256ELj3ELN6hipcub18BlockScanAlgorithmE1EiEvPT2_S3_: ; @_Z34inclusive_scan_reduce_array_kernelILj256ELj3ELN6hipcub18BlockScanAlgorithmE1EiEvPT2_S3_
; %bb.0:
	s_mov_b32 s4, s15
	s_load_b128 s[0:3], s[0:1], 0x0
	v_lshl_or_b32 v1, s4, 8, v0
	v_lshrrev_b32_e32 v11, 5, v0
	s_delay_alu instid0(VALU_DEP_2) | instskip(SKIP_1) | instid1(VALU_DEP_3)
	v_lshl_add_u32 v1, v1, 1, v1
	v_mov_b32_e32 v2, 0
	v_add_lshl_u32 v12, v11, v0, 2
	s_delay_alu instid0(VALU_DEP_2) | instskip(SKIP_2) | instid1(VALU_DEP_3)
	v_dual_mov_b32 v4, v2 :: v_dual_add_nc_u32 v3, 1, v1
	v_lshlrev_b64 v[5:6], 2, v[1:2]
	v_add_nc_u32_e32 v1, 2, v1
	v_lshlrev_b64 v[7:8], 2, v[3:4]
	s_delay_alu instid0(VALU_DEP_2) | instskip(SKIP_1) | instid1(VALU_DEP_4)
	v_lshlrev_b64 v[9:10], 2, v[1:2]
	s_waitcnt lgkmcnt(0)
	v_add_co_u32 v3, vcc_lo, s0, v5
	v_add_co_ci_u32_e32 v4, vcc_lo, s1, v6, vcc_lo
	s_delay_alu instid0(VALU_DEP_4)
	v_add_co_u32 v5, vcc_lo, s0, v7
	v_add_co_ci_u32_e32 v6, vcc_lo, s1, v8, vcc_lo
	v_add_co_u32 v7, vcc_lo, s0, v9
	v_add_co_ci_u32_e32 v8, vcc_lo, s1, v10, vcc_lo
	s_clause 0x2
	global_load_b32 v1, v[3:4], off
	global_load_b32 v9, v[5:6], off
	;; [unrolled: 1-line block ×3, first 2 shown]
	s_mov_b32 s0, exec_lo
	s_waitcnt vmcnt(0)
	v_add3_u32 v11, v9, v1, v10
	ds_store_b32 v12, v11
	s_waitcnt lgkmcnt(0)
	s_barrier
	buffer_gl0_inv
	v_cmpx_gt_u32_e32 32, v0
	s_cbranch_execz .LBB195_2
; %bb.1:
	v_and_b32_e32 v12, 0xfc, v0
	v_mbcnt_lo_u32_b32 v22, -1, 0
	s_delay_alu instid0(VALU_DEP_2) | instskip(NEXT) | instid1(VALU_DEP_2)
	v_lshl_or_b32 v20, v0, 5, v12
	v_add_nc_u32_e32 v25, -1, v22
	ds_load_2addr_b32 v[12:13], v20 offset1:1
	ds_load_2addr_b32 v[14:15], v20 offset0:2 offset1:3
	ds_load_2addr_b32 v[16:17], v20 offset0:4 offset1:5
	;; [unrolled: 1-line block ×3, first 2 shown]
	s_waitcnt lgkmcnt(3)
	v_add_nc_u32_e32 v21, v13, v12
	s_waitcnt lgkmcnt(2)
	s_delay_alu instid0(VALU_DEP_1) | instskip(SKIP_1) | instid1(VALU_DEP_1)
	v_add3_u32 v21, v21, v14, v15
	s_waitcnt lgkmcnt(1)
	v_add3_u32 v21, v21, v16, v17
	s_waitcnt lgkmcnt(0)
	s_delay_alu instid0(VALU_DEP_1) | instskip(NEXT) | instid1(VALU_DEP_1)
	v_add3_u32 v21, v21, v18, v19
	v_mov_b32_dpp v24, v21 row_shr:1 row_mask:0xf bank_mask:0xf
	v_and_b32_e32 v23, 15, v22
	s_delay_alu instid0(VALU_DEP_1) | instskip(NEXT) | instid1(VALU_DEP_3)
	v_cmp_ne_u32_e32 vcc_lo, 0, v23
	v_cndmask_b32_e32 v24, 0, v24, vcc_lo
	v_cmp_lt_u32_e32 vcc_lo, 1, v23
	s_delay_alu instid0(VALU_DEP_2) | instskip(NEXT) | instid1(VALU_DEP_1)
	v_add_nc_u32_e32 v21, v24, v21
	v_mov_b32_dpp v24, v21 row_shr:2 row_mask:0xf bank_mask:0xf
	s_delay_alu instid0(VALU_DEP_1) | instskip(SKIP_1) | instid1(VALU_DEP_2)
	v_cndmask_b32_e32 v24, 0, v24, vcc_lo
	v_cmp_lt_u32_e32 vcc_lo, 3, v23
	v_add_nc_u32_e32 v21, v21, v24
	s_delay_alu instid0(VALU_DEP_1) | instskip(NEXT) | instid1(VALU_DEP_1)
	v_mov_b32_dpp v24, v21 row_shr:4 row_mask:0xf bank_mask:0xf
	v_cndmask_b32_e32 v24, 0, v24, vcc_lo
	v_cmp_lt_u32_e32 vcc_lo, 7, v23
	s_delay_alu instid0(VALU_DEP_2) | instskip(NEXT) | instid1(VALU_DEP_1)
	v_add_nc_u32_e32 v21, v21, v24
	v_mov_b32_dpp v24, v21 row_shr:8 row_mask:0xf bank_mask:0xf
	s_delay_alu instid0(VALU_DEP_1) | instskip(SKIP_3) | instid1(VALU_DEP_4)
	v_cndmask_b32_e32 v23, 0, v24, vcc_lo
	v_cmp_gt_i32_e32 vcc_lo, 0, v25
	v_bfe_i32 v24, v22, 4, 1
	v_cndmask_b32_e32 v22, v25, v22, vcc_lo
	v_add_nc_u32_e32 v21, v21, v23
	v_cmp_eq_u32_e32 vcc_lo, 0, v0
	s_delay_alu instid0(VALU_DEP_3) | instskip(SKIP_3) | instid1(VALU_DEP_1)
	v_lshlrev_b32_e32 v22, 2, v22
	ds_swizzle_b32 v23, v21 offset:swizzle(BROADCAST,32,15)
	s_waitcnt lgkmcnt(0)
	v_and_b32_e32 v23, v24, v23
	v_add_nc_u32_e32 v21, v21, v23
	ds_bpermute_b32 v21, v22, v21
	s_waitcnt lgkmcnt(0)
	v_add_nc_u32_e32 v12, v21, v12
	s_delay_alu instid0(VALU_DEP_1) | instskip(NEXT) | instid1(VALU_DEP_1)
	v_cndmask_b32_e32 v11, v12, v11, vcc_lo
	v_add_nc_u32_e32 v12, v11, v13
	s_delay_alu instid0(VALU_DEP_1) | instskip(NEXT) | instid1(VALU_DEP_1)
	v_add_nc_u32_e32 v13, v12, v14
	v_add_nc_u32_e32 v14, v13, v15
	s_delay_alu instid0(VALU_DEP_1) | instskip(NEXT) | instid1(VALU_DEP_1)
	v_add_nc_u32_e32 v15, v14, v16
	;; [unrolled: 3-line block ×3, first 2 shown]
	v_add_nc_u32_e32 v18, v17, v19
	ds_store_2addr_b32 v20, v11, v12 offset1:1
	ds_store_2addr_b32 v20, v13, v14 offset0:2 offset1:3
	ds_store_2addr_b32 v20, v15, v16 offset0:4 offset1:5
	ds_store_2addr_b32 v20, v17, v18 offset0:6 offset1:7
.LBB195_2:
	s_or_b32 exec_lo, exec_lo, s0
	v_cmp_eq_u32_e32 vcc_lo, 0, v0
	s_mov_b32 s1, exec_lo
	s_waitcnt lgkmcnt(0)
	s_barrier
	buffer_gl0_inv
	v_cmpx_ne_u32_e32 0, v0
	s_cbranch_execz .LBB195_4
; %bb.3:
	v_add_nc_u32_e32 v0, -1, v0
	s_delay_alu instid0(VALU_DEP_1) | instskip(NEXT) | instid1(VALU_DEP_1)
	v_lshrrev_b32_e32 v2, 5, v0
	v_add_lshl_u32 v0, v2, v0, 2
	ds_load_b32 v2, v0
.LBB195_4:
	s_or_b32 exec_lo, exec_lo, s1
	s_waitcnt lgkmcnt(0)
	v_add_nc_u32_e32 v0, v2, v1
	s_delay_alu instid0(VALU_DEP_1) | instskip(NEXT) | instid1(VALU_DEP_1)
	v_add_nc_u32_e32 v1, v0, v9
	v_add_nc_u32_e32 v2, v1, v10
	s_clause 0x2
	global_store_b32 v[3:4], v0, off
	global_store_b32 v[5:6], v1, off
	;; [unrolled: 1-line block ×3, first 2 shown]
	s_and_saveexec_b32 s0, vcc_lo
	s_cbranch_execz .LBB195_6
; %bb.5:
	v_mov_b32_e32 v0, 0
	s_mov_b32 s5, 0
	s_delay_alu instid0(SALU_CYCLE_1) | instskip(NEXT) | instid1(SALU_CYCLE_1)
	s_lshl_b64 s[0:1], s[4:5], 2
	s_add_u32 s0, s2, s0
	ds_load_b32 v1, v0 offset:1048
	s_addc_u32 s1, s3, s1
	s_waitcnt lgkmcnt(0)
	global_store_b32 v0, v1, s[0:1]
.LBB195_6:
	s_nop 0
	s_sendmsg sendmsg(MSG_DEALLOC_VGPRS)
	s_endpgm
	.section	.rodata,"a",@progbits
	.p2align	6, 0x0
	.amdhsa_kernel _Z34inclusive_scan_reduce_array_kernelILj256ELj3ELN6hipcub18BlockScanAlgorithmE1EiEvPT2_S3_
		.amdhsa_group_segment_fixed_size 1056
		.amdhsa_private_segment_fixed_size 0
		.amdhsa_kernarg_size 16
		.amdhsa_user_sgpr_count 15
		.amdhsa_user_sgpr_dispatch_ptr 0
		.amdhsa_user_sgpr_queue_ptr 0
		.amdhsa_user_sgpr_kernarg_segment_ptr 1
		.amdhsa_user_sgpr_dispatch_id 0
		.amdhsa_user_sgpr_private_segment_size 0
		.amdhsa_wavefront_size32 1
		.amdhsa_uses_dynamic_stack 0
		.amdhsa_enable_private_segment 0
		.amdhsa_system_sgpr_workgroup_id_x 1
		.amdhsa_system_sgpr_workgroup_id_y 0
		.amdhsa_system_sgpr_workgroup_id_z 0
		.amdhsa_system_sgpr_workgroup_info 0
		.amdhsa_system_vgpr_workitem_id 0
		.amdhsa_next_free_vgpr 26
		.amdhsa_next_free_sgpr 16
		.amdhsa_reserve_vcc 1
		.amdhsa_float_round_mode_32 0
		.amdhsa_float_round_mode_16_64 0
		.amdhsa_float_denorm_mode_32 3
		.amdhsa_float_denorm_mode_16_64 3
		.amdhsa_dx10_clamp 1
		.amdhsa_ieee_mode 1
		.amdhsa_fp16_overflow 0
		.amdhsa_workgroup_processor_mode 1
		.amdhsa_memory_ordered 1
		.amdhsa_forward_progress 0
		.amdhsa_shared_vgpr_count 0
		.amdhsa_exception_fp_ieee_invalid_op 0
		.amdhsa_exception_fp_denorm_src 0
		.amdhsa_exception_fp_ieee_div_zero 0
		.amdhsa_exception_fp_ieee_overflow 0
		.amdhsa_exception_fp_ieee_underflow 0
		.amdhsa_exception_fp_ieee_inexact 0
		.amdhsa_exception_int_div_zero 0
	.end_amdhsa_kernel
	.section	.text._Z34inclusive_scan_reduce_array_kernelILj256ELj3ELN6hipcub18BlockScanAlgorithmE1EiEvPT2_S3_,"axG",@progbits,_Z34inclusive_scan_reduce_array_kernelILj256ELj3ELN6hipcub18BlockScanAlgorithmE1EiEvPT2_S3_,comdat
.Lfunc_end195:
	.size	_Z34inclusive_scan_reduce_array_kernelILj256ELj3ELN6hipcub18BlockScanAlgorithmE1EiEvPT2_S3_, .Lfunc_end195-_Z34inclusive_scan_reduce_array_kernelILj256ELj3ELN6hipcub18BlockScanAlgorithmE1EiEvPT2_S3_
                                        ; -- End function
	.section	.AMDGPU.csdata,"",@progbits
; Kernel info:
; codeLenInByte = 760
; NumSgprs: 18
; NumVgprs: 26
; ScratchSize: 0
; MemoryBound: 0
; FloatMode: 240
; IeeeMode: 1
; LDSByteSize: 1056 bytes/workgroup (compile time only)
; SGPRBlocks: 2
; VGPRBlocks: 3
; NumSGPRsForWavesPerEU: 18
; NumVGPRsForWavesPerEU: 26
; Occupancy: 16
; WaveLimiterHint : 0
; COMPUTE_PGM_RSRC2:SCRATCH_EN: 0
; COMPUTE_PGM_RSRC2:USER_SGPR: 15
; COMPUTE_PGM_RSRC2:TRAP_HANDLER: 0
; COMPUTE_PGM_RSRC2:TGID_X_EN: 1
; COMPUTE_PGM_RSRC2:TGID_Y_EN: 0
; COMPUTE_PGM_RSRC2:TGID_Z_EN: 0
; COMPUTE_PGM_RSRC2:TIDIG_COMP_CNT: 0
	.section	.text._Z34inclusive_scan_reduce_array_kernelILj32ELj2ELN6hipcub18BlockScanAlgorithmE1EfEvPT2_S3_,"axG",@progbits,_Z34inclusive_scan_reduce_array_kernelILj32ELj2ELN6hipcub18BlockScanAlgorithmE1EfEvPT2_S3_,comdat
	.protected	_Z34inclusive_scan_reduce_array_kernelILj32ELj2ELN6hipcub18BlockScanAlgorithmE1EfEvPT2_S3_ ; -- Begin function _Z34inclusive_scan_reduce_array_kernelILj32ELj2ELN6hipcub18BlockScanAlgorithmE1EfEvPT2_S3_
	.globl	_Z34inclusive_scan_reduce_array_kernelILj32ELj2ELN6hipcub18BlockScanAlgorithmE1EfEvPT2_S3_
	.p2align	8
	.type	_Z34inclusive_scan_reduce_array_kernelILj32ELj2ELN6hipcub18BlockScanAlgorithmE1EfEvPT2_S3_,@function
_Z34inclusive_scan_reduce_array_kernelILj32ELj2ELN6hipcub18BlockScanAlgorithmE1EfEvPT2_S3_: ; @_Z34inclusive_scan_reduce_array_kernelILj32ELj2ELN6hipcub18BlockScanAlgorithmE1EfEvPT2_S3_
; %bb.0:
	s_load_b128 s[0:3], s[0:1], 0x0
	v_lshlrev_b32_e32 v1, 1, v0
	s_mov_b32 s4, s15
	v_mov_b32_e32 v5, 0
	v_mbcnt_lo_u32_b32 v6, -1, 0
	s_delay_alu instid0(VALU_DEP_3) | instskip(NEXT) | instid1(VALU_DEP_2)
	v_lshl_or_b32 v4, s4, 6, v1
	v_and_b32_e32 v9, 15, v6
	s_delay_alu instid0(VALU_DEP_2) | instskip(SKIP_1) | instid1(VALU_DEP_1)
	v_lshlrev_b64 v[1:2], 2, v[4:5]
	s_waitcnt lgkmcnt(0)
	v_add_co_u32 v1, vcc_lo, s0, v1
	s_delay_alu instid0(VALU_DEP_2)
	v_add_co_ci_u32_e32 v2, vcc_lo, s1, v2, vcc_lo
	v_cmp_eq_u32_e32 vcc_lo, 0, v9
	s_mov_b32 s0, exec_lo
	global_load_b64 v[3:4], v[1:2], off
	s_waitcnt vmcnt(0)
	v_add_f32_e32 v7, v3, v4
	s_delay_alu instid0(VALU_DEP_1) | instskip(NEXT) | instid1(VALU_DEP_1)
	v_mov_b32_dpp v8, v7 row_shr:1 row_mask:0xf bank_mask:0xf
	v_add_f32_e32 v8, v7, v8
	s_delay_alu instid0(VALU_DEP_1) | instskip(NEXT) | instid1(VALU_DEP_1)
	v_cndmask_b32_e32 v7, v8, v7, vcc_lo
	v_mov_b32_dpp v8, v7 row_shr:2 row_mask:0xf bank_mask:0xf
	s_delay_alu instid0(VALU_DEP_1) | instskip(SKIP_1) | instid1(VALU_DEP_2)
	v_add_f32_e32 v8, v7, v8
	v_cmp_lt_u32_e32 vcc_lo, 1, v9
	v_cndmask_b32_e32 v7, v7, v8, vcc_lo
	v_cmp_lt_u32_e32 vcc_lo, 3, v9
	s_delay_alu instid0(VALU_DEP_2) | instskip(NEXT) | instid1(VALU_DEP_1)
	v_mov_b32_dpp v8, v7 row_shr:4 row_mask:0xf bank_mask:0xf
	v_add_f32_e32 v8, v7, v8
	s_delay_alu instid0(VALU_DEP_1) | instskip(SKIP_2) | instid1(VALU_DEP_3)
	v_cndmask_b32_e32 v7, v7, v8, vcc_lo
	v_cmp_lt_u32_e32 vcc_lo, 7, v9
	v_and_b32_e32 v9, 16, v6
	v_mov_b32_dpp v8, v7 row_shr:8 row_mask:0xf bank_mask:0xf
	s_delay_alu instid0(VALU_DEP_1) | instskip(NEXT) | instid1(VALU_DEP_1)
	v_add_f32_e32 v8, v7, v8
	v_cndmask_b32_e32 v7, v7, v8, vcc_lo
	s_delay_alu instid0(VALU_DEP_4) | instskip(SKIP_3) | instid1(VALU_DEP_1)
	v_cmp_eq_u32_e32 vcc_lo, 0, v9
	ds_swizzle_b32 v8, v7 offset:swizzle(BROADCAST,32,15)
	s_waitcnt lgkmcnt(0)
	v_add_f32_e32 v8, v7, v8
	v_cndmask_b32_e32 v7, v8, v7, vcc_lo
	v_cmpx_eq_u32_e32 31, v0
	s_cbranch_execz .LBB196_2
; %bb.1:
	ds_store_b32 v5, v7
.LBB196_2:
	s_or_b32 exec_lo, exec_lo, s0
	v_add_nc_u32_e32 v5, -1, v6
	s_waitcnt vmcnt(0) lgkmcnt(0)
	s_waitcnt_vscnt null, 0x0
	; wave barrier
	s_waitcnt lgkmcnt(0)
	buffer_gl0_inv
	v_cmp_gt_i32_e32 vcc_lo, 0, v5
	v_cndmask_b32_e32 v5, v5, v6, vcc_lo
	v_cmp_eq_u32_e32 vcc_lo, 0, v0
	s_delay_alu instid0(VALU_DEP_2) | instskip(SKIP_3) | instid1(VALU_DEP_1)
	v_lshlrev_b32_e32 v5, 2, v5
	ds_bpermute_b32 v5, v5, v7
	s_waitcnt lgkmcnt(0)
	v_add_f32_e32 v5, v3, v5
	v_cndmask_b32_e32 v3, v5, v3, vcc_lo
	s_delay_alu instid0(VALU_DEP_1)
	v_add_f32_e32 v4, v4, v3
	global_store_b64 v[1:2], v[3:4], off
	s_and_saveexec_b32 s0, vcc_lo
	s_cbranch_execz .LBB196_4
; %bb.3:
	v_mov_b32_e32 v0, 0
	s_mov_b32 s5, 0
	s_delay_alu instid0(SALU_CYCLE_1) | instskip(NEXT) | instid1(SALU_CYCLE_1)
	s_lshl_b64 s[0:1], s[4:5], 2
	s_add_u32 s0, s2, s0
	ds_load_b32 v1, v0
	s_addc_u32 s1, s3, s1
	s_waitcnt lgkmcnt(0)
	global_store_b32 v0, v1, s[0:1]
.LBB196_4:
	s_nop 0
	s_sendmsg sendmsg(MSG_DEALLOC_VGPRS)
	s_endpgm
	.section	.rodata,"a",@progbits
	.p2align	6, 0x0
	.amdhsa_kernel _Z34inclusive_scan_reduce_array_kernelILj32ELj2ELN6hipcub18BlockScanAlgorithmE1EfEvPT2_S3_
		.amdhsa_group_segment_fixed_size 4
		.amdhsa_private_segment_fixed_size 0
		.amdhsa_kernarg_size 16
		.amdhsa_user_sgpr_count 15
		.amdhsa_user_sgpr_dispatch_ptr 0
		.amdhsa_user_sgpr_queue_ptr 0
		.amdhsa_user_sgpr_kernarg_segment_ptr 1
		.amdhsa_user_sgpr_dispatch_id 0
		.amdhsa_user_sgpr_private_segment_size 0
		.amdhsa_wavefront_size32 1
		.amdhsa_uses_dynamic_stack 0
		.amdhsa_enable_private_segment 0
		.amdhsa_system_sgpr_workgroup_id_x 1
		.amdhsa_system_sgpr_workgroup_id_y 0
		.amdhsa_system_sgpr_workgroup_id_z 0
		.amdhsa_system_sgpr_workgroup_info 0
		.amdhsa_system_vgpr_workitem_id 0
		.amdhsa_next_free_vgpr 10
		.amdhsa_next_free_sgpr 16
		.amdhsa_reserve_vcc 1
		.amdhsa_float_round_mode_32 0
		.amdhsa_float_round_mode_16_64 0
		.amdhsa_float_denorm_mode_32 3
		.amdhsa_float_denorm_mode_16_64 3
		.amdhsa_dx10_clamp 1
		.amdhsa_ieee_mode 1
		.amdhsa_fp16_overflow 0
		.amdhsa_workgroup_processor_mode 1
		.amdhsa_memory_ordered 1
		.amdhsa_forward_progress 0
		.amdhsa_shared_vgpr_count 0
		.amdhsa_exception_fp_ieee_invalid_op 0
		.amdhsa_exception_fp_denorm_src 0
		.amdhsa_exception_fp_ieee_div_zero 0
		.amdhsa_exception_fp_ieee_overflow 0
		.amdhsa_exception_fp_ieee_underflow 0
		.amdhsa_exception_fp_ieee_inexact 0
		.amdhsa_exception_int_div_zero 0
	.end_amdhsa_kernel
	.section	.text._Z34inclusive_scan_reduce_array_kernelILj32ELj2ELN6hipcub18BlockScanAlgorithmE1EfEvPT2_S3_,"axG",@progbits,_Z34inclusive_scan_reduce_array_kernelILj32ELj2ELN6hipcub18BlockScanAlgorithmE1EfEvPT2_S3_,comdat
.Lfunc_end196:
	.size	_Z34inclusive_scan_reduce_array_kernelILj32ELj2ELN6hipcub18BlockScanAlgorithmE1EfEvPT2_S3_, .Lfunc_end196-_Z34inclusive_scan_reduce_array_kernelILj32ELj2ELN6hipcub18BlockScanAlgorithmE1EfEvPT2_S3_
                                        ; -- End function
	.section	.AMDGPU.csdata,"",@progbits
; Kernel info:
; codeLenInByte = 396
; NumSgprs: 18
; NumVgprs: 10
; ScratchSize: 0
; MemoryBound: 0
; FloatMode: 240
; IeeeMode: 1
; LDSByteSize: 4 bytes/workgroup (compile time only)
; SGPRBlocks: 2
; VGPRBlocks: 1
; NumSGPRsForWavesPerEU: 18
; NumVGPRsForWavesPerEU: 10
; Occupancy: 16
; WaveLimiterHint : 0
; COMPUTE_PGM_RSRC2:SCRATCH_EN: 0
; COMPUTE_PGM_RSRC2:USER_SGPR: 15
; COMPUTE_PGM_RSRC2:TRAP_HANDLER: 0
; COMPUTE_PGM_RSRC2:TGID_X_EN: 1
; COMPUTE_PGM_RSRC2:TGID_Y_EN: 0
; COMPUTE_PGM_RSRC2:TGID_Z_EN: 0
; COMPUTE_PGM_RSRC2:TIDIG_COMP_CNT: 0
	.section	.text._Z34inclusive_scan_reduce_array_kernelILj6ELj32ELN6hipcub18BlockScanAlgorithmE1EfEvPT2_S3_,"axG",@progbits,_Z34inclusive_scan_reduce_array_kernelILj6ELj32ELN6hipcub18BlockScanAlgorithmE1EfEvPT2_S3_,comdat
	.protected	_Z34inclusive_scan_reduce_array_kernelILj6ELj32ELN6hipcub18BlockScanAlgorithmE1EfEvPT2_S3_ ; -- Begin function _Z34inclusive_scan_reduce_array_kernelILj6ELj32ELN6hipcub18BlockScanAlgorithmE1EfEvPT2_S3_
	.globl	_Z34inclusive_scan_reduce_array_kernelILj6ELj32ELN6hipcub18BlockScanAlgorithmE1EfEvPT2_S3_
	.p2align	8
	.type	_Z34inclusive_scan_reduce_array_kernelILj6ELj32ELN6hipcub18BlockScanAlgorithmE1EfEvPT2_S3_,@function
_Z34inclusive_scan_reduce_array_kernelILj6ELj32ELN6hipcub18BlockScanAlgorithmE1EfEvPT2_S3_: ; @_Z34inclusive_scan_reduce_array_kernelILj6ELj32ELN6hipcub18BlockScanAlgorithmE1EfEvPT2_S3_
; %bb.0:
	s_load_b128 s[0:3], s[0:1], 0x0
	s_mul_i32 s5, s15, 6
	v_mov_b32_e32 v35, 0
	v_add_lshl_u32 v34, s5, v0, 5
	s_mov_b32 s4, s15
	s_delay_alu instid0(VALU_DEP_1) | instskip(SKIP_1) | instid1(VALU_DEP_1)
	v_lshlrev_b64 v[1:2], 2, v[34:35]
	s_waitcnt lgkmcnt(0)
	v_add_co_u32 v33, vcc_lo, s0, v1
	s_delay_alu instid0(VALU_DEP_2)
	v_add_co_ci_u32_e32 v34, vcc_lo, s1, v2, vcc_lo
	s_mov_b32 s0, exec_lo
	s_clause 0x7
	global_load_b128 v[29:32], v[33:34], off
	global_load_b128 v[25:28], v[33:34], off offset:16
	global_load_b128 v[21:24], v[33:34], off offset:32
	global_load_b128 v[13:16], v[33:34], off offset:48
	global_load_b128 v[17:20], v[33:34], off offset:64
	global_load_b128 v[9:12], v[33:34], off offset:80
	global_load_b128 v[5:8], v[33:34], off offset:96
	global_load_b128 v[1:4], v[33:34], off offset:112
	s_waitcnt vmcnt(7)
	v_add_f32_e32 v36, v29, v30
	s_delay_alu instid0(VALU_DEP_1) | instskip(NEXT) | instid1(VALU_DEP_1)
	v_add_f32_e32 v36, v36, v31
	v_add_f32_e32 v36, v36, v32
	s_waitcnt vmcnt(6)
	s_delay_alu instid0(VALU_DEP_1) | instskip(NEXT) | instid1(VALU_DEP_1)
	v_add_f32_e32 v36, v36, v25
	v_add_f32_e32 v36, v36, v26
	s_delay_alu instid0(VALU_DEP_1) | instskip(NEXT) | instid1(VALU_DEP_1)
	v_add_f32_e32 v36, v36, v27
	v_add_f32_e32 v36, v36, v28
	s_waitcnt vmcnt(5)
	s_delay_alu instid0(VALU_DEP_1) | instskip(NEXT) | instid1(VALU_DEP_1)
	v_add_f32_e32 v36, v36, v21
	;; [unrolled: 7-line block ×7, first 2 shown]
	v_add_f32_e32 v36, v36, v2
	s_delay_alu instid0(VALU_DEP_1) | instskip(NEXT) | instid1(VALU_DEP_1)
	v_add_f32_e32 v36, v36, v3
	v_add_f32_e32 v37, v36, v4
	v_mbcnt_lo_u32_b32 v36, -1, 0
	s_delay_alu instid0(VALU_DEP_2) | instskip(NEXT) | instid1(VALU_DEP_1)
	v_mov_b32_dpp v38, v37 row_shr:1 row_mask:0xf bank_mask:0xf
	v_dual_add_f32 v38, v37, v38 :: v_dual_and_b32 v39, 7, v36
	s_delay_alu instid0(VALU_DEP_1) | instskip(NEXT) | instid1(VALU_DEP_2)
	v_cmp_eq_u32_e32 vcc_lo, 0, v39
	v_cndmask_b32_e32 v37, v38, v37, vcc_lo
	v_cmp_lt_u32_e32 vcc_lo, 1, v39
	s_delay_alu instid0(VALU_DEP_2) | instskip(NEXT) | instid1(VALU_DEP_1)
	v_mov_b32_dpp v38, v37 row_shr:2 row_mask:0xf bank_mask:0xf
	v_add_f32_e32 v38, v37, v38
	s_delay_alu instid0(VALU_DEP_1) | instskip(SKIP_1) | instid1(VALU_DEP_2)
	v_cndmask_b32_e32 v37, v37, v38, vcc_lo
	v_cmp_lt_u32_e32 vcc_lo, 3, v39
	v_mov_b32_dpp v38, v37 row_shr:4 row_mask:0xf bank_mask:0xf
	s_delay_alu instid0(VALU_DEP_1) | instskip(NEXT) | instid1(VALU_DEP_1)
	v_add_f32_e32 v38, v37, v38
	v_cndmask_b32_e32 v37, v37, v38, vcc_lo
	v_cmpx_eq_u32_e32 5, v0
	s_cbranch_execz .LBB197_2
; %bb.1:
	ds_store_b32 v35, v37
.LBB197_2:
	s_or_b32 exec_lo, exec_lo, s0
	v_add_nc_u32_e32 v35, -1, v36
	v_and_b32_e32 v38, 24, v36
	s_waitcnt vmcnt(0) lgkmcnt(0)
	s_waitcnt_vscnt null, 0x0
	; wave barrier
	s_waitcnt lgkmcnt(0)
	buffer_gl0_inv
	v_cmp_lt_i32_e32 vcc_lo, v35, v38
	v_cndmask_b32_e32 v35, v35, v36, vcc_lo
	v_cmp_eq_u32_e32 vcc_lo, 0, v0
	s_delay_alu instid0(VALU_DEP_2) | instskip(SKIP_3) | instid1(VALU_DEP_1)
	v_lshlrev_b32_e32 v35, 2, v35
	ds_bpermute_b32 v35, v35, v37
	s_waitcnt lgkmcnt(0)
	v_add_f32_e32 v35, v29, v35
	v_cndmask_b32_e32 v29, v35, v29, vcc_lo
	s_delay_alu instid0(VALU_DEP_1) | instskip(NEXT) | instid1(VALU_DEP_1)
	v_add_f32_e32 v30, v29, v30
	v_add_f32_e32 v31, v30, v31
	s_delay_alu instid0(VALU_DEP_1) | instskip(NEXT) | instid1(VALU_DEP_1)
	v_add_f32_e32 v32, v31, v32
	v_add_f32_e32 v25, v32, v25
	;; [unrolled: 3-line block ×6, first 2 shown]
	s_delay_alu instid0(VALU_DEP_1) | instskip(SKIP_4) | instid1(VALU_DEP_1)
	v_add_f32_e32 v14, v13, v14
	s_clause 0x1
	global_store_b128 v[33:34], v[29:32], off
	global_store_b128 v[33:34], v[25:28], off offset:16
	v_add_f32_e32 v15, v14, v15
	v_add_f32_e32 v16, v15, v16
	s_delay_alu instid0(VALU_DEP_1) | instskip(NEXT) | instid1(VALU_DEP_1)
	v_add_f32_e32 v17, v16, v17
	v_add_f32_e32 v18, v17, v18
	s_delay_alu instid0(VALU_DEP_1) | instskip(NEXT) | instid1(VALU_DEP_1)
	v_add_f32_e32 v19, v18, v19
	v_add_f32_e32 v20, v19, v20
	s_delay_alu instid0(VALU_DEP_1) | instskip(NEXT) | instid1(VALU_DEP_1)
	v_add_f32_e32 v9, v20, v9
	v_add_f32_e32 v10, v9, v10
	s_delay_alu instid0(VALU_DEP_1) | instskip(NEXT) | instid1(VALU_DEP_1)
	v_add_f32_e32 v11, v10, v11
	v_add_f32_e32 v12, v11, v12
	s_delay_alu instid0(VALU_DEP_1) | instskip(NEXT) | instid1(VALU_DEP_1)
	v_add_f32_e32 v5, v12, v5
	v_add_f32_e32 v6, v5, v6
	s_delay_alu instid0(VALU_DEP_1) | instskip(NEXT) | instid1(VALU_DEP_1)
	v_add_f32_e32 v7, v6, v7
	v_add_f32_e32 v8, v7, v8
	s_delay_alu instid0(VALU_DEP_1) | instskip(NEXT) | instid1(VALU_DEP_1)
	v_add_f32_e32 v0, v8, v1
	v_add_f32_e32 v1, v0, v2
	s_delay_alu instid0(VALU_DEP_1) | instskip(NEXT) | instid1(VALU_DEP_1)
	v_add_f32_e32 v2, v1, v3
	v_add_f32_e32 v3, v2, v4
	s_clause 0x5
	global_store_b128 v[33:34], v[21:24], off offset:32
	global_store_b128 v[33:34], v[13:16], off offset:48
	;; [unrolled: 1-line block ×6, first 2 shown]
	s_and_saveexec_b32 s0, vcc_lo
	s_cbranch_execz .LBB197_4
; %bb.3:
	v_mov_b32_e32 v0, 0
	s_mov_b32 s5, 0
	s_delay_alu instid0(SALU_CYCLE_1) | instskip(NEXT) | instid1(SALU_CYCLE_1)
	s_lshl_b64 s[0:1], s[4:5], 2
	s_add_u32 s0, s2, s0
	ds_load_b32 v1, v0
	s_addc_u32 s1, s3, s1
	s_waitcnt lgkmcnt(0)
	global_store_b32 v0, v1, s[0:1]
.LBB197_4:
	s_nop 0
	s_sendmsg sendmsg(MSG_DEALLOC_VGPRS)
	s_endpgm
	.section	.rodata,"a",@progbits
	.p2align	6, 0x0
	.amdhsa_kernel _Z34inclusive_scan_reduce_array_kernelILj6ELj32ELN6hipcub18BlockScanAlgorithmE1EfEvPT2_S3_
		.amdhsa_group_segment_fixed_size 4
		.amdhsa_private_segment_fixed_size 0
		.amdhsa_kernarg_size 16
		.amdhsa_user_sgpr_count 15
		.amdhsa_user_sgpr_dispatch_ptr 0
		.amdhsa_user_sgpr_queue_ptr 0
		.amdhsa_user_sgpr_kernarg_segment_ptr 1
		.amdhsa_user_sgpr_dispatch_id 0
		.amdhsa_user_sgpr_private_segment_size 0
		.amdhsa_wavefront_size32 1
		.amdhsa_uses_dynamic_stack 0
		.amdhsa_enable_private_segment 0
		.amdhsa_system_sgpr_workgroup_id_x 1
		.amdhsa_system_sgpr_workgroup_id_y 0
		.amdhsa_system_sgpr_workgroup_id_z 0
		.amdhsa_system_sgpr_workgroup_info 0
		.amdhsa_system_vgpr_workitem_id 0
		.amdhsa_next_free_vgpr 40
		.amdhsa_next_free_sgpr 16
		.amdhsa_reserve_vcc 1
		.amdhsa_float_round_mode_32 0
		.amdhsa_float_round_mode_16_64 0
		.amdhsa_float_denorm_mode_32 3
		.amdhsa_float_denorm_mode_16_64 3
		.amdhsa_dx10_clamp 1
		.amdhsa_ieee_mode 1
		.amdhsa_fp16_overflow 0
		.amdhsa_workgroup_processor_mode 1
		.amdhsa_memory_ordered 1
		.amdhsa_forward_progress 0
		.amdhsa_shared_vgpr_count 0
		.amdhsa_exception_fp_ieee_invalid_op 0
		.amdhsa_exception_fp_denorm_src 0
		.amdhsa_exception_fp_ieee_div_zero 0
		.amdhsa_exception_fp_ieee_overflow 0
		.amdhsa_exception_fp_ieee_underflow 0
		.amdhsa_exception_fp_ieee_inexact 0
		.amdhsa_exception_int_div_zero 0
	.end_amdhsa_kernel
	.section	.text._Z34inclusive_scan_reduce_array_kernelILj6ELj32ELN6hipcub18BlockScanAlgorithmE1EfEvPT2_S3_,"axG",@progbits,_Z34inclusive_scan_reduce_array_kernelILj6ELj32ELN6hipcub18BlockScanAlgorithmE1EfEvPT2_S3_,comdat
.Lfunc_end197:
	.size	_Z34inclusive_scan_reduce_array_kernelILj6ELj32ELN6hipcub18BlockScanAlgorithmE1EfEvPT2_S3_, .Lfunc_end197-_Z34inclusive_scan_reduce_array_kernelILj6ELj32ELN6hipcub18BlockScanAlgorithmE1EfEvPT2_S3_
                                        ; -- End function
	.section	.AMDGPU.csdata,"",@progbits
; Kernel info:
; codeLenInByte = 848
; NumSgprs: 18
; NumVgprs: 40
; ScratchSize: 0
; MemoryBound: 0
; FloatMode: 240
; IeeeMode: 1
; LDSByteSize: 4 bytes/workgroup (compile time only)
; SGPRBlocks: 2
; VGPRBlocks: 4
; NumSGPRsForWavesPerEU: 18
; NumVGPRsForWavesPerEU: 40
; Occupancy: 16
; WaveLimiterHint : 0
; COMPUTE_PGM_RSRC2:SCRATCH_EN: 0
; COMPUTE_PGM_RSRC2:USER_SGPR: 15
; COMPUTE_PGM_RSRC2:TRAP_HANDLER: 0
; COMPUTE_PGM_RSRC2:TGID_X_EN: 1
; COMPUTE_PGM_RSRC2:TGID_Y_EN: 0
; COMPUTE_PGM_RSRC2:TGID_Z_EN: 0
; COMPUTE_PGM_RSRC2:TIDIG_COMP_CNT: 0
	.section	.text._Z34inclusive_scan_reduce_array_kernelILj16ELj5ELN6hipcub18BlockScanAlgorithmE0E12hip_bfloat16EvPT2_S4_,"axG",@progbits,_Z34inclusive_scan_reduce_array_kernelILj16ELj5ELN6hipcub18BlockScanAlgorithmE0E12hip_bfloat16EvPT2_S4_,comdat
	.protected	_Z34inclusive_scan_reduce_array_kernelILj16ELj5ELN6hipcub18BlockScanAlgorithmE0E12hip_bfloat16EvPT2_S4_ ; -- Begin function _Z34inclusive_scan_reduce_array_kernelILj16ELj5ELN6hipcub18BlockScanAlgorithmE0E12hip_bfloat16EvPT2_S4_
	.globl	_Z34inclusive_scan_reduce_array_kernelILj16ELj5ELN6hipcub18BlockScanAlgorithmE0E12hip_bfloat16EvPT2_S4_
	.p2align	8
	.type	_Z34inclusive_scan_reduce_array_kernelILj16ELj5ELN6hipcub18BlockScanAlgorithmE0E12hip_bfloat16EvPT2_S4_,@function
_Z34inclusive_scan_reduce_array_kernelILj16ELj5ELN6hipcub18BlockScanAlgorithmE0E12hip_bfloat16EvPT2_S4_: ; @_Z34inclusive_scan_reduce_array_kernelILj16ELj5ELN6hipcub18BlockScanAlgorithmE0E12hip_bfloat16EvPT2_S4_
; %bb.0:
	s_mov_b32 s4, s15
	s_load_b128 s[0:3], s[0:1], 0x0
	v_lshl_or_b32 v1, s4, 4, v0
	s_delay_alu instid0(VALU_DEP_1) | instskip(SKIP_1) | instid1(VALU_DEP_2)
	v_lshl_add_u32 v8, v1, 2, v1
	v_mov_b32_e32 v9, 0
	v_add_nc_u32_e32 v1, 1, v8
	s_delay_alu instid0(VALU_DEP_2)
	v_lshlrev_b64 v[10:11], 1, v[8:9]
	v_add_nc_u32_e32 v15, 2, v8
	v_add_nc_u32_e32 v3, 3, v8
	;; [unrolled: 1-line block ×3, first 2 shown]
	v_mov_b32_e32 v2, v9
	v_mov_b32_e32 v4, v9
	;; [unrolled: 1-line block ×3, first 2 shown]
	s_delay_alu instid0(VALU_DEP_4) | instskip(NEXT) | instid1(VALU_DEP_4)
	v_lshlrev_b64 v[5:6], 1, v[8:9]
	v_lshlrev_b64 v[1:2], 1, v[1:2]
	s_delay_alu instid0(VALU_DEP_4) | instskip(SKIP_1) | instid1(VALU_DEP_2)
	v_lshlrev_b64 v[3:4], 1, v[3:4]
	s_waitcnt lgkmcnt(0)
	v_add_co_u32 v1, vcc_lo, s0, v1
	s_delay_alu instid0(VALU_DEP_3) | instskip(NEXT) | instid1(VALU_DEP_3)
	v_add_co_ci_u32_e32 v2, vcc_lo, s1, v2, vcc_lo
	v_add_co_u32 v3, vcc_lo, s0, v3
	s_delay_alu instid0(VALU_DEP_4)
	v_add_co_ci_u32_e32 v4, vcc_lo, s1, v4, vcc_lo
	v_add_co_u32 v5, vcc_lo, s0, v5
	v_add_co_ci_u32_e32 v6, vcc_lo, s1, v6, vcc_lo
	v_add_co_u32 v7, vcc_lo, s0, v10
	v_add_co_ci_u32_e32 v8, vcc_lo, s1, v11, vcc_lo
	s_clause 0x3
	global_load_u16 v13, v[3:4], off
	global_load_u16 v14, v[5:6], off
	;; [unrolled: 1-line block ×4, first 2 shown]
	v_lshlrev_b64 v[9:10], 1, v[15:16]
	s_delay_alu instid0(VALU_DEP_1) | instskip(NEXT) | instid1(VALU_DEP_2)
	v_add_co_u32 v9, vcc_lo, s0, v9
	v_add_co_ci_u32_e32 v10, vcc_lo, s1, v10, vcc_lo
	global_load_u16 v12, v[9:10], off
	s_waitcnt vmcnt(2)
	v_lshlrev_b32_e32 v15, 16, v17
	s_waitcnt vmcnt(1)
	v_lshlrev_b32_e32 v17, 16, v11
	s_delay_alu instid0(VALU_DEP_1) | instskip(NEXT) | instid1(VALU_DEP_1)
	v_add_f32_e32 v16, v17, v15
	v_and_b32_e32 v18, 0x7f800000, v16
	s_delay_alu instid0(VALU_DEP_1) | instskip(SKIP_1) | instid1(SALU_CYCLE_1)
	v_cmp_ne_u32_e32 vcc_lo, 0x7f800000, v18
                                        ; implicit-def: $vgpr18
	s_and_saveexec_b32 s0, vcc_lo
	s_xor_b32 s0, exec_lo, s0
; %bb.1:
	v_bfe_u32 v18, v16, 16, 1
	s_delay_alu instid0(VALU_DEP_1)
	v_add3_u32 v18, v16, v18, 0x7fff
; %bb.2:
	s_and_not1_saveexec_b32 s0, s0
; %bb.3:
	v_and_b32_e32 v18, 0xffff, v16
	v_or_b32_e32 v19, 0x10000, v16
	s_delay_alu instid0(VALU_DEP_2) | instskip(NEXT) | instid1(VALU_DEP_2)
	v_cmp_eq_u32_e32 vcc_lo, 0, v18
	v_cndmask_b32_e32 v18, v19, v16, vcc_lo
; %bb.4:
	s_or_b32 exec_lo, exec_lo, s0
	s_delay_alu instid0(VALU_DEP_1) | instskip(SKIP_2) | instid1(VALU_DEP_1)
	v_and_b32_e32 v18, 0xffff0000, v18
	s_waitcnt vmcnt(0)
	v_lshlrev_b32_e32 v12, 16, v12
	v_add_f32_e32 v18, v18, v12
	s_delay_alu instid0(VALU_DEP_1) | instskip(NEXT) | instid1(VALU_DEP_1)
	v_and_b32_e32 v19, 0x7f800000, v18
	v_cmp_ne_u32_e32 vcc_lo, 0x7f800000, v19
                                        ; implicit-def: $vgpr19
	s_and_saveexec_b32 s0, vcc_lo
	s_delay_alu instid0(SALU_CYCLE_1)
	s_xor_b32 s0, exec_lo, s0
; %bb.5:
	v_bfe_u32 v19, v18, 16, 1
	s_delay_alu instid0(VALU_DEP_1)
	v_add3_u32 v19, v18, v19, 0x7fff
                                        ; implicit-def: $vgpr18
; %bb.6:
	s_and_not1_saveexec_b32 s0, s0
; %bb.7:
	v_and_b32_e32 v19, 0xffff, v18
	v_or_b32_e32 v20, 0x10000, v18
	s_delay_alu instid0(VALU_DEP_2) | instskip(NEXT) | instid1(VALU_DEP_2)
	v_cmp_eq_u32_e32 vcc_lo, 0, v19
	v_cndmask_b32_e32 v19, v20, v18, vcc_lo
; %bb.8:
	s_or_b32 exec_lo, exec_lo, s0
	s_delay_alu instid0(VALU_DEP_1) | instskip(SKIP_1) | instid1(VALU_DEP_1)
	v_and_b32_e32 v18, 0xffff0000, v19
	v_lshlrev_b32_e32 v13, 16, v13
	v_add_f32_e32 v18, v18, v13
	s_delay_alu instid0(VALU_DEP_1) | instskip(NEXT) | instid1(VALU_DEP_1)
	v_and_b32_e32 v19, 0x7f800000, v18
	v_cmp_ne_u32_e32 vcc_lo, 0x7f800000, v19
                                        ; implicit-def: $vgpr19
	s_and_saveexec_b32 s0, vcc_lo
	s_delay_alu instid0(SALU_CYCLE_1)
	s_xor_b32 s0, exec_lo, s0
; %bb.9:
	v_bfe_u32 v19, v18, 16, 1
	s_delay_alu instid0(VALU_DEP_1)
	v_add3_u32 v19, v18, v19, 0x7fff
                                        ; implicit-def: $vgpr18
; %bb.10:
	s_and_not1_saveexec_b32 s0, s0
; %bb.11:
	v_and_b32_e32 v19, 0xffff, v18
	v_or_b32_e32 v20, 0x10000, v18
	s_delay_alu instid0(VALU_DEP_2) | instskip(NEXT) | instid1(VALU_DEP_2)
	v_cmp_eq_u32_e32 vcc_lo, 0, v19
	v_cndmask_b32_e32 v19, v20, v18, vcc_lo
; %bb.12:
	s_or_b32 exec_lo, exec_lo, s0
	s_delay_alu instid0(VALU_DEP_1) | instskip(SKIP_1) | instid1(VALU_DEP_1)
	v_and_b32_e32 v18, 0xffff0000, v19
	v_lshlrev_b32_e32 v14, 16, v14
	v_add_f32_e32 v18, v18, v14
	s_delay_alu instid0(VALU_DEP_1) | instskip(NEXT) | instid1(VALU_DEP_1)
	v_and_b32_e32 v19, 0x7f800000, v18
	v_cmp_ne_u32_e32 vcc_lo, 0x7f800000, v19
                                        ; implicit-def: $vgpr19
	s_and_saveexec_b32 s0, vcc_lo
	s_delay_alu instid0(SALU_CYCLE_1)
	s_xor_b32 s0, exec_lo, s0
; %bb.13:
	v_bfe_u32 v19, v18, 16, 1
	s_delay_alu instid0(VALU_DEP_1)
	v_add3_u32 v19, v18, v19, 0x7fff
                                        ; implicit-def: $vgpr18
; %bb.14:
	s_and_not1_saveexec_b32 s0, s0
; %bb.15:
	v_and_b32_e32 v19, 0xffff, v18
	v_or_b32_e32 v20, 0x10000, v18
	s_delay_alu instid0(VALU_DEP_2) | instskip(NEXT) | instid1(VALU_DEP_2)
	v_cmp_eq_u32_e32 vcc_lo, 0, v19
	v_cndmask_b32_e32 v19, v20, v18, vcc_lo
; %bb.16:
	s_or_b32 exec_lo, exec_lo, s0
	s_delay_alu instid0(VALU_DEP_1) | instskip(SKIP_2) | instid1(VALU_DEP_2)
	v_lshrrev_b32_e32 v21, 16, v19
	v_and_b32_e32 v20, 0xffff0000, v19
	s_mov_b32 s0, exec_lo
                                        ; implicit-def: $vgpr22
	v_mov_b32_dpp v18, v21 row_shr:1 row_mask:0xf bank_mask:0xf
	s_delay_alu instid0(VALU_DEP_1) | instskip(NEXT) | instid1(VALU_DEP_1)
	v_lshlrev_b32_e32 v18, 16, v18
	v_add_f32_e32 v18, v20, v18
	s_delay_alu instid0(VALU_DEP_1) | instskip(NEXT) | instid1(VALU_DEP_1)
	v_and_b32_e32 v19, 0x7f800000, v18
	v_cmpx_ne_u32_e32 0x7f800000, v19
	s_xor_b32 s0, exec_lo, s0
; %bb.17:
	v_bfe_u32 v19, v18, 16, 1
	s_delay_alu instid0(VALU_DEP_1)
	v_add3_u32 v22, v18, v19, 0x7fff
                                        ; implicit-def: $vgpr18
; %bb.18:
	s_and_not1_saveexec_b32 s0, s0
; %bb.19:
	v_and_b32_e32 v19, 0xffff, v18
	v_or_b32_e32 v22, 0x10000, v18
	s_delay_alu instid0(VALU_DEP_2) | instskip(NEXT) | instid1(VALU_DEP_2)
	v_cmp_eq_u32_e32 vcc_lo, 0, v19
	v_cndmask_b32_e32 v22, v22, v18, vcc_lo
; %bb.20:
	s_or_b32 exec_lo, exec_lo, s0
	v_mbcnt_lo_u32_b32 v18, -1, 0
	s_delay_alu instid0(VALU_DEP_2) | instskip(SKIP_1) | instid1(VALU_DEP_3)
	v_lshrrev_b32_e32 v23, 16, v22
	v_and_b32_e32 v22, 0xffff0000, v22
	v_and_b32_e32 v19, 15, v18
	s_delay_alu instid0(VALU_DEP_1) | instskip(NEXT) | instid1(VALU_DEP_3)
	v_cmp_eq_u32_e32 vcc_lo, 0, v19
	v_dual_cndmask_b32 v20, v22, v20 :: v_dual_cndmask_b32 v21, v23, v21
	s_delay_alu instid0(VALU_DEP_1) | instskip(NEXT) | instid1(VALU_DEP_1)
	v_mov_b32_dpp v23, v21 row_shr:2 row_mask:0xf bank_mask:0xf
	v_lshlrev_b32_e32 v22, 16, v23
	s_delay_alu instid0(VALU_DEP_1) | instskip(NEXT) | instid1(VALU_DEP_1)
	v_add_f32_e32 v23, v20, v22
	v_and_b32_e32 v22, 0x7f800000, v23
	s_delay_alu instid0(VALU_DEP_1) | instskip(SKIP_1) | instid1(SALU_CYCLE_1)
	v_cmp_ne_u32_e32 vcc_lo, 0x7f800000, v22
                                        ; implicit-def: $vgpr22
	s_and_saveexec_b32 s0, vcc_lo
	s_xor_b32 s0, exec_lo, s0
; %bb.21:
	v_bfe_u32 v22, v23, 16, 1
	s_delay_alu instid0(VALU_DEP_1)
	v_add3_u32 v22, v23, v22, 0x7fff
                                        ; implicit-def: $vgpr23
; %bb.22:
	s_and_not1_saveexec_b32 s0, s0
; %bb.23:
	v_and_b32_e32 v22, 0xffff, v23
	v_or_b32_e32 v24, 0x10000, v23
	s_delay_alu instid0(VALU_DEP_2) | instskip(NEXT) | instid1(VALU_DEP_2)
	v_cmp_eq_u32_e32 vcc_lo, 0, v22
	v_cndmask_b32_e32 v22, v24, v23, vcc_lo
; %bb.24:
	s_or_b32 exec_lo, exec_lo, s0
	s_delay_alu instid0(VALU_DEP_1) | instskip(SKIP_1) | instid1(VALU_DEP_2)
	v_lshrrev_b32_e32 v23, 16, v22
	v_cmp_lt_u32_e32 vcc_lo, 1, v19
	v_dual_cndmask_b32 v21, v21, v23 :: v_dual_and_b32 v22, 0xffff0000, v22
	s_delay_alu instid0(VALU_DEP_1) | instskip(NEXT) | instid1(VALU_DEP_2)
	v_cndmask_b32_e32 v20, v20, v22, vcc_lo
	v_mov_b32_dpp v23, v21 row_shr:4 row_mask:0xf bank_mask:0xf
	s_delay_alu instid0(VALU_DEP_1) | instskip(NEXT) | instid1(VALU_DEP_1)
	v_lshlrev_b32_e32 v22, 16, v23
	v_add_f32_e32 v23, v20, v22
	s_delay_alu instid0(VALU_DEP_1) | instskip(NEXT) | instid1(VALU_DEP_1)
	v_and_b32_e32 v22, 0x7f800000, v23
	v_cmp_ne_u32_e32 vcc_lo, 0x7f800000, v22
                                        ; implicit-def: $vgpr22
	s_and_saveexec_b32 s0, vcc_lo
	s_delay_alu instid0(SALU_CYCLE_1)
	s_xor_b32 s0, exec_lo, s0
; %bb.25:
	v_bfe_u32 v22, v23, 16, 1
	s_delay_alu instid0(VALU_DEP_1)
	v_add3_u32 v22, v23, v22, 0x7fff
                                        ; implicit-def: $vgpr23
; %bb.26:
	s_and_not1_saveexec_b32 s0, s0
; %bb.27:
	v_and_b32_e32 v22, 0xffff, v23
	v_or_b32_e32 v24, 0x10000, v23
	s_delay_alu instid0(VALU_DEP_2) | instskip(NEXT) | instid1(VALU_DEP_2)
	v_cmp_eq_u32_e32 vcc_lo, 0, v22
	v_cndmask_b32_e32 v22, v24, v23, vcc_lo
; %bb.28:
	s_or_b32 exec_lo, exec_lo, s0
	s_delay_alu instid0(VALU_DEP_1) | instskip(SKIP_1) | instid1(VALU_DEP_2)
	v_lshrrev_b32_e32 v23, 16, v22
	v_cmp_lt_u32_e32 vcc_lo, 3, v19
	v_dual_cndmask_b32 v21, v21, v23 :: v_dual_and_b32 v22, 0xffff0000, v22
	s_delay_alu instid0(VALU_DEP_1) | instskip(NEXT) | instid1(VALU_DEP_2)
	v_cndmask_b32_e32 v20, v20, v22, vcc_lo
	v_mov_b32_dpp v23, v21 row_shr:8 row_mask:0xf bank_mask:0xf
	s_delay_alu instid0(VALU_DEP_1) | instskip(NEXT) | instid1(VALU_DEP_1)
	v_lshlrev_b32_e32 v22, 16, v23
	v_add_f32_e32 v20, v20, v22
	s_delay_alu instid0(VALU_DEP_1) | instskip(NEXT) | instid1(VALU_DEP_1)
	v_and_b32_e32 v22, 0x7f800000, v20
	v_cmp_ne_u32_e32 vcc_lo, 0x7f800000, v22
                                        ; implicit-def: $vgpr22
	s_and_saveexec_b32 s0, vcc_lo
	s_delay_alu instid0(SALU_CYCLE_1)
	s_xor_b32 s0, exec_lo, s0
; %bb.29:
	v_bfe_u32 v22, v20, 16, 1
	s_delay_alu instid0(VALU_DEP_1)
	v_add3_u32 v22, v20, v22, 0x7fff
                                        ; implicit-def: $vgpr20
; %bb.30:
	s_and_not1_saveexec_b32 s0, s0
; %bb.31:
	v_and_b32_e32 v22, 0xffff, v20
	v_or_b32_e32 v23, 0x10000, v20
	s_delay_alu instid0(VALU_DEP_2) | instskip(NEXT) | instid1(VALU_DEP_2)
	v_cmp_eq_u32_e32 vcc_lo, 0, v22
	v_cndmask_b32_e32 v22, v23, v20, vcc_lo
; %bb.32:
	s_or_b32 exec_lo, exec_lo, s0
	s_delay_alu instid0(VALU_DEP_1) | instskip(SKIP_2) | instid1(VALU_DEP_2)
	v_lshrrev_b32_e32 v20, 16, v22
	v_cmp_lt_u32_e32 vcc_lo, 7, v19
	s_mov_b32 s0, exec_lo
	v_cndmask_b32_e32 v19, v21, v20, vcc_lo
	v_cmpx_eq_u32_e32 15, v0
	s_cbranch_execz .LBB198_34
; %bb.33:
	v_mov_b32_e32 v20, 0
	ds_store_b16 v20, v19
.LBB198_34:
	s_or_b32 exec_lo, exec_lo, s0
	v_add_nc_u32_e32 v20, -1, v18
	v_and_b32_e32 v21, 16, v18
	s_mov_b32 s1, exec_lo
	s_waitcnt vmcnt(0) lgkmcnt(0)
	s_waitcnt_vscnt null, 0x0
	; wave barrier
	s_waitcnt lgkmcnt(0)
	buffer_gl0_inv
	v_cmp_lt_i32_e32 vcc_lo, v20, v21
	v_cndmask_b32_e32 v18, v20, v18, vcc_lo
	v_cmp_eq_u32_e32 vcc_lo, 0, v0
	s_delay_alu instid0(VALU_DEP_2)
	v_lshlrev_b32_e32 v18, 2, v18
	ds_bpermute_b32 v18, v18, v19
	v_cmpx_ne_u32_e32 0, v0
	s_cbranch_execz .LBB198_40
; %bb.35:
	s_waitcnt lgkmcnt(0)
	v_lshlrev_b32_e32 v0, 16, v18
	s_delay_alu instid0(VALU_DEP_1) | instskip(NEXT) | instid1(VALU_DEP_1)
	v_add_f32_e32 v11, v17, v0
	v_and_b32_e32 v0, 0x7f800000, v11
	s_delay_alu instid0(VALU_DEP_1) | instskip(NEXT) | instid1(VALU_DEP_1)
	v_cmp_ne_u32_e64 s0, 0x7f800000, v0
                                        ; implicit-def: $vgpr0
	s_and_saveexec_b32 s5, s0
	s_delay_alu instid0(SALU_CYCLE_1)
	s_xor_b32 s0, exec_lo, s5
; %bb.36:
	v_bfe_u32 v0, v11, 16, 1
	s_delay_alu instid0(VALU_DEP_1)
	v_add3_u32 v0, v11, v0, 0x7fff
                                        ; implicit-def: $vgpr11
; %bb.37:
	s_and_not1_saveexec_b32 s5, s0
; %bb.38:
	v_and_b32_e32 v0, 0xffff, v11
	v_or_b32_e32 v16, 0x10000, v11
	s_delay_alu instid0(VALU_DEP_2) | instskip(NEXT) | instid1(VALU_DEP_1)
	v_cmp_eq_u32_e64 s0, 0, v0
	v_cndmask_b32_e64 v0, v16, v11, s0
; %bb.39:
	s_or_b32 exec_lo, exec_lo, s5
	s_delay_alu instid0(VALU_DEP_1) | instskip(SKIP_1) | instid1(VALU_DEP_2)
	v_and_b32_e32 v16, 0xffff0000, v0
	v_lshrrev_b32_e32 v11, 16, v0
	v_add_f32_e32 v16, v15, v16
.LBB198_40:
	s_or_b32 exec_lo, exec_lo, s1
	s_delay_alu instid0(VALU_DEP_1) | instskip(NEXT) | instid1(VALU_DEP_1)
	v_and_b32_e32 v0, 0x7f800000, v16
	v_cmp_ne_u32_e64 s0, 0x7f800000, v0
                                        ; implicit-def: $vgpr0
	s_delay_alu instid0(VALU_DEP_1) | instskip(NEXT) | instid1(SALU_CYCLE_1)
	s_and_saveexec_b32 s1, s0
	s_xor_b32 s0, exec_lo, s1
; %bb.41:
	v_bfe_u32 v0, v16, 16, 1
	s_delay_alu instid0(VALU_DEP_1)
	v_add3_u32 v0, v16, v0, 0x7fff
                                        ; implicit-def: $vgpr16
; %bb.42:
	s_and_not1_saveexec_b32 s1, s0
; %bb.43:
	v_and_b32_e32 v0, 0xffff, v16
	v_or_b32_e32 v15, 0x10000, v16
	s_delay_alu instid0(VALU_DEP_2) | instskip(NEXT) | instid1(VALU_DEP_1)
	v_cmp_eq_u32_e64 s0, 0, v0
	v_cndmask_b32_e64 v0, v15, v16, s0
; %bb.44:
	s_or_b32 exec_lo, exec_lo, s1
	s_delay_alu instid0(VALU_DEP_1) | instskip(NEXT) | instid1(VALU_DEP_1)
	v_and_b32_e32 v15, 0xffff0000, v0
	v_add_f32_e32 v15, v15, v12
	s_delay_alu instid0(VALU_DEP_1) | instskip(NEXT) | instid1(VALU_DEP_1)
	v_and_b32_e32 v12, 0x7f800000, v15
	v_cmp_ne_u32_e64 s0, 0x7f800000, v12
                                        ; implicit-def: $vgpr12
	s_delay_alu instid0(VALU_DEP_1) | instskip(NEXT) | instid1(SALU_CYCLE_1)
	s_and_saveexec_b32 s1, s0
	s_xor_b32 s0, exec_lo, s1
; %bb.45:
	v_bfe_u32 v12, v15, 16, 1
	s_delay_alu instid0(VALU_DEP_1)
	v_add3_u32 v12, v15, v12, 0x7fff
                                        ; implicit-def: $vgpr15
; %bb.46:
	s_and_not1_saveexec_b32 s1, s0
; %bb.47:
	v_and_b32_e32 v12, 0xffff, v15
	v_or_b32_e32 v16, 0x10000, v15
	s_delay_alu instid0(VALU_DEP_2) | instskip(NEXT) | instid1(VALU_DEP_1)
	v_cmp_eq_u32_e64 s0, 0, v12
	v_cndmask_b32_e64 v12, v16, v15, s0
; %bb.48:
	s_or_b32 exec_lo, exec_lo, s1
	s_delay_alu instid0(VALU_DEP_1) | instskip(NEXT) | instid1(VALU_DEP_1)
	v_and_b32_e32 v15, 0xffff0000, v12
	v_add_f32_e32 v15, v15, v13
	s_delay_alu instid0(VALU_DEP_1) | instskip(NEXT) | instid1(VALU_DEP_1)
	v_and_b32_e32 v13, 0x7f800000, v15
	v_cmp_ne_u32_e64 s0, 0x7f800000, v13
                                        ; implicit-def: $vgpr13
	s_delay_alu instid0(VALU_DEP_1) | instskip(NEXT) | instid1(SALU_CYCLE_1)
	s_and_saveexec_b32 s1, s0
	s_xor_b32 s0, exec_lo, s1
; %bb.49:
	v_bfe_u32 v13, v15, 16, 1
	s_delay_alu instid0(VALU_DEP_1)
	v_add3_u32 v13, v15, v13, 0x7fff
                                        ; implicit-def: $vgpr15
; %bb.50:
	s_and_not1_saveexec_b32 s1, s0
; %bb.51:
	v_and_b32_e32 v13, 0xffff, v15
	v_or_b32_e32 v16, 0x10000, v15
	s_delay_alu instid0(VALU_DEP_2) | instskip(NEXT) | instid1(VALU_DEP_1)
	v_cmp_eq_u32_e64 s0, 0, v13
	v_cndmask_b32_e64 v13, v16, v15, s0
; %bb.52:
	s_or_b32 exec_lo, exec_lo, s1
	s_delay_alu instid0(VALU_DEP_1) | instskip(NEXT) | instid1(VALU_DEP_1)
	v_and_b32_e32 v15, 0xffff0000, v13
	v_add_f32_e32 v15, v15, v14
	s_delay_alu instid0(VALU_DEP_1) | instskip(NEXT) | instid1(VALU_DEP_1)
	v_and_b32_e32 v14, 0x7f800000, v15
	v_cmp_ne_u32_e64 s0, 0x7f800000, v14
                                        ; implicit-def: $vgpr14
	s_delay_alu instid0(VALU_DEP_1) | instskip(NEXT) | instid1(SALU_CYCLE_1)
	s_and_saveexec_b32 s1, s0
	s_xor_b32 s0, exec_lo, s1
; %bb.53:
	v_bfe_u32 v14, v15, 16, 1
	s_delay_alu instid0(VALU_DEP_1)
	v_add3_u32 v14, v15, v14, 0x7fff
                                        ; implicit-def: $vgpr15
; %bb.54:
	s_and_not1_saveexec_b32 s1, s0
; %bb.55:
	v_and_b32_e32 v14, 0xffff, v15
	v_or_b32_e32 v16, 0x10000, v15
	s_delay_alu instid0(VALU_DEP_2) | instskip(NEXT) | instid1(VALU_DEP_1)
	v_cmp_eq_u32_e64 s0, 0, v14
	v_cndmask_b32_e64 v14, v16, v15, s0
; %bb.56:
	s_or_b32 exec_lo, exec_lo, s1
	s_clause 0x4
	global_store_b16 v[7:8], v11, off
	global_store_d16_hi_b16 v[1:2], v0, off
	global_store_d16_hi_b16 v[9:10], v12, off
	;; [unrolled: 1-line block ×4, first 2 shown]
	s_and_saveexec_b32 s0, vcc_lo
	s_cbranch_execz .LBB198_58
; %bb.57:
	v_mov_b32_e32 v0, 0
	s_mov_b32 s5, 0
	s_delay_alu instid0(SALU_CYCLE_1) | instskip(NEXT) | instid1(SALU_CYCLE_1)
	s_lshl_b64 s[0:1], s[4:5], 1
	s_add_u32 s0, s2, s0
	ds_load_u16 v1, v0
	s_addc_u32 s1, s3, s1
	s_waitcnt lgkmcnt(0)
	global_store_b16 v0, v1, s[0:1]
.LBB198_58:
	s_nop 0
	s_sendmsg sendmsg(MSG_DEALLOC_VGPRS)
	s_endpgm
	.section	.rodata,"a",@progbits
	.p2align	6, 0x0
	.amdhsa_kernel _Z34inclusive_scan_reduce_array_kernelILj16ELj5ELN6hipcub18BlockScanAlgorithmE0E12hip_bfloat16EvPT2_S4_
		.amdhsa_group_segment_fixed_size 2
		.amdhsa_private_segment_fixed_size 0
		.amdhsa_kernarg_size 16
		.amdhsa_user_sgpr_count 15
		.amdhsa_user_sgpr_dispatch_ptr 0
		.amdhsa_user_sgpr_queue_ptr 0
		.amdhsa_user_sgpr_kernarg_segment_ptr 1
		.amdhsa_user_sgpr_dispatch_id 0
		.amdhsa_user_sgpr_private_segment_size 0
		.amdhsa_wavefront_size32 1
		.amdhsa_uses_dynamic_stack 0
		.amdhsa_enable_private_segment 0
		.amdhsa_system_sgpr_workgroup_id_x 1
		.amdhsa_system_sgpr_workgroup_id_y 0
		.amdhsa_system_sgpr_workgroup_id_z 0
		.amdhsa_system_sgpr_workgroup_info 0
		.amdhsa_system_vgpr_workitem_id 0
		.amdhsa_next_free_vgpr 25
		.amdhsa_next_free_sgpr 16
		.amdhsa_reserve_vcc 1
		.amdhsa_float_round_mode_32 0
		.amdhsa_float_round_mode_16_64 0
		.amdhsa_float_denorm_mode_32 3
		.amdhsa_float_denorm_mode_16_64 3
		.amdhsa_dx10_clamp 1
		.amdhsa_ieee_mode 1
		.amdhsa_fp16_overflow 0
		.amdhsa_workgroup_processor_mode 1
		.amdhsa_memory_ordered 1
		.amdhsa_forward_progress 0
		.amdhsa_shared_vgpr_count 0
		.amdhsa_exception_fp_ieee_invalid_op 0
		.amdhsa_exception_fp_denorm_src 0
		.amdhsa_exception_fp_ieee_div_zero 0
		.amdhsa_exception_fp_ieee_overflow 0
		.amdhsa_exception_fp_ieee_underflow 0
		.amdhsa_exception_fp_ieee_inexact 0
		.amdhsa_exception_int_div_zero 0
	.end_amdhsa_kernel
	.section	.text._Z34inclusive_scan_reduce_array_kernelILj16ELj5ELN6hipcub18BlockScanAlgorithmE0E12hip_bfloat16EvPT2_S4_,"axG",@progbits,_Z34inclusive_scan_reduce_array_kernelILj16ELj5ELN6hipcub18BlockScanAlgorithmE0E12hip_bfloat16EvPT2_S4_,comdat
.Lfunc_end198:
	.size	_Z34inclusive_scan_reduce_array_kernelILj16ELj5ELN6hipcub18BlockScanAlgorithmE0E12hip_bfloat16EvPT2_S4_, .Lfunc_end198-_Z34inclusive_scan_reduce_array_kernelILj16ELj5ELN6hipcub18BlockScanAlgorithmE0E12hip_bfloat16EvPT2_S4_
                                        ; -- End function
	.section	.AMDGPU.csdata,"",@progbits
; Kernel info:
; codeLenInByte = 2084
; NumSgprs: 18
; NumVgprs: 25
; ScratchSize: 0
; MemoryBound: 0
; FloatMode: 240
; IeeeMode: 1
; LDSByteSize: 2 bytes/workgroup (compile time only)
; SGPRBlocks: 2
; VGPRBlocks: 3
; NumSGPRsForWavesPerEU: 18
; NumVGPRsForWavesPerEU: 25
; Occupancy: 16
; WaveLimiterHint : 0
; COMPUTE_PGM_RSRC2:SCRATCH_EN: 0
; COMPUTE_PGM_RSRC2:USER_SGPR: 15
; COMPUTE_PGM_RSRC2:TRAP_HANDLER: 0
; COMPUTE_PGM_RSRC2:TGID_X_EN: 1
; COMPUTE_PGM_RSRC2:TGID_Y_EN: 0
; COMPUTE_PGM_RSRC2:TGID_Z_EN: 0
; COMPUTE_PGM_RSRC2:TIDIG_COMP_CNT: 0
	.section	.text._Z34inclusive_scan_reduce_array_kernelILj65ELj5ELN6hipcub18BlockScanAlgorithmE0E6__halfEvPT2_S4_,"axG",@progbits,_Z34inclusive_scan_reduce_array_kernelILj65ELj5ELN6hipcub18BlockScanAlgorithmE0E6__halfEvPT2_S4_,comdat
	.protected	_Z34inclusive_scan_reduce_array_kernelILj65ELj5ELN6hipcub18BlockScanAlgorithmE0E6__halfEvPT2_S4_ ; -- Begin function _Z34inclusive_scan_reduce_array_kernelILj65ELj5ELN6hipcub18BlockScanAlgorithmE0E6__halfEvPT2_S4_
	.globl	_Z34inclusive_scan_reduce_array_kernelILj65ELj5ELN6hipcub18BlockScanAlgorithmE0E6__halfEvPT2_S4_
	.p2align	8
	.type	_Z34inclusive_scan_reduce_array_kernelILj65ELj5ELN6hipcub18BlockScanAlgorithmE0E6__halfEvPT2_S4_,@function
_Z34inclusive_scan_reduce_array_kernelILj65ELj5ELN6hipcub18BlockScanAlgorithmE0E6__halfEvPT2_S4_: ; @_Z34inclusive_scan_reduce_array_kernelILj65ELj5ELN6hipcub18BlockScanAlgorithmE0E6__halfEvPT2_S4_
; %bb.0:
	s_mov_b32 s4, s15
	s_load_b128 s[0:3], s[0:1], 0x0
	v_mad_u64_u32 v[1:2], null, 0x41, s4, v[0:1]
	s_delay_alu instid0(VALU_DEP_1) | instskip(NEXT) | instid1(VALU_DEP_1)
	v_lshl_add_u32 v1, v1, 2, v1
	v_dual_mov_b32 v2, 0 :: v_dual_add_nc_u32 v3, 1, v1
	s_delay_alu instid0(VALU_DEP_1) | instskip(SKIP_3) | instid1(VALU_DEP_4)
	v_dual_mov_b32 v4, v2 :: v_dual_add_nc_u32 v5, 2, v1
	v_lshlrev_b64 v[9:10], 1, v[1:2]
	v_dual_mov_b32 v6, v2 :: v_dual_add_nc_u32 v7, 3, v1
	v_dual_mov_b32 v8, v2 :: v_dual_add_nc_u32 v1, 4, v1
	v_lshlrev_b64 v[3:4], 1, v[3:4]
	s_delay_alu instid0(VALU_DEP_3) | instskip(NEXT) | instid1(VALU_DEP_3)
	v_lshlrev_b64 v[5:6], 1, v[5:6]
	v_lshlrev_b64 v[7:8], 1, v[7:8]
	s_delay_alu instid0(VALU_DEP_4)
	v_lshlrev_b64 v[14:15], 1, v[1:2]
	s_waitcnt lgkmcnt(0)
	v_add_co_u32 v1, vcc_lo, s0, v9
	v_add_co_ci_u32_e32 v2, vcc_lo, s1, v10, vcc_lo
	v_add_co_u32 v3, vcc_lo, s0, v3
	v_add_co_ci_u32_e32 v4, vcc_lo, s1, v4, vcc_lo
	;; [unrolled: 2-line block ×3, first 2 shown]
	s_clause 0x1
	global_load_u16 v11, v[1:2], off
	global_load_u16 v12, v[3:4], off
	v_add_co_u32 v7, vcc_lo, s0, v7
	v_add_co_ci_u32_e32 v8, vcc_lo, s1, v8, vcc_lo
	global_load_u16 v13, v[5:6], off
	v_add_co_u32 v9, vcc_lo, s0, v14
	v_add_co_ci_u32_e32 v10, vcc_lo, s1, v15, vcc_lo
	s_clause 0x1
	global_load_u16 v14, v[7:8], off
	global_load_u16 v15, v[9:10], off
	s_mov_b32 s0, exec_lo
	s_waitcnt vmcnt(3)
	v_add_f16_e32 v16, v11, v12
	s_waitcnt vmcnt(2)
	s_delay_alu instid0(VALU_DEP_1) | instskip(SKIP_1) | instid1(VALU_DEP_1)
	v_add_f16_e32 v16, v16, v13
	s_waitcnt vmcnt(1)
	v_add_f16_e32 v16, v16, v14
	s_waitcnt vmcnt(0)
	s_delay_alu instid0(VALU_DEP_1) | instskip(SKIP_1) | instid1(VALU_DEP_2)
	v_add_f16_e32 v17, v16, v15
	v_mbcnt_lo_u32_b32 v16, -1, 0
	v_and_b32_e32 v18, 0xffff, v17
	s_delay_alu instid0(VALU_DEP_2) | instskip(SKIP_1) | instid1(VALU_DEP_3)
	v_and_b32_e32 v19, 15, v16
	v_and_b32_e32 v20, 16, v16
	v_mov_b32_dpp v18, v18 row_shr:1 row_mask:0xf bank_mask:0xf
	s_delay_alu instid0(VALU_DEP_3) | instskip(NEXT) | instid1(VALU_DEP_2)
	v_cmp_eq_u32_e32 vcc_lo, 0, v19
	v_add_f16_e32 v18, v17, v18
	s_delay_alu instid0(VALU_DEP_1) | instskip(SKIP_1) | instid1(VALU_DEP_2)
	v_cndmask_b32_e32 v17, v18, v17, vcc_lo
	v_cmp_lt_u32_e32 vcc_lo, 1, v19
	v_and_b32_e32 v18, 0xffff, v17
	s_delay_alu instid0(VALU_DEP_1) | instskip(NEXT) | instid1(VALU_DEP_1)
	v_mov_b32_dpp v18, v18 row_shr:2 row_mask:0xf bank_mask:0xf
	v_add_f16_e32 v18, v17, v18
	s_delay_alu instid0(VALU_DEP_1) | instskip(SKIP_1) | instid1(VALU_DEP_2)
	v_cndmask_b32_e32 v17, v17, v18, vcc_lo
	v_cmp_lt_u32_e32 vcc_lo, 3, v19
	v_and_b32_e32 v18, 0xffff, v17
	s_delay_alu instid0(VALU_DEP_1) | instskip(NEXT) | instid1(VALU_DEP_1)
	v_mov_b32_dpp v18, v18 row_shr:4 row_mask:0xf bank_mask:0xf
	v_add_f16_e32 v18, v17, v18
	s_delay_alu instid0(VALU_DEP_1) | instskip(SKIP_2) | instid1(VALU_DEP_3)
	v_cndmask_b32_e32 v17, v17, v18, vcc_lo
	v_cmp_lt_u32_e32 vcc_lo, 7, v19
	v_and_b32_e32 v19, 0x60, v0
	v_and_b32_e32 v18, 0xffff, v17
	s_delay_alu instid0(VALU_DEP_2) | instskip(NEXT) | instid1(VALU_DEP_2)
	v_min_u32_e32 v19, 33, v19
	v_mov_b32_dpp v18, v18 row_shr:8 row_mask:0xf bank_mask:0xf
	s_delay_alu instid0(VALU_DEP_2) | instskip(NEXT) | instid1(VALU_DEP_2)
	v_add_nc_u32_e32 v19, 31, v19
	v_add_f16_e32 v18, v17, v18
	s_delay_alu instid0(VALU_DEP_1) | instskip(SKIP_1) | instid1(VALU_DEP_2)
	v_cndmask_b32_e32 v17, v17, v18, vcc_lo
	v_cmp_eq_u32_e32 vcc_lo, 0, v20
	v_and_b32_e32 v18, 0xffff, v17
	ds_swizzle_b32 v18, v18 offset:swizzle(BROADCAST,32,15)
	s_waitcnt lgkmcnt(0)
	v_add_f16_e32 v21, v17, v18
	v_lshrrev_b32_e32 v18, 5, v0
	s_delay_alu instid0(VALU_DEP_2)
	v_cndmask_b32_e32 v17, v21, v17, vcc_lo
	v_cmpx_eq_u32_e64 v19, v0
	s_cbranch_execz .LBB199_2
; %bb.1:
	s_delay_alu instid0(VALU_DEP_3)
	v_lshlrev_b32_e32 v19, 1, v18
	ds_store_b16 v19, v17
.LBB199_2:
	s_or_b32 exec_lo, exec_lo, s0
	s_delay_alu instid0(SALU_CYCLE_1)
	s_mov_b32 s0, exec_lo
	s_waitcnt lgkmcnt(0)
	s_barrier
	buffer_gl0_inv
	v_cmpx_gt_u32_e32 3, v0
	s_cbranch_execz .LBB199_4
; %bb.3:
	v_lshlrev_b32_e32 v19, 1, v0
	v_and_b32_e32 v22, 3, v16
	ds_load_u16 v20, v19
	v_cmp_eq_u32_e32 vcc_lo, 0, v22
	s_waitcnt lgkmcnt(0)
	v_and_b32_e32 v21, 0xffff, v20
	s_delay_alu instid0(VALU_DEP_1) | instskip(NEXT) | instid1(VALU_DEP_1)
	v_mov_b32_dpp v21, v21 row_shr:1 row_mask:0xf bank_mask:0xf
	v_add_f16_e32 v21, v20, v21
	s_delay_alu instid0(VALU_DEP_1) | instskip(SKIP_1) | instid1(VALU_DEP_2)
	v_cndmask_b32_e32 v20, v21, v20, vcc_lo
	v_cmp_lt_u32_e32 vcc_lo, 1, v22
	v_and_b32_e32 v21, 0xffff, v20
	s_delay_alu instid0(VALU_DEP_1) | instskip(NEXT) | instid1(VALU_DEP_1)
	v_mov_b32_dpp v21, v21 row_shr:2 row_mask:0xf bank_mask:0xf
	v_add_f16_e32 v21, v20, v21
	s_delay_alu instid0(VALU_DEP_1)
	v_cndmask_b32_e32 v20, v20, v21, vcc_lo
	ds_store_b16 v19, v20
.LBB199_4:
	s_or_b32 exec_lo, exec_lo, s0
	s_delay_alu instid0(SALU_CYCLE_1)
	s_mov_b32 s0, exec_lo
	s_waitcnt lgkmcnt(0)
	s_barrier
	buffer_gl0_inv
                                        ; implicit-def: $vgpr19
	v_cmpx_lt_u32_e32 31, v0
	s_cbranch_execz .LBB199_6
; %bb.5:
	v_lshl_add_u32 v18, v18, 1, -2
	ds_load_u16 v19, v18
	s_waitcnt lgkmcnt(0)
	v_add_f16_e32 v17, v17, v19
.LBB199_6:
	s_or_b32 exec_lo, exec_lo, s0
	v_add_nc_u32_e32 v18, -1, v16
	s_mov_b32 s5, 0
	s_delay_alu instid0(VALU_DEP_2) | instskip(NEXT) | instid1(VALU_DEP_2)
	v_and_b32_e32 v17, 0xffff, v17
	v_cmp_gt_i32_e32 vcc_lo, 0, v18
	v_cndmask_b32_e32 v18, v18, v16, vcc_lo
	v_cmp_eq_u32_e32 vcc_lo, 0, v16
	s_delay_alu instid0(VALU_DEP_2) | instskip(SKIP_4) | instid1(VALU_DEP_2)
	v_lshlrev_b32_e32 v18, 2, v18
	ds_bpermute_b32 v17, v18, v17
	s_waitcnt lgkmcnt(0)
	v_cndmask_b32_e32 v16, v17, v19, vcc_lo
	v_cmp_eq_u32_e32 vcc_lo, 0, v0
	v_add_f16_e32 v16, v11, v16
	s_delay_alu instid0(VALU_DEP_1) | instskip(NEXT) | instid1(VALU_DEP_1)
	v_cndmask_b32_e32 v0, v16, v11, vcc_lo
	v_add_f16_e32 v11, v12, v0
	s_delay_alu instid0(VALU_DEP_1) | instskip(NEXT) | instid1(VALU_DEP_1)
	v_add_f16_e32 v12, v13, v11
	v_add_f16_e32 v13, v12, v14
	s_delay_alu instid0(VALU_DEP_1)
	v_add_f16_e32 v14, v13, v15
	s_clause 0x4
	global_store_b16 v[1:2], v0, off
	global_store_b16 v[3:4], v11, off
	;; [unrolled: 1-line block ×5, first 2 shown]
	s_and_saveexec_b32 s0, vcc_lo
	s_cbranch_execz .LBB199_8
; %bb.7:
	v_mov_b32_e32 v0, 0
	s_lshl_b64 s[0:1], s[4:5], 1
	s_delay_alu instid0(SALU_CYCLE_1)
	s_add_u32 s0, s2, s0
	s_addc_u32 s1, s3, s1
	ds_load_u16 v1, v0 offset:4
	s_waitcnt lgkmcnt(0)
	global_store_b16 v0, v1, s[0:1]
.LBB199_8:
	s_nop 0
	s_sendmsg sendmsg(MSG_DEALLOC_VGPRS)
	s_endpgm
	.section	.rodata,"a",@progbits
	.p2align	6, 0x0
	.amdhsa_kernel _Z34inclusive_scan_reduce_array_kernelILj65ELj5ELN6hipcub18BlockScanAlgorithmE0E6__halfEvPT2_S4_
		.amdhsa_group_segment_fixed_size 6
		.amdhsa_private_segment_fixed_size 0
		.amdhsa_kernarg_size 16
		.amdhsa_user_sgpr_count 15
		.amdhsa_user_sgpr_dispatch_ptr 0
		.amdhsa_user_sgpr_queue_ptr 0
		.amdhsa_user_sgpr_kernarg_segment_ptr 1
		.amdhsa_user_sgpr_dispatch_id 0
		.amdhsa_user_sgpr_private_segment_size 0
		.amdhsa_wavefront_size32 1
		.amdhsa_uses_dynamic_stack 0
		.amdhsa_enable_private_segment 0
		.amdhsa_system_sgpr_workgroup_id_x 1
		.amdhsa_system_sgpr_workgroup_id_y 0
		.amdhsa_system_sgpr_workgroup_id_z 0
		.amdhsa_system_sgpr_workgroup_info 0
		.amdhsa_system_vgpr_workitem_id 0
		.amdhsa_next_free_vgpr 23
		.amdhsa_next_free_sgpr 16
		.amdhsa_reserve_vcc 1
		.amdhsa_float_round_mode_32 0
		.amdhsa_float_round_mode_16_64 0
		.amdhsa_float_denorm_mode_32 3
		.amdhsa_float_denorm_mode_16_64 3
		.amdhsa_dx10_clamp 1
		.amdhsa_ieee_mode 1
		.amdhsa_fp16_overflow 0
		.amdhsa_workgroup_processor_mode 1
		.amdhsa_memory_ordered 1
		.amdhsa_forward_progress 0
		.amdhsa_shared_vgpr_count 0
		.amdhsa_exception_fp_ieee_invalid_op 0
		.amdhsa_exception_fp_denorm_src 0
		.amdhsa_exception_fp_ieee_div_zero 0
		.amdhsa_exception_fp_ieee_overflow 0
		.amdhsa_exception_fp_ieee_underflow 0
		.amdhsa_exception_fp_ieee_inexact 0
		.amdhsa_exception_int_div_zero 0
	.end_amdhsa_kernel
	.section	.text._Z34inclusive_scan_reduce_array_kernelILj65ELj5ELN6hipcub18BlockScanAlgorithmE0E6__halfEvPT2_S4_,"axG",@progbits,_Z34inclusive_scan_reduce_array_kernelILj65ELj5ELN6hipcub18BlockScanAlgorithmE0E6__halfEvPT2_S4_,comdat
.Lfunc_end199:
	.size	_Z34inclusive_scan_reduce_array_kernelILj65ELj5ELN6hipcub18BlockScanAlgorithmE0E6__halfEvPT2_S4_, .Lfunc_end199-_Z34inclusive_scan_reduce_array_kernelILj65ELj5ELN6hipcub18BlockScanAlgorithmE0E6__halfEvPT2_S4_
                                        ; -- End function
	.section	.AMDGPU.csdata,"",@progbits
; Kernel info:
; codeLenInByte = 928
; NumSgprs: 18
; NumVgprs: 23
; ScratchSize: 0
; MemoryBound: 0
; FloatMode: 240
; IeeeMode: 1
; LDSByteSize: 6 bytes/workgroup (compile time only)
; SGPRBlocks: 2
; VGPRBlocks: 2
; NumSGPRsForWavesPerEU: 18
; NumVGPRsForWavesPerEU: 23
; Occupancy: 16
; WaveLimiterHint : 0
; COMPUTE_PGM_RSRC2:SCRATCH_EN: 0
; COMPUTE_PGM_RSRC2:USER_SGPR: 15
; COMPUTE_PGM_RSRC2:TRAP_HANDLER: 0
; COMPUTE_PGM_RSRC2:TGID_X_EN: 1
; COMPUTE_PGM_RSRC2:TGID_Y_EN: 0
; COMPUTE_PGM_RSRC2:TGID_Z_EN: 0
; COMPUTE_PGM_RSRC2:TIDIG_COMP_CNT: 0
	.section	.text._Z34inclusive_scan_reduce_array_kernelILj255ELj15ELN6hipcub18BlockScanAlgorithmE0EfEvPT2_S3_,"axG",@progbits,_Z34inclusive_scan_reduce_array_kernelILj255ELj15ELN6hipcub18BlockScanAlgorithmE0EfEvPT2_S3_,comdat
	.protected	_Z34inclusive_scan_reduce_array_kernelILj255ELj15ELN6hipcub18BlockScanAlgorithmE0EfEvPT2_S3_ ; -- Begin function _Z34inclusive_scan_reduce_array_kernelILj255ELj15ELN6hipcub18BlockScanAlgorithmE0EfEvPT2_S3_
	.globl	_Z34inclusive_scan_reduce_array_kernelILj255ELj15ELN6hipcub18BlockScanAlgorithmE0EfEvPT2_S3_
	.p2align	8
	.type	_Z34inclusive_scan_reduce_array_kernelILj255ELj15ELN6hipcub18BlockScanAlgorithmE0EfEvPT2_S3_,@function
_Z34inclusive_scan_reduce_array_kernelILj255ELj15ELN6hipcub18BlockScanAlgorithmE0EfEvPT2_S3_: ; @_Z34inclusive_scan_reduce_array_kernelILj255ELj15ELN6hipcub18BlockScanAlgorithmE0EfEvPT2_S3_
; %bb.0:
	s_mov_b32 s4, s15
	s_load_b128 s[0:3], s[0:1], 0x0
	v_mad_u64_u32 v[1:2], null, 0xff, s4, v[0:1]
	s_delay_alu instid0(VALU_DEP_1) | instskip(NEXT) | instid1(VALU_DEP_1)
	v_mul_lo_u32 v27, v1, 15
	v_dual_mov_b32 v28, 0 :: v_dual_add_nc_u32 v1, 1, v27
	s_delay_alu instid0(VALU_DEP_1) | instskip(SKIP_2) | instid1(VALU_DEP_3)
	v_dual_mov_b32 v2, v28 :: v_dual_add_nc_u32 v3, 2, v27
	v_lshlrev_b64 v[9:10], 2, v[27:28]
	v_dual_mov_b32 v4, v28 :: v_dual_add_nc_u32 v5, 3, v27
	v_lshlrev_b64 v[11:12], 2, v[1:2]
	v_dual_mov_b32 v6, v28 :: v_dual_add_nc_u32 v7, 4, v27
	s_delay_alu instid0(VALU_DEP_3)
	v_lshlrev_b64 v[13:14], 2, v[3:4]
	s_waitcnt lgkmcnt(0)
	v_add_co_u32 v1, vcc_lo, s0, v9
	v_mov_b32_e32 v8, v28
	v_add_co_ci_u32_e32 v2, vcc_lo, s1, v10, vcc_lo
	v_lshlrev_b64 v[15:16], 2, v[5:6]
	v_add_co_u32 v3, vcc_lo, s0, v11
	v_add_nc_u32_e32 v11, 5, v27
	v_add_co_ci_u32_e32 v4, vcc_lo, s1, v12, vcc_lo
	v_lshlrev_b64 v[17:18], 2, v[7:8]
	v_add_co_u32 v5, vcc_lo, s0, v13
	v_add_co_ci_u32_e32 v6, vcc_lo, s1, v14, vcc_lo
	v_add_co_u32 v7, vcc_lo, s0, v15
	v_add_co_ci_u32_e32 v8, vcc_lo, s1, v16, vcc_lo
	v_add_co_u32 v9, vcc_lo, s0, v17
	v_dual_mov_b32 v12, v28 :: v_dual_add_nc_u32 v13, 6, v27
	v_add_co_ci_u32_e32 v10, vcc_lo, s1, v18, vcc_lo
	s_clause 0x4
	global_load_b32 v31, v[1:2], off
	global_load_b32 v32, v[3:4], off
	global_load_b32 v33, v[5:6], off
	global_load_b32 v34, v[7:8], off
	global_load_b32 v35, v[9:10], off
	v_dual_mov_b32 v14, v28 :: v_dual_add_nc_u32 v15, 7, v27
	v_lshlrev_b64 v[11:12], 2, v[11:12]
	v_dual_mov_b32 v16, v28 :: v_dual_add_nc_u32 v17, 8, v27
	s_delay_alu instid0(VALU_DEP_3) | instskip(SKIP_1) | instid1(VALU_DEP_4)
	v_lshlrev_b64 v[13:14], 2, v[13:14]
	v_dual_mov_b32 v18, v28 :: v_dual_add_nc_u32 v19, 9, v27
	v_add_co_u32 v11, vcc_lo, s0, v11
	s_delay_alu instid0(VALU_DEP_4)
	v_lshlrev_b64 v[15:16], 2, v[15:16]
	v_add_co_ci_u32_e32 v12, vcc_lo, s1, v12, vcc_lo
	v_add_co_u32 v13, vcc_lo, s0, v13
	v_add_co_ci_u32_e32 v14, vcc_lo, s1, v14, vcc_lo
	v_dual_mov_b32 v20, v28 :: v_dual_add_nc_u32 v21, 10, v27
	v_add_co_u32 v15, vcc_lo, s0, v15
	global_load_b32 v36, v[11:12], off
	v_lshlrev_b64 v[17:18], 2, v[17:18]
	v_add_co_ci_u32_e32 v16, vcc_lo, s1, v16, vcc_lo
	v_lshlrev_b64 v[19:20], 2, v[19:20]
	s_clause 0x1
	global_load_b32 v37, v[13:14], off
	global_load_b32 v38, v[15:16], off
	v_add_co_u32 v17, vcc_lo, s0, v17
	v_dual_mov_b32 v22, v28 :: v_dual_add_nc_u32 v23, 11, v27
	v_add_co_ci_u32_e32 v18, vcc_lo, s1, v18, vcc_lo
	v_add_co_u32 v19, vcc_lo, s0, v19
	v_dual_mov_b32 v24, v28 :: v_dual_add_nc_u32 v25, 12, v27
	v_add_co_ci_u32_e32 v20, vcc_lo, s1, v20, vcc_lo
	v_lshlrev_b64 v[21:22], 2, v[21:22]
	v_dual_mov_b32 v26, v28 :: v_dual_add_nc_u32 v29, 13, v27
	s_clause 0x1
	global_load_b32 v39, v[17:18], off
	global_load_b32 v40, v[19:20], off
	v_lshlrev_b64 v[23:24], 2, v[23:24]
	v_dual_mov_b32 v30, v28 :: v_dual_add_nc_u32 v27, 14, v27
	v_add_co_u32 v21, vcc_lo, s0, v21
	v_lshlrev_b64 v[25:26], 2, v[25:26]
	v_add_co_ci_u32_e32 v22, vcc_lo, s1, v22, vcc_lo
	v_add_co_u32 v23, vcc_lo, s0, v23
	v_add_co_ci_u32_e32 v24, vcc_lo, s1, v24, vcc_lo
	s_delay_alu instid0(VALU_DEP_4)
	v_add_co_u32 v25, vcc_lo, s0, v25
	global_load_b32 v41, v[21:22], off
	v_lshlrev_b64 v[29:30], 2, v[29:30]
	v_add_co_ci_u32_e32 v26, vcc_lo, s1, v26, vcc_lo
	v_lshlrev_b64 v[45:46], 2, v[27:28]
	s_clause 0x1
	global_load_b32 v43, v[23:24], off
	global_load_b32 v44, v[25:26], off
	v_add_co_u32 v27, vcc_lo, s0, v29
	v_add_co_ci_u32_e32 v28, vcc_lo, s1, v30, vcc_lo
	v_add_co_u32 v29, vcc_lo, s0, v45
	v_add_co_ci_u32_e32 v30, vcc_lo, s1, v46, vcc_lo
	s_clause 0x1
	global_load_b32 v45, v[27:28], off
	global_load_b32 v42, v[29:30], off
	s_mov_b32 s0, exec_lo
	s_waitcnt vmcnt(13)
	v_add_f32_e32 v46, v31, v32
	s_waitcnt vmcnt(12)
	s_delay_alu instid0(VALU_DEP_1) | instskip(SKIP_1) | instid1(VALU_DEP_1)
	v_add_f32_e32 v46, v33, v46
	s_waitcnt vmcnt(11)
	v_add_f32_e32 v46, v34, v46
	s_waitcnt vmcnt(10)
	s_delay_alu instid0(VALU_DEP_1) | instskip(SKIP_1) | instid1(VALU_DEP_1)
	v_add_f32_e32 v46, v35, v46
	s_waitcnt vmcnt(9)
	v_add_f32_e32 v46, v36, v46
	s_waitcnt vmcnt(8)
	s_delay_alu instid0(VALU_DEP_1) | instskip(SKIP_1) | instid1(VALU_DEP_1)
	v_add_f32_e32 v46, v37, v46
	s_waitcnt vmcnt(7)
	v_add_f32_e32 v46, v38, v46
	s_waitcnt vmcnt(6)
	s_delay_alu instid0(VALU_DEP_1) | instskip(SKIP_1) | instid1(VALU_DEP_1)
	v_add_f32_e32 v46, v39, v46
	s_waitcnt vmcnt(5)
	v_add_f32_e32 v46, v40, v46
	s_waitcnt vmcnt(4)
	s_delay_alu instid0(VALU_DEP_1) | instskip(SKIP_1) | instid1(VALU_DEP_1)
	v_add_f32_e32 v46, v41, v46
	s_waitcnt vmcnt(3)
	v_add_f32_e32 v46, v43, v46
	s_waitcnt vmcnt(2)
	s_delay_alu instid0(VALU_DEP_1) | instskip(SKIP_1) | instid1(VALU_DEP_1)
	v_add_f32_e32 v46, v44, v46
	s_waitcnt vmcnt(1)
	v_add_f32_e32 v46, v45, v46
	s_waitcnt vmcnt(0)
	s_delay_alu instid0(VALU_DEP_1) | instskip(SKIP_1) | instid1(VALU_DEP_2)
	v_add_f32_e32 v47, v42, v46
	v_mbcnt_lo_u32_b32 v46, -1, 0
	v_mov_b32_dpp v48, v47 row_shr:1 row_mask:0xf bank_mask:0xf
	s_delay_alu instid0(VALU_DEP_2) | instskip(SKIP_1) | instid1(VALU_DEP_3)
	v_and_b32_e32 v49, 15, v46
	v_and_b32_e32 v50, 16, v46
	v_add_f32_e32 v48, v47, v48
	s_delay_alu instid0(VALU_DEP_3) | instskip(NEXT) | instid1(VALU_DEP_2)
	v_cmp_eq_u32_e32 vcc_lo, 0, v49
	v_cndmask_b32_e32 v47, v48, v47, vcc_lo
	v_cmp_lt_u32_e32 vcc_lo, 1, v49
	s_delay_alu instid0(VALU_DEP_2) | instskip(NEXT) | instid1(VALU_DEP_1)
	v_mov_b32_dpp v48, v47 row_shr:2 row_mask:0xf bank_mask:0xf
	v_add_f32_e32 v48, v47, v48
	s_delay_alu instid0(VALU_DEP_1) | instskip(SKIP_1) | instid1(VALU_DEP_2)
	v_cndmask_b32_e32 v47, v47, v48, vcc_lo
	v_cmp_lt_u32_e32 vcc_lo, 3, v49
	v_mov_b32_dpp v48, v47 row_shr:4 row_mask:0xf bank_mask:0xf
	s_delay_alu instid0(VALU_DEP_1) | instskip(NEXT) | instid1(VALU_DEP_1)
	v_add_f32_e32 v48, v47, v48
	v_cndmask_b32_e32 v47, v47, v48, vcc_lo
	v_cmp_lt_u32_e32 vcc_lo, 7, v49
	v_and_b32_e32 v49, 0xe0, v0
	s_delay_alu instid0(VALU_DEP_3) | instskip(NEXT) | instid1(VALU_DEP_2)
	v_mov_b32_dpp v48, v47 row_shr:8 row_mask:0xf bank_mask:0xf
	v_min_u32_e32 v49, 0xdf, v49
	s_delay_alu instid0(VALU_DEP_1) | instskip(NEXT) | instid1(VALU_DEP_1)
	v_dual_add_f32 v48, v47, v48 :: v_dual_add_nc_u32 v49, 31, v49
	v_cndmask_b32_e32 v47, v47, v48, vcc_lo
	v_cmp_eq_u32_e32 vcc_lo, 0, v50
	ds_swizzle_b32 v48, v47 offset:swizzle(BROADCAST,32,15)
	s_waitcnt lgkmcnt(0)
	v_add_f32_e32 v51, v47, v48
	v_lshrrev_b32_e32 v48, 5, v0
	s_delay_alu instid0(VALU_DEP_2)
	v_cndmask_b32_e32 v47, v51, v47, vcc_lo
	v_cmpx_eq_u32_e64 v49, v0
	s_cbranch_execz .LBB200_2
; %bb.1:
	s_delay_alu instid0(VALU_DEP_3)
	v_lshlrev_b32_e32 v49, 2, v48
	ds_store_b32 v49, v47
.LBB200_2:
	s_or_b32 exec_lo, exec_lo, s0
	s_delay_alu instid0(SALU_CYCLE_1)
	s_mov_b32 s0, exec_lo
	s_waitcnt lgkmcnt(0)
	s_barrier
	buffer_gl0_inv
	v_cmpx_gt_u32_e32 8, v0
	s_cbranch_execz .LBB200_4
; %bb.3:
	v_and_b32_e32 v52, 7, v46
	s_delay_alu instid0(VALU_DEP_1) | instskip(SKIP_4) | instid1(VALU_DEP_1)
	v_cmp_eq_u32_e32 vcc_lo, 0, v52
	v_lshlrev_b32_e32 v49, 2, v0
	ds_load_b32 v50, v49
	s_waitcnt lgkmcnt(0)
	v_mov_b32_dpp v51, v50 row_shr:1 row_mask:0xf bank_mask:0xf
	v_add_f32_e32 v51, v50, v51
	s_delay_alu instid0(VALU_DEP_1) | instskip(SKIP_1) | instid1(VALU_DEP_2)
	v_cndmask_b32_e32 v50, v51, v50, vcc_lo
	v_cmp_lt_u32_e32 vcc_lo, 1, v52
	v_mov_b32_dpp v51, v50 row_shr:2 row_mask:0xf bank_mask:0xf
	s_delay_alu instid0(VALU_DEP_1) | instskip(NEXT) | instid1(VALU_DEP_1)
	v_add_f32_e32 v51, v50, v51
	v_cndmask_b32_e32 v50, v50, v51, vcc_lo
	v_cmp_lt_u32_e32 vcc_lo, 3, v52
	s_delay_alu instid0(VALU_DEP_2) | instskip(NEXT) | instid1(VALU_DEP_1)
	v_mov_b32_dpp v51, v50 row_shr:4 row_mask:0xf bank_mask:0xf
	v_add_f32_e32 v51, v50, v51
	s_delay_alu instid0(VALU_DEP_1)
	v_cndmask_b32_e32 v50, v50, v51, vcc_lo
	ds_store_b32 v49, v50
.LBB200_4:
	s_or_b32 exec_lo, exec_lo, s0
	s_delay_alu instid0(SALU_CYCLE_1)
	s_mov_b32 s0, exec_lo
	s_waitcnt lgkmcnt(0)
	s_barrier
	buffer_gl0_inv
                                        ; implicit-def: $vgpr49
	v_cmpx_lt_u32_e32 31, v0
	s_cbranch_execz .LBB200_6
; %bb.5:
	v_lshl_add_u32 v48, v48, 2, -4
	ds_load_b32 v49, v48
	s_waitcnt lgkmcnt(0)
	v_add_f32_e32 v47, v47, v49
.LBB200_6:
	s_or_b32 exec_lo, exec_lo, s0
	v_add_nc_u32_e32 v48, -1, v46
	s_mov_b32 s5, 0
	s_delay_alu instid0(VALU_DEP_1) | instskip(SKIP_2) | instid1(VALU_DEP_2)
	v_cmp_gt_i32_e32 vcc_lo, 0, v48
	v_cndmask_b32_e32 v48, v48, v46, vcc_lo
	v_cmp_eq_u32_e32 vcc_lo, 0, v46
	v_lshlrev_b32_e32 v48, 2, v48
	ds_bpermute_b32 v47, v48, v47
	s_waitcnt lgkmcnt(0)
	v_cndmask_b32_e32 v46, v47, v49, vcc_lo
	v_cmp_eq_u32_e32 vcc_lo, 0, v0
	s_delay_alu instid0(VALU_DEP_2) | instskip(NEXT) | instid1(VALU_DEP_1)
	v_add_f32_e32 v46, v31, v46
	v_cndmask_b32_e32 v0, v46, v31, vcc_lo
	s_delay_alu instid0(VALU_DEP_1) | instskip(NEXT) | instid1(VALU_DEP_1)
	v_add_f32_e32 v31, v32, v0
	v_add_f32_e32 v32, v33, v31
	s_delay_alu instid0(VALU_DEP_1) | instskip(NEXT) | instid1(VALU_DEP_1)
	v_add_f32_e32 v33, v34, v32
	v_add_f32_e32 v34, v35, v33
	s_delay_alu instid0(VALU_DEP_1) | instskip(NEXT) | instid1(VALU_DEP_1)
	v_add_f32_e32 v35, v36, v34
	v_add_f32_e32 v36, v37, v35
	s_delay_alu instid0(VALU_DEP_1) | instskip(NEXT) | instid1(VALU_DEP_1)
	v_add_f32_e32 v37, v38, v36
	v_add_f32_e32 v38, v39, v37
	s_delay_alu instid0(VALU_DEP_1) | instskip(NEXT) | instid1(VALU_DEP_1)
	v_add_f32_e32 v39, v40, v38
	v_add_f32_e32 v40, v41, v39
	s_delay_alu instid0(VALU_DEP_1)
	v_add_f32_e32 v41, v43, v40
	s_clause 0x7
	global_store_b32 v[1:2], v0, off
	global_store_b32 v[3:4], v31, off
	;; [unrolled: 1-line block ×8, first 2 shown]
	v_add_f32_e32 v43, v44, v41
	s_delay_alu instid0(VALU_DEP_1) | instskip(NEXT) | instid1(VALU_DEP_1)
	v_add_f32_e32 v44, v45, v43
	v_add_f32_e32 v0, v42, v44
	s_clause 0x6
	global_store_b32 v[17:18], v38, off
	global_store_b32 v[19:20], v39, off
	;; [unrolled: 1-line block ×7, first 2 shown]
	s_and_saveexec_b32 s0, vcc_lo
	s_cbranch_execz .LBB200_8
; %bb.7:
	v_mov_b32_e32 v0, 0
	s_lshl_b64 s[0:1], s[4:5], 2
	s_delay_alu instid0(SALU_CYCLE_1)
	s_add_u32 s0, s2, s0
	s_addc_u32 s1, s3, s1
	ds_load_b32 v1, v0 offset:28
	s_waitcnt lgkmcnt(0)
	global_store_b32 v0, v1, s[0:1]
.LBB200_8:
	s_nop 0
	s_sendmsg sendmsg(MSG_DEALLOC_VGPRS)
	s_endpgm
	.section	.rodata,"a",@progbits
	.p2align	6, 0x0
	.amdhsa_kernel _Z34inclusive_scan_reduce_array_kernelILj255ELj15ELN6hipcub18BlockScanAlgorithmE0EfEvPT2_S3_
		.amdhsa_group_segment_fixed_size 32
		.amdhsa_private_segment_fixed_size 0
		.amdhsa_kernarg_size 16
		.amdhsa_user_sgpr_count 15
		.amdhsa_user_sgpr_dispatch_ptr 0
		.amdhsa_user_sgpr_queue_ptr 0
		.amdhsa_user_sgpr_kernarg_segment_ptr 1
		.amdhsa_user_sgpr_dispatch_id 0
		.amdhsa_user_sgpr_private_segment_size 0
		.amdhsa_wavefront_size32 1
		.amdhsa_uses_dynamic_stack 0
		.amdhsa_enable_private_segment 0
		.amdhsa_system_sgpr_workgroup_id_x 1
		.amdhsa_system_sgpr_workgroup_id_y 0
		.amdhsa_system_sgpr_workgroup_id_z 0
		.amdhsa_system_sgpr_workgroup_info 0
		.amdhsa_system_vgpr_workitem_id 0
		.amdhsa_next_free_vgpr 53
		.amdhsa_next_free_sgpr 16
		.amdhsa_reserve_vcc 1
		.amdhsa_float_round_mode_32 0
		.amdhsa_float_round_mode_16_64 0
		.amdhsa_float_denorm_mode_32 3
		.amdhsa_float_denorm_mode_16_64 3
		.amdhsa_dx10_clamp 1
		.amdhsa_ieee_mode 1
		.amdhsa_fp16_overflow 0
		.amdhsa_workgroup_processor_mode 1
		.amdhsa_memory_ordered 1
		.amdhsa_forward_progress 0
		.amdhsa_shared_vgpr_count 0
		.amdhsa_exception_fp_ieee_invalid_op 0
		.amdhsa_exception_fp_denorm_src 0
		.amdhsa_exception_fp_ieee_div_zero 0
		.amdhsa_exception_fp_ieee_overflow 0
		.amdhsa_exception_fp_ieee_underflow 0
		.amdhsa_exception_fp_ieee_inexact 0
		.amdhsa_exception_int_div_zero 0
	.end_amdhsa_kernel
	.section	.text._Z34inclusive_scan_reduce_array_kernelILj255ELj15ELN6hipcub18BlockScanAlgorithmE0EfEvPT2_S3_,"axG",@progbits,_Z34inclusive_scan_reduce_array_kernelILj255ELj15ELN6hipcub18BlockScanAlgorithmE0EfEvPT2_S3_,comdat
.Lfunc_end200:
	.size	_Z34inclusive_scan_reduce_array_kernelILj255ELj15ELN6hipcub18BlockScanAlgorithmE0EfEvPT2_S3_, .Lfunc_end200-_Z34inclusive_scan_reduce_array_kernelILj255ELj15ELN6hipcub18BlockScanAlgorithmE0EfEvPT2_S3_
                                        ; -- End function
	.section	.AMDGPU.csdata,"",@progbits
; Kernel info:
; codeLenInByte = 1500
; NumSgprs: 18
; NumVgprs: 53
; ScratchSize: 0
; MemoryBound: 0
; FloatMode: 240
; IeeeMode: 1
; LDSByteSize: 32 bytes/workgroup (compile time only)
; SGPRBlocks: 2
; VGPRBlocks: 6
; NumSGPRsForWavesPerEU: 18
; NumVGPRsForWavesPerEU: 53
; Occupancy: 16
; WaveLimiterHint : 0
; COMPUTE_PGM_RSRC2:SCRATCH_EN: 0
; COMPUTE_PGM_RSRC2:USER_SGPR: 15
; COMPUTE_PGM_RSRC2:TRAP_HANDLER: 0
; COMPUTE_PGM_RSRC2:TGID_X_EN: 1
; COMPUTE_PGM_RSRC2:TGID_Y_EN: 0
; COMPUTE_PGM_RSRC2:TGID_Z_EN: 0
; COMPUTE_PGM_RSRC2:TIDIG_COMP_CNT: 0
	.section	.text._Z34inclusive_scan_reduce_array_kernelILj162ELj7ELN6hipcub18BlockScanAlgorithmE0EfEvPT2_S3_,"axG",@progbits,_Z34inclusive_scan_reduce_array_kernelILj162ELj7ELN6hipcub18BlockScanAlgorithmE0EfEvPT2_S3_,comdat
	.protected	_Z34inclusive_scan_reduce_array_kernelILj162ELj7ELN6hipcub18BlockScanAlgorithmE0EfEvPT2_S3_ ; -- Begin function _Z34inclusive_scan_reduce_array_kernelILj162ELj7ELN6hipcub18BlockScanAlgorithmE0EfEvPT2_S3_
	.globl	_Z34inclusive_scan_reduce_array_kernelILj162ELj7ELN6hipcub18BlockScanAlgorithmE0EfEvPT2_S3_
	.p2align	8
	.type	_Z34inclusive_scan_reduce_array_kernelILj162ELj7ELN6hipcub18BlockScanAlgorithmE0EfEvPT2_S3_,@function
_Z34inclusive_scan_reduce_array_kernelILj162ELj7ELN6hipcub18BlockScanAlgorithmE0EfEvPT2_S3_: ; @_Z34inclusive_scan_reduce_array_kernelILj162ELj7ELN6hipcub18BlockScanAlgorithmE0EfEvPT2_S3_
; %bb.0:
	s_mov_b32 s4, s15
	s_load_b128 s[0:3], s[0:1], 0x0
	v_mad_u64_u32 v[1:2], null, 0xa2, s4, v[0:1]
	s_delay_alu instid0(VALU_DEP_1) | instskip(NEXT) | instid1(VALU_DEP_1)
	v_mul_lo_u32 v11, v1, 7
	v_dual_mov_b32 v12, 0 :: v_dual_add_nc_u32 v1, 1, v11
	s_delay_alu instid0(VALU_DEP_1) | instskip(SKIP_2) | instid1(VALU_DEP_3)
	v_dual_mov_b32 v2, v12 :: v_dual_add_nc_u32 v3, 2, v11
	v_lshlrev_b64 v[9:10], 2, v[11:12]
	v_dual_mov_b32 v4, v12 :: v_dual_add_nc_u32 v5, 3, v11
	v_lshlrev_b64 v[13:14], 2, v[1:2]
	v_dual_mov_b32 v6, v12 :: v_dual_add_nc_u32 v7, 4, v11
	s_waitcnt lgkmcnt(0)
	s_delay_alu instid0(VALU_DEP_4)
	v_add_co_u32 v1, vcc_lo, s0, v9
	v_lshlrev_b64 v[15:16], 2, v[3:4]
	v_add_co_ci_u32_e32 v2, vcc_lo, s1, v10, vcc_lo
	v_mov_b32_e32 v8, v12
	v_add_co_u32 v3, vcc_lo, s0, v13
	v_add_nc_u32_e32 v13, 5, v11
	v_lshlrev_b64 v[17:18], 2, v[5:6]
	v_add_co_ci_u32_e32 v4, vcc_lo, s1, v14, vcc_lo
	v_add_co_u32 v5, vcc_lo, s0, v15
	v_lshlrev_b64 v[19:20], 2, v[7:8]
	v_add_co_ci_u32_e32 v6, vcc_lo, s1, v16, vcc_lo
	s_clause 0x1
	global_load_b32 v15, v[1:2], off
	global_load_b32 v16, v[3:4], off
	v_dual_mov_b32 v14, v12 :: v_dual_add_nc_u32 v11, 6, v11
	v_add_co_u32 v7, vcc_lo, s0, v17
	v_add_co_ci_u32_e32 v8, vcc_lo, s1, v18, vcc_lo
	v_add_co_u32 v9, vcc_lo, s0, v19
	global_load_b32 v17, v[5:6], off
	v_lshlrev_b64 v[13:14], 2, v[13:14]
	v_add_co_ci_u32_e32 v10, vcc_lo, s1, v20, vcc_lo
	v_lshlrev_b64 v[20:21], 2, v[11:12]
	s_clause 0x1
	global_load_b32 v18, v[7:8], off
	global_load_b32 v19, v[9:10], off
	v_add_co_u32 v11, vcc_lo, s0, v13
	v_add_co_ci_u32_e32 v12, vcc_lo, s1, v14, vcc_lo
	v_add_co_u32 v13, vcc_lo, s0, v20
	v_add_co_ci_u32_e32 v14, vcc_lo, s1, v21, vcc_lo
	s_clause 0x1
	global_load_b32 v20, v[11:12], off
	global_load_b32 v21, v[13:14], off
	s_mov_b32 s0, exec_lo
	s_waitcnt vmcnt(5)
	v_add_f32_e32 v22, v15, v16
	s_waitcnt vmcnt(4)
	s_delay_alu instid0(VALU_DEP_1) | instskip(SKIP_1) | instid1(VALU_DEP_1)
	v_add_f32_e32 v22, v17, v22
	s_waitcnt vmcnt(3)
	v_add_f32_e32 v22, v18, v22
	s_waitcnt vmcnt(2)
	s_delay_alu instid0(VALU_DEP_1) | instskip(SKIP_1) | instid1(VALU_DEP_1)
	v_add_f32_e32 v22, v19, v22
	s_waitcnt vmcnt(1)
	v_add_f32_e32 v22, v20, v22
	s_waitcnt vmcnt(0)
	s_delay_alu instid0(VALU_DEP_1) | instskip(SKIP_1) | instid1(VALU_DEP_2)
	v_add_f32_e32 v23, v21, v22
	v_mbcnt_lo_u32_b32 v22, -1, 0
	v_mov_b32_dpp v24, v23 row_shr:1 row_mask:0xf bank_mask:0xf
	s_delay_alu instid0(VALU_DEP_1) | instskip(NEXT) | instid1(VALU_DEP_1)
	v_dual_add_f32 v24, v23, v24 :: v_dual_and_b32 v25, 15, v22
	v_cmp_eq_u32_e32 vcc_lo, 0, v25
	s_delay_alu instid0(VALU_DEP_2) | instskip(SKIP_1) | instid1(VALU_DEP_2)
	v_cndmask_b32_e32 v23, v24, v23, vcc_lo
	v_cmp_lt_u32_e32 vcc_lo, 1, v25
	v_mov_b32_dpp v24, v23 row_shr:2 row_mask:0xf bank_mask:0xf
	s_delay_alu instid0(VALU_DEP_1) | instskip(NEXT) | instid1(VALU_DEP_1)
	v_add_f32_e32 v24, v23, v24
	v_cndmask_b32_e32 v23, v23, v24, vcc_lo
	v_cmp_lt_u32_e32 vcc_lo, 3, v25
	s_delay_alu instid0(VALU_DEP_2) | instskip(NEXT) | instid1(VALU_DEP_1)
	v_mov_b32_dpp v24, v23 row_shr:4 row_mask:0xf bank_mask:0xf
	v_add_f32_e32 v24, v23, v24
	s_delay_alu instid0(VALU_DEP_1) | instskip(SKIP_2) | instid1(VALU_DEP_3)
	v_cndmask_b32_e32 v23, v23, v24, vcc_lo
	v_cmp_lt_u32_e32 vcc_lo, 7, v25
	v_and_b32_e32 v25, 0xe0, v0
	v_mov_b32_dpp v24, v23 row_shr:8 row_mask:0xf bank_mask:0xf
	s_delay_alu instid0(VALU_DEP_2) | instskip(NEXT) | instid1(VALU_DEP_1)
	v_min_u32_e32 v25, 0x82, v25
	v_dual_add_f32 v24, v23, v24 :: v_dual_add_nc_u32 v25, 31, v25
	s_delay_alu instid0(VALU_DEP_1) | instskip(SKIP_3) | instid1(VALU_DEP_1)
	v_cndmask_b32_e32 v23, v23, v24, vcc_lo
	ds_swizzle_b32 v24, v23 offset:swizzle(BROADCAST,32,15)
	s_waitcnt lgkmcnt(0)
	v_dual_add_f32 v27, v23, v24 :: v_dual_and_b32 v26, 16, v22
	v_cmp_eq_u32_e32 vcc_lo, 0, v26
	v_lshrrev_b32_e32 v24, 5, v0
	s_delay_alu instid0(VALU_DEP_3)
	v_cndmask_b32_e32 v23, v27, v23, vcc_lo
	v_cmpx_eq_u32_e64 v25, v0
	s_cbranch_execz .LBB201_2
; %bb.1:
	s_delay_alu instid0(VALU_DEP_3)
	v_lshlrev_b32_e32 v25, 2, v24
	ds_store_b32 v25, v23
.LBB201_2:
	s_or_b32 exec_lo, exec_lo, s0
	s_delay_alu instid0(SALU_CYCLE_1)
	s_mov_b32 s0, exec_lo
	s_waitcnt lgkmcnt(0)
	s_barrier
	buffer_gl0_inv
	v_cmpx_gt_u32_e32 6, v0
	s_cbranch_execz .LBB201_4
; %bb.3:
	v_and_b32_e32 v28, 7, v22
	s_delay_alu instid0(VALU_DEP_1) | instskip(SKIP_4) | instid1(VALU_DEP_1)
	v_cmp_eq_u32_e32 vcc_lo, 0, v28
	v_lshlrev_b32_e32 v25, 2, v0
	ds_load_b32 v26, v25
	s_waitcnt lgkmcnt(0)
	v_mov_b32_dpp v27, v26 row_shr:1 row_mask:0xf bank_mask:0xf
	v_add_f32_e32 v27, v26, v27
	s_delay_alu instid0(VALU_DEP_1) | instskip(SKIP_1) | instid1(VALU_DEP_2)
	v_cndmask_b32_e32 v26, v27, v26, vcc_lo
	v_cmp_lt_u32_e32 vcc_lo, 1, v28
	v_mov_b32_dpp v27, v26 row_shr:2 row_mask:0xf bank_mask:0xf
	s_delay_alu instid0(VALU_DEP_1) | instskip(NEXT) | instid1(VALU_DEP_1)
	v_add_f32_e32 v27, v26, v27
	v_cndmask_b32_e32 v26, v26, v27, vcc_lo
	v_cmp_lt_u32_e32 vcc_lo, 3, v28
	s_delay_alu instid0(VALU_DEP_2) | instskip(NEXT) | instid1(VALU_DEP_1)
	v_mov_b32_dpp v27, v26 row_shr:4 row_mask:0xf bank_mask:0xf
	v_add_f32_e32 v27, v26, v27
	s_delay_alu instid0(VALU_DEP_1)
	v_cndmask_b32_e32 v26, v26, v27, vcc_lo
	ds_store_b32 v25, v26
.LBB201_4:
	s_or_b32 exec_lo, exec_lo, s0
	s_delay_alu instid0(SALU_CYCLE_1)
	s_mov_b32 s0, exec_lo
	s_waitcnt lgkmcnt(0)
	s_barrier
	buffer_gl0_inv
                                        ; implicit-def: $vgpr25
	v_cmpx_lt_u32_e32 31, v0
	s_cbranch_execz .LBB201_6
; %bb.5:
	v_lshl_add_u32 v24, v24, 2, -4
	ds_load_b32 v25, v24
	s_waitcnt lgkmcnt(0)
	v_add_f32_e32 v23, v23, v25
.LBB201_6:
	s_or_b32 exec_lo, exec_lo, s0
	v_add_nc_u32_e32 v24, -1, v22
	s_mov_b32 s5, 0
	s_delay_alu instid0(VALU_DEP_1) | instskip(SKIP_2) | instid1(VALU_DEP_2)
	v_cmp_gt_i32_e32 vcc_lo, 0, v24
	v_cndmask_b32_e32 v24, v24, v22, vcc_lo
	v_cmp_eq_u32_e32 vcc_lo, 0, v22
	v_lshlrev_b32_e32 v24, 2, v24
	ds_bpermute_b32 v23, v24, v23
	s_waitcnt lgkmcnt(0)
	v_cndmask_b32_e32 v22, v23, v25, vcc_lo
	v_cmp_eq_u32_e32 vcc_lo, 0, v0
	s_delay_alu instid0(VALU_DEP_2) | instskip(NEXT) | instid1(VALU_DEP_1)
	v_add_f32_e32 v22, v15, v22
	v_cndmask_b32_e32 v0, v22, v15, vcc_lo
	s_delay_alu instid0(VALU_DEP_1) | instskip(NEXT) | instid1(VALU_DEP_1)
	v_add_f32_e32 v15, v16, v0
	v_add_f32_e32 v16, v17, v15
	s_delay_alu instid0(VALU_DEP_1) | instskip(NEXT) | instid1(VALU_DEP_1)
	v_add_f32_e32 v17, v18, v16
	v_add_f32_e32 v18, v19, v17
	;; [unrolled: 3-line block ×3, first 2 shown]
	s_clause 0x6
	global_store_b32 v[1:2], v0, off
	global_store_b32 v[3:4], v15, off
	;; [unrolled: 1-line block ×7, first 2 shown]
	s_and_saveexec_b32 s0, vcc_lo
	s_cbranch_execz .LBB201_8
; %bb.7:
	v_mov_b32_e32 v0, 0
	s_lshl_b64 s[0:1], s[4:5], 2
	s_delay_alu instid0(SALU_CYCLE_1)
	s_add_u32 s0, s2, s0
	s_addc_u32 s1, s3, s1
	ds_load_b32 v1, v0 offset:20
	s_waitcnt lgkmcnt(0)
	global_store_b32 v0, v1, s[0:1]
.LBB201_8:
	s_nop 0
	s_sendmsg sendmsg(MSG_DEALLOC_VGPRS)
	s_endpgm
	.section	.rodata,"a",@progbits
	.p2align	6, 0x0
	.amdhsa_kernel _Z34inclusive_scan_reduce_array_kernelILj162ELj7ELN6hipcub18BlockScanAlgorithmE0EfEvPT2_S3_
		.amdhsa_group_segment_fixed_size 24
		.amdhsa_private_segment_fixed_size 0
		.amdhsa_kernarg_size 16
		.amdhsa_user_sgpr_count 15
		.amdhsa_user_sgpr_dispatch_ptr 0
		.amdhsa_user_sgpr_queue_ptr 0
		.amdhsa_user_sgpr_kernarg_segment_ptr 1
		.amdhsa_user_sgpr_dispatch_id 0
		.amdhsa_user_sgpr_private_segment_size 0
		.amdhsa_wavefront_size32 1
		.amdhsa_uses_dynamic_stack 0
		.amdhsa_enable_private_segment 0
		.amdhsa_system_sgpr_workgroup_id_x 1
		.amdhsa_system_sgpr_workgroup_id_y 0
		.amdhsa_system_sgpr_workgroup_id_z 0
		.amdhsa_system_sgpr_workgroup_info 0
		.amdhsa_system_vgpr_workitem_id 0
		.amdhsa_next_free_vgpr 29
		.amdhsa_next_free_sgpr 16
		.amdhsa_reserve_vcc 1
		.amdhsa_float_round_mode_32 0
		.amdhsa_float_round_mode_16_64 0
		.amdhsa_float_denorm_mode_32 3
		.amdhsa_float_denorm_mode_16_64 3
		.amdhsa_dx10_clamp 1
		.amdhsa_ieee_mode 1
		.amdhsa_fp16_overflow 0
		.amdhsa_workgroup_processor_mode 1
		.amdhsa_memory_ordered 1
		.amdhsa_forward_progress 0
		.amdhsa_shared_vgpr_count 0
		.amdhsa_exception_fp_ieee_invalid_op 0
		.amdhsa_exception_fp_denorm_src 0
		.amdhsa_exception_fp_ieee_div_zero 0
		.amdhsa_exception_fp_ieee_overflow 0
		.amdhsa_exception_fp_ieee_underflow 0
		.amdhsa_exception_fp_ieee_inexact 0
		.amdhsa_exception_int_div_zero 0
	.end_amdhsa_kernel
	.section	.text._Z34inclusive_scan_reduce_array_kernelILj162ELj7ELN6hipcub18BlockScanAlgorithmE0EfEvPT2_S3_,"axG",@progbits,_Z34inclusive_scan_reduce_array_kernelILj162ELj7ELN6hipcub18BlockScanAlgorithmE0EfEvPT2_S3_,comdat
.Lfunc_end201:
	.size	_Z34inclusive_scan_reduce_array_kernelILj162ELj7ELN6hipcub18BlockScanAlgorithmE0EfEvPT2_S3_, .Lfunc_end201-_Z34inclusive_scan_reduce_array_kernelILj162ELj7ELN6hipcub18BlockScanAlgorithmE0EfEvPT2_S3_
                                        ; -- End function
	.section	.AMDGPU.csdata,"",@progbits
; Kernel info:
; codeLenInByte = 996
; NumSgprs: 18
; NumVgprs: 29
; ScratchSize: 0
; MemoryBound: 0
; FloatMode: 240
; IeeeMode: 1
; LDSByteSize: 24 bytes/workgroup (compile time only)
; SGPRBlocks: 2
; VGPRBlocks: 3
; NumSGPRsForWavesPerEU: 18
; NumVGPRsForWavesPerEU: 29
; Occupancy: 15
; WaveLimiterHint : 0
; COMPUTE_PGM_RSRC2:SCRATCH_EN: 0
; COMPUTE_PGM_RSRC2:USER_SGPR: 15
; COMPUTE_PGM_RSRC2:TRAP_HANDLER: 0
; COMPUTE_PGM_RSRC2:TGID_X_EN: 1
; COMPUTE_PGM_RSRC2:TGID_Y_EN: 0
; COMPUTE_PGM_RSRC2:TGID_Z_EN: 0
; COMPUTE_PGM_RSRC2:TIDIG_COMP_CNT: 0
	.section	.text._Z34inclusive_scan_reduce_array_kernelILj65ELj5ELN6hipcub18BlockScanAlgorithmE0EfEvPT2_S3_,"axG",@progbits,_Z34inclusive_scan_reduce_array_kernelILj65ELj5ELN6hipcub18BlockScanAlgorithmE0EfEvPT2_S3_,comdat
	.protected	_Z34inclusive_scan_reduce_array_kernelILj65ELj5ELN6hipcub18BlockScanAlgorithmE0EfEvPT2_S3_ ; -- Begin function _Z34inclusive_scan_reduce_array_kernelILj65ELj5ELN6hipcub18BlockScanAlgorithmE0EfEvPT2_S3_
	.globl	_Z34inclusive_scan_reduce_array_kernelILj65ELj5ELN6hipcub18BlockScanAlgorithmE0EfEvPT2_S3_
	.p2align	8
	.type	_Z34inclusive_scan_reduce_array_kernelILj65ELj5ELN6hipcub18BlockScanAlgorithmE0EfEvPT2_S3_,@function
_Z34inclusive_scan_reduce_array_kernelILj65ELj5ELN6hipcub18BlockScanAlgorithmE0EfEvPT2_S3_: ; @_Z34inclusive_scan_reduce_array_kernelILj65ELj5ELN6hipcub18BlockScanAlgorithmE0EfEvPT2_S3_
; %bb.0:
	s_mov_b32 s4, s15
	s_load_b128 s[0:3], s[0:1], 0x0
	v_mad_u64_u32 v[1:2], null, 0x41, s4, v[0:1]
	s_delay_alu instid0(VALU_DEP_1) | instskip(NEXT) | instid1(VALU_DEP_1)
	v_lshl_add_u32 v1, v1, 2, v1
	v_dual_mov_b32 v2, 0 :: v_dual_add_nc_u32 v3, 1, v1
	s_delay_alu instid0(VALU_DEP_1) | instskip(SKIP_3) | instid1(VALU_DEP_4)
	v_dual_mov_b32 v4, v2 :: v_dual_add_nc_u32 v5, 2, v1
	v_lshlrev_b64 v[9:10], 2, v[1:2]
	v_dual_mov_b32 v6, v2 :: v_dual_add_nc_u32 v7, 3, v1
	v_dual_mov_b32 v8, v2 :: v_dual_add_nc_u32 v1, 4, v1
	v_lshlrev_b64 v[3:4], 2, v[3:4]
	s_delay_alu instid0(VALU_DEP_3) | instskip(NEXT) | instid1(VALU_DEP_3)
	v_lshlrev_b64 v[5:6], 2, v[5:6]
	v_lshlrev_b64 v[7:8], 2, v[7:8]
	s_delay_alu instid0(VALU_DEP_4)
	v_lshlrev_b64 v[14:15], 2, v[1:2]
	s_waitcnt lgkmcnt(0)
	v_add_co_u32 v1, vcc_lo, s0, v9
	v_add_co_ci_u32_e32 v2, vcc_lo, s1, v10, vcc_lo
	v_add_co_u32 v3, vcc_lo, s0, v3
	v_add_co_ci_u32_e32 v4, vcc_lo, s1, v4, vcc_lo
	v_add_co_u32 v5, vcc_lo, s0, v5
	v_add_co_ci_u32_e32 v6, vcc_lo, s1, v6, vcc_lo
	s_clause 0x1
	global_load_b32 v11, v[1:2], off
	global_load_b32 v12, v[3:4], off
	v_add_co_u32 v7, vcc_lo, s0, v7
	v_add_co_ci_u32_e32 v8, vcc_lo, s1, v8, vcc_lo
	global_load_b32 v13, v[5:6], off
	v_add_co_u32 v9, vcc_lo, s0, v14
	v_add_co_ci_u32_e32 v10, vcc_lo, s1, v15, vcc_lo
	s_clause 0x1
	global_load_b32 v14, v[7:8], off
	global_load_b32 v15, v[9:10], off
	s_mov_b32 s0, exec_lo
	s_waitcnt vmcnt(3)
	v_add_f32_e32 v16, v11, v12
	s_waitcnt vmcnt(2)
	s_delay_alu instid0(VALU_DEP_1) | instskip(SKIP_1) | instid1(VALU_DEP_1)
	v_add_f32_e32 v16, v13, v16
	s_waitcnt vmcnt(1)
	v_add_f32_e32 v16, v14, v16
	s_waitcnt vmcnt(0)
	s_delay_alu instid0(VALU_DEP_1) | instskip(SKIP_1) | instid1(VALU_DEP_2)
	v_add_f32_e32 v17, v15, v16
	v_mbcnt_lo_u32_b32 v16, -1, 0
	v_mov_b32_dpp v18, v17 row_shr:1 row_mask:0xf bank_mask:0xf
	s_delay_alu instid0(VALU_DEP_2) | instskip(SKIP_1) | instid1(VALU_DEP_3)
	v_and_b32_e32 v19, 15, v16
	v_and_b32_e32 v20, 16, v16
	v_add_f32_e32 v18, v17, v18
	s_delay_alu instid0(VALU_DEP_3) | instskip(NEXT) | instid1(VALU_DEP_2)
	v_cmp_eq_u32_e32 vcc_lo, 0, v19
	v_cndmask_b32_e32 v17, v18, v17, vcc_lo
	v_cmp_lt_u32_e32 vcc_lo, 1, v19
	s_delay_alu instid0(VALU_DEP_2) | instskip(NEXT) | instid1(VALU_DEP_1)
	v_mov_b32_dpp v18, v17 row_shr:2 row_mask:0xf bank_mask:0xf
	v_add_f32_e32 v18, v17, v18
	s_delay_alu instid0(VALU_DEP_1) | instskip(SKIP_1) | instid1(VALU_DEP_2)
	v_cndmask_b32_e32 v17, v17, v18, vcc_lo
	v_cmp_lt_u32_e32 vcc_lo, 3, v19
	v_mov_b32_dpp v18, v17 row_shr:4 row_mask:0xf bank_mask:0xf
	s_delay_alu instid0(VALU_DEP_1) | instskip(NEXT) | instid1(VALU_DEP_1)
	v_add_f32_e32 v18, v17, v18
	v_cndmask_b32_e32 v17, v17, v18, vcc_lo
	v_cmp_lt_u32_e32 vcc_lo, 7, v19
	v_and_b32_e32 v19, 0x60, v0
	s_delay_alu instid0(VALU_DEP_3) | instskip(NEXT) | instid1(VALU_DEP_2)
	v_mov_b32_dpp v18, v17 row_shr:8 row_mask:0xf bank_mask:0xf
	v_min_u32_e32 v19, 33, v19
	s_delay_alu instid0(VALU_DEP_1) | instskip(NEXT) | instid1(VALU_DEP_1)
	v_dual_add_f32 v18, v17, v18 :: v_dual_add_nc_u32 v19, 31, v19
	v_cndmask_b32_e32 v17, v17, v18, vcc_lo
	v_cmp_eq_u32_e32 vcc_lo, 0, v20
	ds_swizzle_b32 v18, v17 offset:swizzle(BROADCAST,32,15)
	s_waitcnt lgkmcnt(0)
	v_add_f32_e32 v21, v17, v18
	v_lshrrev_b32_e32 v18, 5, v0
	s_delay_alu instid0(VALU_DEP_2)
	v_cndmask_b32_e32 v17, v21, v17, vcc_lo
	v_cmpx_eq_u32_e64 v19, v0
	s_cbranch_execz .LBB202_2
; %bb.1:
	s_delay_alu instid0(VALU_DEP_3)
	v_lshlrev_b32_e32 v19, 2, v18
	ds_store_b32 v19, v17
.LBB202_2:
	s_or_b32 exec_lo, exec_lo, s0
	s_delay_alu instid0(SALU_CYCLE_1)
	s_mov_b32 s0, exec_lo
	s_waitcnt lgkmcnt(0)
	s_barrier
	buffer_gl0_inv
	v_cmpx_gt_u32_e32 3, v0
	s_cbranch_execz .LBB202_4
; %bb.3:
	v_lshlrev_b32_e32 v19, 2, v0
	ds_load_b32 v20, v19
	s_waitcnt lgkmcnt(0)
	v_mov_b32_dpp v21, v20 row_shr:1 row_mask:0xf bank_mask:0xf
	s_delay_alu instid0(VALU_DEP_1) | instskip(NEXT) | instid1(VALU_DEP_1)
	v_dual_add_f32 v21, v20, v21 :: v_dual_and_b32 v22, 3, v16
	v_cmp_eq_u32_e32 vcc_lo, 0, v22
	s_delay_alu instid0(VALU_DEP_2) | instskip(SKIP_1) | instid1(VALU_DEP_2)
	v_cndmask_b32_e32 v20, v21, v20, vcc_lo
	v_cmp_lt_u32_e32 vcc_lo, 1, v22
	v_mov_b32_dpp v21, v20 row_shr:2 row_mask:0xf bank_mask:0xf
	s_delay_alu instid0(VALU_DEP_1) | instskip(NEXT) | instid1(VALU_DEP_1)
	v_add_f32_e32 v21, v20, v21
	v_cndmask_b32_e32 v20, v20, v21, vcc_lo
	ds_store_b32 v19, v20
.LBB202_4:
	s_or_b32 exec_lo, exec_lo, s0
	s_delay_alu instid0(SALU_CYCLE_1)
	s_mov_b32 s0, exec_lo
	s_waitcnt lgkmcnt(0)
	s_barrier
	buffer_gl0_inv
                                        ; implicit-def: $vgpr19
	v_cmpx_lt_u32_e32 31, v0
	s_cbranch_execz .LBB202_6
; %bb.5:
	v_lshl_add_u32 v18, v18, 2, -4
	ds_load_b32 v19, v18
	s_waitcnt lgkmcnt(0)
	v_add_f32_e32 v17, v17, v19
.LBB202_6:
	s_or_b32 exec_lo, exec_lo, s0
	v_add_nc_u32_e32 v18, -1, v16
	s_mov_b32 s5, 0
	s_delay_alu instid0(VALU_DEP_1) | instskip(SKIP_2) | instid1(VALU_DEP_2)
	v_cmp_gt_i32_e32 vcc_lo, 0, v18
	v_cndmask_b32_e32 v18, v18, v16, vcc_lo
	v_cmp_eq_u32_e32 vcc_lo, 0, v16
	v_lshlrev_b32_e32 v18, 2, v18
	ds_bpermute_b32 v17, v18, v17
	s_waitcnt lgkmcnt(0)
	v_cndmask_b32_e32 v16, v17, v19, vcc_lo
	v_cmp_eq_u32_e32 vcc_lo, 0, v0
	s_delay_alu instid0(VALU_DEP_2) | instskip(NEXT) | instid1(VALU_DEP_1)
	v_add_f32_e32 v16, v11, v16
	v_cndmask_b32_e32 v0, v16, v11, vcc_lo
	s_delay_alu instid0(VALU_DEP_1) | instskip(NEXT) | instid1(VALU_DEP_1)
	v_add_f32_e32 v11, v12, v0
	v_add_f32_e32 v12, v13, v11
	s_delay_alu instid0(VALU_DEP_1) | instskip(NEXT) | instid1(VALU_DEP_1)
	v_add_f32_e32 v13, v14, v12
	v_add_f32_e32 v14, v15, v13
	s_clause 0x4
	global_store_b32 v[1:2], v0, off
	global_store_b32 v[3:4], v11, off
	;; [unrolled: 1-line block ×5, first 2 shown]
	s_and_saveexec_b32 s0, vcc_lo
	s_cbranch_execz .LBB202_8
; %bb.7:
	v_mov_b32_e32 v0, 0
	s_lshl_b64 s[0:1], s[4:5], 2
	s_delay_alu instid0(SALU_CYCLE_1)
	s_add_u32 s0, s2, s0
	s_addc_u32 s1, s3, s1
	ds_load_b32 v1, v0 offset:8
	s_waitcnt lgkmcnt(0)
	global_store_b32 v0, v1, s[0:1]
.LBB202_8:
	s_nop 0
	s_sendmsg sendmsg(MSG_DEALLOC_VGPRS)
	s_endpgm
	.section	.rodata,"a",@progbits
	.p2align	6, 0x0
	.amdhsa_kernel _Z34inclusive_scan_reduce_array_kernelILj65ELj5ELN6hipcub18BlockScanAlgorithmE0EfEvPT2_S3_
		.amdhsa_group_segment_fixed_size 12
		.amdhsa_private_segment_fixed_size 0
		.amdhsa_kernarg_size 16
		.amdhsa_user_sgpr_count 15
		.amdhsa_user_sgpr_dispatch_ptr 0
		.amdhsa_user_sgpr_queue_ptr 0
		.amdhsa_user_sgpr_kernarg_segment_ptr 1
		.amdhsa_user_sgpr_dispatch_id 0
		.amdhsa_user_sgpr_private_segment_size 0
		.amdhsa_wavefront_size32 1
		.amdhsa_uses_dynamic_stack 0
		.amdhsa_enable_private_segment 0
		.amdhsa_system_sgpr_workgroup_id_x 1
		.amdhsa_system_sgpr_workgroup_id_y 0
		.amdhsa_system_sgpr_workgroup_id_z 0
		.amdhsa_system_sgpr_workgroup_info 0
		.amdhsa_system_vgpr_workitem_id 0
		.amdhsa_next_free_vgpr 23
		.amdhsa_next_free_sgpr 16
		.amdhsa_reserve_vcc 1
		.amdhsa_float_round_mode_32 0
		.amdhsa_float_round_mode_16_64 0
		.amdhsa_float_denorm_mode_32 3
		.amdhsa_float_denorm_mode_16_64 3
		.amdhsa_dx10_clamp 1
		.amdhsa_ieee_mode 1
		.amdhsa_fp16_overflow 0
		.amdhsa_workgroup_processor_mode 1
		.amdhsa_memory_ordered 1
		.amdhsa_forward_progress 0
		.amdhsa_shared_vgpr_count 0
		.amdhsa_exception_fp_ieee_invalid_op 0
		.amdhsa_exception_fp_denorm_src 0
		.amdhsa_exception_fp_ieee_div_zero 0
		.amdhsa_exception_fp_ieee_overflow 0
		.amdhsa_exception_fp_ieee_underflow 0
		.amdhsa_exception_fp_ieee_inexact 0
		.amdhsa_exception_int_div_zero 0
	.end_amdhsa_kernel
	.section	.text._Z34inclusive_scan_reduce_array_kernelILj65ELj5ELN6hipcub18BlockScanAlgorithmE0EfEvPT2_S3_,"axG",@progbits,_Z34inclusive_scan_reduce_array_kernelILj65ELj5ELN6hipcub18BlockScanAlgorithmE0EfEvPT2_S3_,comdat
.Lfunc_end202:
	.size	_Z34inclusive_scan_reduce_array_kernelILj65ELj5ELN6hipcub18BlockScanAlgorithmE0EfEvPT2_S3_, .Lfunc_end202-_Z34inclusive_scan_reduce_array_kernelILj65ELj5ELN6hipcub18BlockScanAlgorithmE0EfEvPT2_S3_
                                        ; -- End function
	.section	.AMDGPU.csdata,"",@progbits
; Kernel info:
; codeLenInByte = 844
; NumSgprs: 18
; NumVgprs: 23
; ScratchSize: 0
; MemoryBound: 0
; FloatMode: 240
; IeeeMode: 1
; LDSByteSize: 12 bytes/workgroup (compile time only)
; SGPRBlocks: 2
; VGPRBlocks: 2
; NumSGPRsForWavesPerEU: 18
; NumVGPRsForWavesPerEU: 23
; Occupancy: 16
; WaveLimiterHint : 0
; COMPUTE_PGM_RSRC2:SCRATCH_EN: 0
; COMPUTE_PGM_RSRC2:USER_SGPR: 15
; COMPUTE_PGM_RSRC2:TRAP_HANDLER: 0
; COMPUTE_PGM_RSRC2:TGID_X_EN: 1
; COMPUTE_PGM_RSRC2:TGID_Y_EN: 0
; COMPUTE_PGM_RSRC2:TGID_Z_EN: 0
; COMPUTE_PGM_RSRC2:TIDIG_COMP_CNT: 0
	.section	.text._Z34inclusive_scan_reduce_array_kernelILj37ELj2ELN6hipcub18BlockScanAlgorithmE0EfEvPT2_S3_,"axG",@progbits,_Z34inclusive_scan_reduce_array_kernelILj37ELj2ELN6hipcub18BlockScanAlgorithmE0EfEvPT2_S3_,comdat
	.protected	_Z34inclusive_scan_reduce_array_kernelILj37ELj2ELN6hipcub18BlockScanAlgorithmE0EfEvPT2_S3_ ; -- Begin function _Z34inclusive_scan_reduce_array_kernelILj37ELj2ELN6hipcub18BlockScanAlgorithmE0EfEvPT2_S3_
	.globl	_Z34inclusive_scan_reduce_array_kernelILj37ELj2ELN6hipcub18BlockScanAlgorithmE0EfEvPT2_S3_
	.p2align	8
	.type	_Z34inclusive_scan_reduce_array_kernelILj37ELj2ELN6hipcub18BlockScanAlgorithmE0EfEvPT2_S3_,@function
_Z34inclusive_scan_reduce_array_kernelILj37ELj2ELN6hipcub18BlockScanAlgorithmE0EfEvPT2_S3_: ; @_Z34inclusive_scan_reduce_array_kernelILj37ELj2ELN6hipcub18BlockScanAlgorithmE0EfEvPT2_S3_
; %bb.0:
	s_load_b128 s[0:3], s[0:1], 0x0
	s_mul_i32 s5, s15, 37
	v_mov_b32_e32 v2, 0
	v_add_lshl_u32 v1, s5, v0, 1
	v_mbcnt_lo_u32_b32 v5, -1, 0
	s_mov_b32 s4, s15
	s_delay_alu instid0(VALU_DEP_2) | instskip(NEXT) | instid1(VALU_DEP_2)
	v_lshlrev_b64 v[1:2], 2, v[1:2]
	v_and_b32_e32 v8, 15, v5
	v_and_b32_e32 v9, 16, v5
	s_waitcnt lgkmcnt(0)
	s_delay_alu instid0(VALU_DEP_3) | instskip(NEXT) | instid1(VALU_DEP_4)
	v_add_co_u32 v1, vcc_lo, s0, v1
	v_add_co_ci_u32_e32 v2, vcc_lo, s1, v2, vcc_lo
	v_cmp_eq_u32_e32 vcc_lo, 0, v8
	s_mov_b32 s0, exec_lo
	global_load_b64 v[3:4], v[1:2], off
	s_waitcnt vmcnt(0)
	v_add_f32_e32 v6, v3, v4
	s_delay_alu instid0(VALU_DEP_1) | instskip(NEXT) | instid1(VALU_DEP_1)
	v_mov_b32_dpp v7, v6 row_shr:1 row_mask:0xf bank_mask:0xf
	v_add_f32_e32 v7, v6, v7
	s_delay_alu instid0(VALU_DEP_1) | instskip(NEXT) | instid1(VALU_DEP_1)
	v_cndmask_b32_e32 v6, v7, v6, vcc_lo
	v_mov_b32_dpp v7, v6 row_shr:2 row_mask:0xf bank_mask:0xf
	s_delay_alu instid0(VALU_DEP_1) | instskip(SKIP_1) | instid1(VALU_DEP_2)
	v_add_f32_e32 v7, v6, v7
	v_cmp_lt_u32_e32 vcc_lo, 1, v8
	v_cndmask_b32_e32 v6, v6, v7, vcc_lo
	v_cmp_lt_u32_e32 vcc_lo, 3, v8
	s_delay_alu instid0(VALU_DEP_2) | instskip(NEXT) | instid1(VALU_DEP_1)
	v_mov_b32_dpp v7, v6 row_shr:4 row_mask:0xf bank_mask:0xf
	v_add_f32_e32 v7, v6, v7
	s_delay_alu instid0(VALU_DEP_1) | instskip(SKIP_2) | instid1(VALU_DEP_3)
	v_cndmask_b32_e32 v6, v6, v7, vcc_lo
	v_cmp_lt_u32_e32 vcc_lo, 7, v8
	v_and_b32_e32 v8, 32, v0
	v_mov_b32_dpp v7, v6 row_shr:8 row_mask:0xf bank_mask:0xf
	s_delay_alu instid0(VALU_DEP_2) | instskip(NEXT) | instid1(VALU_DEP_1)
	v_min_u32_e32 v8, 5, v8
	v_dual_add_f32 v7, v6, v7 :: v_dual_add_nc_u32 v8, 31, v8
	s_delay_alu instid0(VALU_DEP_1)
	v_cndmask_b32_e32 v6, v6, v7, vcc_lo
	v_cmp_eq_u32_e32 vcc_lo, 0, v9
	ds_swizzle_b32 v7, v6 offset:swizzle(BROADCAST,32,15)
	s_waitcnt lgkmcnt(0)
	v_add_f32_e32 v10, v6, v7
	v_lshrrev_b32_e32 v7, 5, v0
	s_delay_alu instid0(VALU_DEP_2)
	v_cndmask_b32_e32 v6, v10, v6, vcc_lo
	v_cmpx_eq_u32_e64 v8, v0
	s_cbranch_execz .LBB203_2
; %bb.1:
	s_delay_alu instid0(VALU_DEP_3)
	v_lshlrev_b32_e32 v8, 2, v7
	ds_store_b32 v8, v6
.LBB203_2:
	s_or_b32 exec_lo, exec_lo, s0
	s_delay_alu instid0(SALU_CYCLE_1)
	s_mov_b32 s0, exec_lo
	s_waitcnt lgkmcnt(0)
	s_barrier
	buffer_gl0_inv
	v_cmpx_gt_u32_e32 2, v0
	s_cbranch_execz .LBB203_4
; %bb.3:
	v_and_b32_e32 v11, 1, v5
	s_delay_alu instid0(VALU_DEP_1) | instskip(SKIP_4) | instid1(VALU_DEP_1)
	v_cmp_eq_u32_e32 vcc_lo, 0, v11
	v_lshlrev_b32_e32 v8, 2, v0
	ds_load_b32 v9, v8
	s_waitcnt lgkmcnt(0)
	v_mov_b32_dpp v10, v9 row_shr:1 row_mask:0xf bank_mask:0xf
	v_add_f32_e32 v10, v9, v10
	s_delay_alu instid0(VALU_DEP_1)
	v_cndmask_b32_e32 v9, v10, v9, vcc_lo
	ds_store_b32 v8, v9
.LBB203_4:
	s_or_b32 exec_lo, exec_lo, s0
	s_delay_alu instid0(SALU_CYCLE_1)
	s_mov_b32 s0, exec_lo
	s_waitcnt lgkmcnt(0)
	s_barrier
	buffer_gl0_inv
                                        ; implicit-def: $vgpr8
	v_cmpx_lt_u32_e32 31, v0
	s_cbranch_execz .LBB203_6
; %bb.5:
	v_lshl_add_u32 v7, v7, 2, -4
	ds_load_b32 v8, v7
	s_waitcnt lgkmcnt(0)
	v_add_f32_e32 v6, v6, v8
.LBB203_6:
	s_or_b32 exec_lo, exec_lo, s0
	v_add_nc_u32_e32 v7, -1, v5
	s_mov_b32 s5, 0
	s_delay_alu instid0(VALU_DEP_1) | instskip(SKIP_2) | instid1(VALU_DEP_2)
	v_cmp_gt_i32_e32 vcc_lo, 0, v7
	v_cndmask_b32_e32 v7, v7, v5, vcc_lo
	v_cmp_eq_u32_e32 vcc_lo, 0, v5
	v_lshlrev_b32_e32 v7, 2, v7
	ds_bpermute_b32 v6, v7, v6
	s_waitcnt lgkmcnt(0)
	v_cndmask_b32_e32 v5, v6, v8, vcc_lo
	v_cmp_eq_u32_e32 vcc_lo, 0, v0
	s_delay_alu instid0(VALU_DEP_2) | instskip(NEXT) | instid1(VALU_DEP_1)
	v_add_f32_e32 v5, v3, v5
	v_cndmask_b32_e32 v3, v5, v3, vcc_lo
	s_delay_alu instid0(VALU_DEP_1)
	v_add_f32_e32 v4, v4, v3
	global_store_b64 v[1:2], v[3:4], off
	s_and_saveexec_b32 s0, vcc_lo
	s_cbranch_execz .LBB203_8
; %bb.7:
	v_mov_b32_e32 v0, 0
	s_lshl_b64 s[0:1], s[4:5], 2
	s_delay_alu instid0(SALU_CYCLE_1)
	s_add_u32 s0, s2, s0
	s_addc_u32 s1, s3, s1
	ds_load_b32 v1, v0 offset:4
	s_waitcnt lgkmcnt(0)
	global_store_b32 v0, v1, s[0:1]
.LBB203_8:
	s_nop 0
	s_sendmsg sendmsg(MSG_DEALLOC_VGPRS)
	s_endpgm
	.section	.rodata,"a",@progbits
	.p2align	6, 0x0
	.amdhsa_kernel _Z34inclusive_scan_reduce_array_kernelILj37ELj2ELN6hipcub18BlockScanAlgorithmE0EfEvPT2_S3_
		.amdhsa_group_segment_fixed_size 8
		.amdhsa_private_segment_fixed_size 0
		.amdhsa_kernarg_size 16
		.amdhsa_user_sgpr_count 15
		.amdhsa_user_sgpr_dispatch_ptr 0
		.amdhsa_user_sgpr_queue_ptr 0
		.amdhsa_user_sgpr_kernarg_segment_ptr 1
		.amdhsa_user_sgpr_dispatch_id 0
		.amdhsa_user_sgpr_private_segment_size 0
		.amdhsa_wavefront_size32 1
		.amdhsa_uses_dynamic_stack 0
		.amdhsa_enable_private_segment 0
		.amdhsa_system_sgpr_workgroup_id_x 1
		.amdhsa_system_sgpr_workgroup_id_y 0
		.amdhsa_system_sgpr_workgroup_id_z 0
		.amdhsa_system_sgpr_workgroup_info 0
		.amdhsa_system_vgpr_workitem_id 0
		.amdhsa_next_free_vgpr 12
		.amdhsa_next_free_sgpr 16
		.amdhsa_reserve_vcc 1
		.amdhsa_float_round_mode_32 0
		.amdhsa_float_round_mode_16_64 0
		.amdhsa_float_denorm_mode_32 3
		.amdhsa_float_denorm_mode_16_64 3
		.amdhsa_dx10_clamp 1
		.amdhsa_ieee_mode 1
		.amdhsa_fp16_overflow 0
		.amdhsa_workgroup_processor_mode 1
		.amdhsa_memory_ordered 1
		.amdhsa_forward_progress 0
		.amdhsa_shared_vgpr_count 0
		.amdhsa_exception_fp_ieee_invalid_op 0
		.amdhsa_exception_fp_denorm_src 0
		.amdhsa_exception_fp_ieee_div_zero 0
		.amdhsa_exception_fp_ieee_overflow 0
		.amdhsa_exception_fp_ieee_underflow 0
		.amdhsa_exception_fp_ieee_inexact 0
		.amdhsa_exception_int_div_zero 0
	.end_amdhsa_kernel
	.section	.text._Z34inclusive_scan_reduce_array_kernelILj37ELj2ELN6hipcub18BlockScanAlgorithmE0EfEvPT2_S3_,"axG",@progbits,_Z34inclusive_scan_reduce_array_kernelILj37ELj2ELN6hipcub18BlockScanAlgorithmE0EfEvPT2_S3_,comdat
.Lfunc_end203:
	.size	_Z34inclusive_scan_reduce_array_kernelILj37ELj2ELN6hipcub18BlockScanAlgorithmE0EfEvPT2_S3_, .Lfunc_end203-_Z34inclusive_scan_reduce_array_kernelILj37ELj2ELN6hipcub18BlockScanAlgorithmE0EfEvPT2_S3_
                                        ; -- End function
	.section	.AMDGPU.csdata,"",@progbits
; Kernel info:
; codeLenInByte = 568
; NumSgprs: 18
; NumVgprs: 12
; ScratchSize: 0
; MemoryBound: 0
; FloatMode: 240
; IeeeMode: 1
; LDSByteSize: 8 bytes/workgroup (compile time only)
; SGPRBlocks: 2
; VGPRBlocks: 1
; NumSGPRsForWavesPerEU: 18
; NumVGPRsForWavesPerEU: 12
; Occupancy: 16
; WaveLimiterHint : 0
; COMPUTE_PGM_RSRC2:SCRATCH_EN: 0
; COMPUTE_PGM_RSRC2:USER_SGPR: 15
; COMPUTE_PGM_RSRC2:TRAP_HANDLER: 0
; COMPUTE_PGM_RSRC2:TGID_X_EN: 1
; COMPUTE_PGM_RSRC2:TGID_Y_EN: 0
; COMPUTE_PGM_RSRC2:TGID_Z_EN: 0
; COMPUTE_PGM_RSRC2:TIDIG_COMP_CNT: 0
	.section	.text._Z34inclusive_scan_reduce_array_kernelILj512ELj4ELN6hipcub18BlockScanAlgorithmE0EiEvPT2_S3_,"axG",@progbits,_Z34inclusive_scan_reduce_array_kernelILj512ELj4ELN6hipcub18BlockScanAlgorithmE0EiEvPT2_S3_,comdat
	.protected	_Z34inclusive_scan_reduce_array_kernelILj512ELj4ELN6hipcub18BlockScanAlgorithmE0EiEvPT2_S3_ ; -- Begin function _Z34inclusive_scan_reduce_array_kernelILj512ELj4ELN6hipcub18BlockScanAlgorithmE0EiEvPT2_S3_
	.globl	_Z34inclusive_scan_reduce_array_kernelILj512ELj4ELN6hipcub18BlockScanAlgorithmE0EiEvPT2_S3_
	.p2align	8
	.type	_Z34inclusive_scan_reduce_array_kernelILj512ELj4ELN6hipcub18BlockScanAlgorithmE0EiEvPT2_S3_,@function
_Z34inclusive_scan_reduce_array_kernelILj512ELj4ELN6hipcub18BlockScanAlgorithmE0EiEvPT2_S3_: ; @_Z34inclusive_scan_reduce_array_kernelILj512ELj4ELN6hipcub18BlockScanAlgorithmE0EiEvPT2_S3_
; %bb.0:
	s_load_b128 s[4:7], s[0:1], 0x0
	v_lshlrev_b32_e32 v8, 2, v0
	s_mov_b32 s8, s15
	v_mov_b32_e32 v2, 0
	v_mbcnt_lo_u32_b32 v7, -1, 0
	v_or_b32_e32 v12, 31, v0
	v_lshl_or_b32 v1, s8, 11, v8
	s_delay_alu instid0(VALU_DEP_3) | instskip(NEXT) | instid1(VALU_DEP_2)
	v_and_b32_e32 v10, 15, v7
	v_lshlrev_b64 v[1:2], 2, v[1:2]
	s_delay_alu instid0(VALU_DEP_2) | instskip(SKIP_3) | instid1(VALU_DEP_4)
	v_cmp_lt_u32_e64 s0, 1, v10
	v_cmp_lt_u32_e64 s1, 3, v10
	;; [unrolled: 1-line block ×3, first 2 shown]
	s_waitcnt lgkmcnt(0)
	v_add_co_u32 v5, vcc_lo, s4, v1
	v_add_co_ci_u32_e32 v6, vcc_lo, s5, v2, vcc_lo
	v_cmp_eq_u32_e32 vcc_lo, 0, v10
	s_mov_b32 s4, exec_lo
	global_load_b128 v[1:4], v[5:6], off
	s_waitcnt vmcnt(0)
	v_add_nc_u32_e32 v9, v2, v1
	s_delay_alu instid0(VALU_DEP_1) | instskip(NEXT) | instid1(VALU_DEP_1)
	v_add3_u32 v9, v9, v3, v4
	v_mov_b32_dpp v11, v9 row_shr:1 row_mask:0xf bank_mask:0xf
	s_delay_alu instid0(VALU_DEP_1) | instskip(NEXT) | instid1(VALU_DEP_1)
	v_cndmask_b32_e64 v11, v11, 0, vcc_lo
	v_add_nc_u32_e32 v9, v11, v9
	s_delay_alu instid0(VALU_DEP_1) | instskip(NEXT) | instid1(VALU_DEP_1)
	v_mov_b32_dpp v11, v9 row_shr:2 row_mask:0xf bank_mask:0xf
	v_cndmask_b32_e64 v11, 0, v11, s0
	s_delay_alu instid0(VALU_DEP_1) | instskip(NEXT) | instid1(VALU_DEP_1)
	v_add_nc_u32_e32 v9, v9, v11
	v_mov_b32_dpp v11, v9 row_shr:4 row_mask:0xf bank_mask:0xf
	s_delay_alu instid0(VALU_DEP_1) | instskip(NEXT) | instid1(VALU_DEP_1)
	v_cndmask_b32_e64 v11, 0, v11, s1
	v_add_nc_u32_e32 v9, v9, v11
	s_delay_alu instid0(VALU_DEP_1) | instskip(NEXT) | instid1(VALU_DEP_1)
	v_mov_b32_dpp v11, v9 row_shr:8 row_mask:0xf bank_mask:0xf
	v_cndmask_b32_e64 v10, 0, v11, s2
	v_bfe_i32 v11, v7, 4, 1
	s_delay_alu instid0(VALU_DEP_2) | instskip(SKIP_4) | instid1(VALU_DEP_2)
	v_add_nc_u32_e32 v9, v9, v10
	ds_swizzle_b32 v10, v9 offset:swizzle(BROADCAST,32,15)
	s_waitcnt lgkmcnt(0)
	v_and_b32_e32 v11, v11, v10
	v_lshrrev_b32_e32 v10, 5, v0
	v_add_nc_u32_e32 v9, v9, v11
	v_cmpx_eq_u32_e64 v12, v0
	s_cbranch_execz .LBB204_2
; %bb.1:
	s_delay_alu instid0(VALU_DEP_3)
	v_lshlrev_b32_e32 v11, 2, v10
	ds_store_b32 v11, v9
.LBB204_2:
	s_or_b32 exec_lo, exec_lo, s4
	s_delay_alu instid0(SALU_CYCLE_1)
	s_mov_b32 s4, exec_lo
	s_waitcnt lgkmcnt(0)
	s_barrier
	buffer_gl0_inv
	v_cmpx_gt_u32_e32 16, v0
	s_cbranch_execz .LBB204_4
; %bb.3:
	ds_load_b32 v11, v8
	s_waitcnt lgkmcnt(0)
	v_mov_b32_dpp v12, v11 row_shr:1 row_mask:0xf bank_mask:0xf
	s_delay_alu instid0(VALU_DEP_1) | instskip(NEXT) | instid1(VALU_DEP_1)
	v_cndmask_b32_e64 v12, v12, 0, vcc_lo
	v_add_nc_u32_e32 v11, v12, v11
	s_delay_alu instid0(VALU_DEP_1) | instskip(NEXT) | instid1(VALU_DEP_1)
	v_mov_b32_dpp v12, v11 row_shr:2 row_mask:0xf bank_mask:0xf
	v_cndmask_b32_e64 v12, 0, v12, s0
	s_delay_alu instid0(VALU_DEP_1) | instskip(NEXT) | instid1(VALU_DEP_1)
	v_add_nc_u32_e32 v11, v11, v12
	v_mov_b32_dpp v12, v11 row_shr:4 row_mask:0xf bank_mask:0xf
	s_delay_alu instid0(VALU_DEP_1) | instskip(NEXT) | instid1(VALU_DEP_1)
	v_cndmask_b32_e64 v12, 0, v12, s1
	v_add_nc_u32_e32 v11, v11, v12
	s_delay_alu instid0(VALU_DEP_1) | instskip(NEXT) | instid1(VALU_DEP_1)
	v_mov_b32_dpp v12, v11 row_shr:8 row_mask:0xf bank_mask:0xf
	v_cndmask_b32_e64 v12, 0, v12, s2
	s_delay_alu instid0(VALU_DEP_1)
	v_add_nc_u32_e32 v11, v11, v12
	ds_store_b32 v8, v11
.LBB204_4:
	s_or_b32 exec_lo, exec_lo, s4
	s_delay_alu instid0(SALU_CYCLE_1)
	s_mov_b32 s0, exec_lo
	s_waitcnt lgkmcnt(0)
	s_barrier
	buffer_gl0_inv
                                        ; implicit-def: $vgpr8
	v_cmpx_lt_u32_e32 31, v0
	s_cbranch_execz .LBB204_6
; %bb.5:
	v_lshl_add_u32 v8, v10, 2, -4
	ds_load_b32 v8, v8
	s_waitcnt lgkmcnt(0)
	v_add_nc_u32_e32 v9, v8, v9
.LBB204_6:
	s_or_b32 exec_lo, exec_lo, s0
	v_add_nc_u32_e32 v10, -1, v7
	s_mov_b32 s9, 0
	s_delay_alu instid0(VALU_DEP_1) | instskip(SKIP_2) | instid1(VALU_DEP_2)
	v_cmp_gt_i32_e32 vcc_lo, 0, v10
	v_cndmask_b32_e32 v10, v10, v7, vcc_lo
	v_cmp_eq_u32_e32 vcc_lo, 0, v7
	v_lshlrev_b32_e32 v10, 2, v10
	ds_bpermute_b32 v9, v10, v9
	s_waitcnt lgkmcnt(0)
	v_cndmask_b32_e32 v7, v9, v8, vcc_lo
	v_cmp_eq_u32_e32 vcc_lo, 0, v0
	s_delay_alu instid0(VALU_DEP_2) | instskip(NEXT) | instid1(VALU_DEP_1)
	v_cndmask_b32_e64 v0, v7, 0, vcc_lo
	v_add_nc_u32_e32 v0, v0, v1
	s_delay_alu instid0(VALU_DEP_1) | instskip(NEXT) | instid1(VALU_DEP_1)
	v_add_nc_u32_e32 v1, v0, v2
	v_add_nc_u32_e32 v2, v1, v3
	s_delay_alu instid0(VALU_DEP_1)
	v_add_nc_u32_e32 v3, v2, v4
	global_store_b128 v[5:6], v[0:3], off
	s_and_saveexec_b32 s0, vcc_lo
	s_cbranch_execz .LBB204_8
; %bb.7:
	v_mov_b32_e32 v0, 0
	s_lshl_b64 s[0:1], s[8:9], 2
	s_delay_alu instid0(SALU_CYCLE_1)
	s_add_u32 s0, s6, s0
	s_addc_u32 s1, s7, s1
	ds_load_b32 v1, v0 offset:60
	s_waitcnt lgkmcnt(0)
	global_store_b32 v0, v1, s[0:1]
.LBB204_8:
	s_nop 0
	s_sendmsg sendmsg(MSG_DEALLOC_VGPRS)
	s_endpgm
	.section	.rodata,"a",@progbits
	.p2align	6, 0x0
	.amdhsa_kernel _Z34inclusive_scan_reduce_array_kernelILj512ELj4ELN6hipcub18BlockScanAlgorithmE0EiEvPT2_S3_
		.amdhsa_group_segment_fixed_size 64
		.amdhsa_private_segment_fixed_size 0
		.amdhsa_kernarg_size 16
		.amdhsa_user_sgpr_count 15
		.amdhsa_user_sgpr_dispatch_ptr 0
		.amdhsa_user_sgpr_queue_ptr 0
		.amdhsa_user_sgpr_kernarg_segment_ptr 1
		.amdhsa_user_sgpr_dispatch_id 0
		.amdhsa_user_sgpr_private_segment_size 0
		.amdhsa_wavefront_size32 1
		.amdhsa_uses_dynamic_stack 0
		.amdhsa_enable_private_segment 0
		.amdhsa_system_sgpr_workgroup_id_x 1
		.amdhsa_system_sgpr_workgroup_id_y 0
		.amdhsa_system_sgpr_workgroup_id_z 0
		.amdhsa_system_sgpr_workgroup_info 0
		.amdhsa_system_vgpr_workitem_id 0
		.amdhsa_next_free_vgpr 13
		.amdhsa_next_free_sgpr 16
		.amdhsa_reserve_vcc 1
		.amdhsa_float_round_mode_32 0
		.amdhsa_float_round_mode_16_64 0
		.amdhsa_float_denorm_mode_32 3
		.amdhsa_float_denorm_mode_16_64 3
		.amdhsa_dx10_clamp 1
		.amdhsa_ieee_mode 1
		.amdhsa_fp16_overflow 0
		.amdhsa_workgroup_processor_mode 1
		.amdhsa_memory_ordered 1
		.amdhsa_forward_progress 0
		.amdhsa_shared_vgpr_count 0
		.amdhsa_exception_fp_ieee_invalid_op 0
		.amdhsa_exception_fp_denorm_src 0
		.amdhsa_exception_fp_ieee_div_zero 0
		.amdhsa_exception_fp_ieee_overflow 0
		.amdhsa_exception_fp_ieee_underflow 0
		.amdhsa_exception_fp_ieee_inexact 0
		.amdhsa_exception_int_div_zero 0
	.end_amdhsa_kernel
	.section	.text._Z34inclusive_scan_reduce_array_kernelILj512ELj4ELN6hipcub18BlockScanAlgorithmE0EiEvPT2_S3_,"axG",@progbits,_Z34inclusive_scan_reduce_array_kernelILj512ELj4ELN6hipcub18BlockScanAlgorithmE0EiEvPT2_S3_,comdat
.Lfunc_end204:
	.size	_Z34inclusive_scan_reduce_array_kernelILj512ELj4ELN6hipcub18BlockScanAlgorithmE0EiEvPT2_S3_, .Lfunc_end204-_Z34inclusive_scan_reduce_array_kernelILj512ELj4ELN6hipcub18BlockScanAlgorithmE0EiEvPT2_S3_
                                        ; -- End function
	.section	.AMDGPU.csdata,"",@progbits
; Kernel info:
; codeLenInByte = 676
; NumSgprs: 18
; NumVgprs: 13
; ScratchSize: 0
; MemoryBound: 0
; FloatMode: 240
; IeeeMode: 1
; LDSByteSize: 64 bytes/workgroup (compile time only)
; SGPRBlocks: 2
; VGPRBlocks: 1
; NumSGPRsForWavesPerEU: 18
; NumVGPRsForWavesPerEU: 13
; Occupancy: 16
; WaveLimiterHint : 0
; COMPUTE_PGM_RSRC2:SCRATCH_EN: 0
; COMPUTE_PGM_RSRC2:USER_SGPR: 15
; COMPUTE_PGM_RSRC2:TRAP_HANDLER: 0
; COMPUTE_PGM_RSRC2:TGID_X_EN: 1
; COMPUTE_PGM_RSRC2:TGID_Y_EN: 0
; COMPUTE_PGM_RSRC2:TGID_Z_EN: 0
; COMPUTE_PGM_RSRC2:TIDIG_COMP_CNT: 0
	.section	.text._Z34inclusive_scan_reduce_array_kernelILj256ELj3ELN6hipcub18BlockScanAlgorithmE0EjEvPT2_S3_,"axG",@progbits,_Z34inclusive_scan_reduce_array_kernelILj256ELj3ELN6hipcub18BlockScanAlgorithmE0EjEvPT2_S3_,comdat
	.protected	_Z34inclusive_scan_reduce_array_kernelILj256ELj3ELN6hipcub18BlockScanAlgorithmE0EjEvPT2_S3_ ; -- Begin function _Z34inclusive_scan_reduce_array_kernelILj256ELj3ELN6hipcub18BlockScanAlgorithmE0EjEvPT2_S3_
	.globl	_Z34inclusive_scan_reduce_array_kernelILj256ELj3ELN6hipcub18BlockScanAlgorithmE0EjEvPT2_S3_
	.p2align	8
	.type	_Z34inclusive_scan_reduce_array_kernelILj256ELj3ELN6hipcub18BlockScanAlgorithmE0EjEvPT2_S3_,@function
_Z34inclusive_scan_reduce_array_kernelILj256ELj3ELN6hipcub18BlockScanAlgorithmE0EjEvPT2_S3_: ; @_Z34inclusive_scan_reduce_array_kernelILj256ELj3ELN6hipcub18BlockScanAlgorithmE0EjEvPT2_S3_
; %bb.0:
	s_mov_b32 s4, s15
	s_load_b128 s[0:3], s[0:1], 0x0
	v_lshl_or_b32 v1, s4, 8, v0
	v_mbcnt_lo_u32_b32 v10, -1, 0
	v_or_b32_e32 v14, 31, v0
	s_delay_alu instid0(VALU_DEP_3) | instskip(NEXT) | instid1(VALU_DEP_1)
	v_lshl_add_u32 v1, v1, 1, v1
	v_dual_mov_b32 v2, 0 :: v_dual_add_nc_u32 v3, 1, v1
	s_delay_alu instid0(VALU_DEP_1) | instskip(SKIP_2) | instid1(VALU_DEP_3)
	v_mov_b32_e32 v4, v2
	v_lshlrev_b64 v[5:6], 2, v[1:2]
	v_add_nc_u32_e32 v1, 2, v1
	v_lshlrev_b64 v[3:4], 2, v[3:4]
	s_delay_alu instid0(VALU_DEP_2) | instskip(SKIP_1) | instid1(VALU_DEP_4)
	v_lshlrev_b64 v[7:8], 2, v[1:2]
	s_waitcnt lgkmcnt(0)
	v_add_co_u32 v1, vcc_lo, s0, v5
	v_add_co_ci_u32_e32 v2, vcc_lo, s1, v6, vcc_lo
	s_delay_alu instid0(VALU_DEP_4)
	v_add_co_u32 v3, vcc_lo, s0, v3
	v_add_co_ci_u32_e32 v4, vcc_lo, s1, v4, vcc_lo
	v_add_co_u32 v5, vcc_lo, s0, v7
	v_add_co_ci_u32_e32 v6, vcc_lo, s1, v8, vcc_lo
	s_clause 0x2
	global_load_b32 v7, v[1:2], off
	global_load_b32 v8, v[3:4], off
	;; [unrolled: 1-line block ×3, first 2 shown]
	s_mov_b32 s0, exec_lo
	s_waitcnt vmcnt(0)
	v_add3_u32 v11, v8, v7, v9
	s_delay_alu instid0(VALU_DEP_1) | instskip(SKIP_1) | instid1(VALU_DEP_1)
	v_mov_b32_dpp v13, v11 row_shr:1 row_mask:0xf bank_mask:0xf
	v_and_b32_e32 v12, 15, v10
	v_cmp_ne_u32_e32 vcc_lo, 0, v12
	s_delay_alu instid0(VALU_DEP_3) | instskip(SKIP_1) | instid1(VALU_DEP_2)
	v_cndmask_b32_e32 v13, 0, v13, vcc_lo
	v_cmp_lt_u32_e32 vcc_lo, 1, v12
	v_add_nc_u32_e32 v11, v13, v11
	s_delay_alu instid0(VALU_DEP_1) | instskip(NEXT) | instid1(VALU_DEP_1)
	v_mov_b32_dpp v13, v11 row_shr:2 row_mask:0xf bank_mask:0xf
	v_cndmask_b32_e32 v13, 0, v13, vcc_lo
	v_cmp_lt_u32_e32 vcc_lo, 3, v12
	s_delay_alu instid0(VALU_DEP_2) | instskip(NEXT) | instid1(VALU_DEP_1)
	v_add_nc_u32_e32 v11, v11, v13
	v_mov_b32_dpp v13, v11 row_shr:4 row_mask:0xf bank_mask:0xf
	s_delay_alu instid0(VALU_DEP_1) | instskip(SKIP_1) | instid1(VALU_DEP_2)
	v_cndmask_b32_e32 v13, 0, v13, vcc_lo
	v_cmp_lt_u32_e32 vcc_lo, 7, v12
	v_add_nc_u32_e32 v11, v11, v13
	s_delay_alu instid0(VALU_DEP_1) | instskip(NEXT) | instid1(VALU_DEP_1)
	v_mov_b32_dpp v13, v11 row_shr:8 row_mask:0xf bank_mask:0xf
	v_cndmask_b32_e32 v12, 0, v13, vcc_lo
	v_bfe_i32 v13, v10, 4, 1
	s_delay_alu instid0(VALU_DEP_2) | instskip(SKIP_4) | instid1(VALU_DEP_2)
	v_add_nc_u32_e32 v11, v11, v12
	ds_swizzle_b32 v12, v11 offset:swizzle(BROADCAST,32,15)
	s_waitcnt lgkmcnt(0)
	v_and_b32_e32 v13, v13, v12
	v_lshrrev_b32_e32 v12, 5, v0
	v_add_nc_u32_e32 v11, v11, v13
	v_cmpx_eq_u32_e64 v14, v0
	s_cbranch_execz .LBB205_2
; %bb.1:
	s_delay_alu instid0(VALU_DEP_3)
	v_lshlrev_b32_e32 v13, 2, v12
	ds_store_b32 v13, v11
.LBB205_2:
	s_or_b32 exec_lo, exec_lo, s0
	s_delay_alu instid0(SALU_CYCLE_1)
	s_mov_b32 s0, exec_lo
	s_waitcnt lgkmcnt(0)
	s_barrier
	buffer_gl0_inv
	v_cmpx_gt_u32_e32 8, v0
	s_cbranch_execz .LBB205_4
; %bb.3:
	v_lshlrev_b32_e32 v13, 2, v0
	ds_load_b32 v14, v13
	s_waitcnt lgkmcnt(0)
	v_mov_b32_dpp v16, v14 row_shr:1 row_mask:0xf bank_mask:0xf
	v_and_b32_e32 v15, 7, v10
	s_delay_alu instid0(VALU_DEP_1) | instskip(NEXT) | instid1(VALU_DEP_3)
	v_cmp_ne_u32_e32 vcc_lo, 0, v15
	v_cndmask_b32_e32 v16, 0, v16, vcc_lo
	v_cmp_lt_u32_e32 vcc_lo, 1, v15
	s_delay_alu instid0(VALU_DEP_2) | instskip(NEXT) | instid1(VALU_DEP_1)
	v_add_nc_u32_e32 v14, v16, v14
	v_mov_b32_dpp v16, v14 row_shr:2 row_mask:0xf bank_mask:0xf
	s_delay_alu instid0(VALU_DEP_1) | instskip(SKIP_1) | instid1(VALU_DEP_2)
	v_cndmask_b32_e32 v16, 0, v16, vcc_lo
	v_cmp_lt_u32_e32 vcc_lo, 3, v15
	v_add_nc_u32_e32 v14, v14, v16
	s_delay_alu instid0(VALU_DEP_1) | instskip(NEXT) | instid1(VALU_DEP_1)
	v_mov_b32_dpp v16, v14 row_shr:4 row_mask:0xf bank_mask:0xf
	v_cndmask_b32_e32 v15, 0, v16, vcc_lo
	s_delay_alu instid0(VALU_DEP_1)
	v_add_nc_u32_e32 v14, v14, v15
	ds_store_b32 v13, v14
.LBB205_4:
	s_or_b32 exec_lo, exec_lo, s0
	s_delay_alu instid0(SALU_CYCLE_1)
	s_mov_b32 s0, exec_lo
	s_waitcnt lgkmcnt(0)
	s_barrier
	buffer_gl0_inv
                                        ; implicit-def: $vgpr13
	v_cmpx_lt_u32_e32 31, v0
	s_cbranch_execz .LBB205_6
; %bb.5:
	v_lshl_add_u32 v12, v12, 2, -4
	ds_load_b32 v13, v12
	s_waitcnt lgkmcnt(0)
	v_add_nc_u32_e32 v11, v13, v11
.LBB205_6:
	s_or_b32 exec_lo, exec_lo, s0
	v_add_nc_u32_e32 v12, -1, v10
	s_mov_b32 s5, 0
	s_delay_alu instid0(VALU_DEP_1) | instskip(SKIP_2) | instid1(VALU_DEP_2)
	v_cmp_gt_i32_e32 vcc_lo, 0, v12
	v_cndmask_b32_e32 v12, v12, v10, vcc_lo
	v_cmp_eq_u32_e32 vcc_lo, 0, v10
	v_lshlrev_b32_e32 v12, 2, v12
	ds_bpermute_b32 v11, v12, v11
	s_waitcnt lgkmcnt(0)
	v_cndmask_b32_e32 v10, v11, v13, vcc_lo
	v_cmp_eq_u32_e32 vcc_lo, 0, v0
	s_delay_alu instid0(VALU_DEP_2) | instskip(NEXT) | instid1(VALU_DEP_1)
	v_cndmask_b32_e64 v0, v10, 0, vcc_lo
	v_add_nc_u32_e32 v0, v0, v7
	s_delay_alu instid0(VALU_DEP_1) | instskip(NEXT) | instid1(VALU_DEP_1)
	v_add_nc_u32_e32 v7, v0, v8
	v_add_nc_u32_e32 v8, v7, v9
	s_clause 0x2
	global_store_b32 v[1:2], v0, off
	global_store_b32 v[3:4], v7, off
	;; [unrolled: 1-line block ×3, first 2 shown]
	s_and_saveexec_b32 s0, vcc_lo
	s_cbranch_execz .LBB205_8
; %bb.7:
	v_mov_b32_e32 v0, 0
	s_lshl_b64 s[0:1], s[4:5], 2
	s_delay_alu instid0(SALU_CYCLE_1)
	s_add_u32 s0, s2, s0
	s_addc_u32 s1, s3, s1
	ds_load_b32 v1, v0 offset:28
	s_waitcnt lgkmcnt(0)
	global_store_b32 v0, v1, s[0:1]
.LBB205_8:
	s_nop 0
	s_sendmsg sendmsg(MSG_DEALLOC_VGPRS)
	s_endpgm
	.section	.rodata,"a",@progbits
	.p2align	6, 0x0
	.amdhsa_kernel _Z34inclusive_scan_reduce_array_kernelILj256ELj3ELN6hipcub18BlockScanAlgorithmE0EjEvPT2_S3_
		.amdhsa_group_segment_fixed_size 32
		.amdhsa_private_segment_fixed_size 0
		.amdhsa_kernarg_size 16
		.amdhsa_user_sgpr_count 15
		.amdhsa_user_sgpr_dispatch_ptr 0
		.amdhsa_user_sgpr_queue_ptr 0
		.amdhsa_user_sgpr_kernarg_segment_ptr 1
		.amdhsa_user_sgpr_dispatch_id 0
		.amdhsa_user_sgpr_private_segment_size 0
		.amdhsa_wavefront_size32 1
		.amdhsa_uses_dynamic_stack 0
		.amdhsa_enable_private_segment 0
		.amdhsa_system_sgpr_workgroup_id_x 1
		.amdhsa_system_sgpr_workgroup_id_y 0
		.amdhsa_system_sgpr_workgroup_id_z 0
		.amdhsa_system_sgpr_workgroup_info 0
		.amdhsa_system_vgpr_workitem_id 0
		.amdhsa_next_free_vgpr 17
		.amdhsa_next_free_sgpr 16
		.amdhsa_reserve_vcc 1
		.amdhsa_float_round_mode_32 0
		.amdhsa_float_round_mode_16_64 0
		.amdhsa_float_denorm_mode_32 3
		.amdhsa_float_denorm_mode_16_64 3
		.amdhsa_dx10_clamp 1
		.amdhsa_ieee_mode 1
		.amdhsa_fp16_overflow 0
		.amdhsa_workgroup_processor_mode 1
		.amdhsa_memory_ordered 1
		.amdhsa_forward_progress 0
		.amdhsa_shared_vgpr_count 0
		.amdhsa_exception_fp_ieee_invalid_op 0
		.amdhsa_exception_fp_denorm_src 0
		.amdhsa_exception_fp_ieee_div_zero 0
		.amdhsa_exception_fp_ieee_overflow 0
		.amdhsa_exception_fp_ieee_underflow 0
		.amdhsa_exception_fp_ieee_inexact 0
		.amdhsa_exception_int_div_zero 0
	.end_amdhsa_kernel
	.section	.text._Z34inclusive_scan_reduce_array_kernelILj256ELj3ELN6hipcub18BlockScanAlgorithmE0EjEvPT2_S3_,"axG",@progbits,_Z34inclusive_scan_reduce_array_kernelILj256ELj3ELN6hipcub18BlockScanAlgorithmE0EjEvPT2_S3_,comdat
.Lfunc_end205:
	.size	_Z34inclusive_scan_reduce_array_kernelILj256ELj3ELN6hipcub18BlockScanAlgorithmE0EjEvPT2_S3_, .Lfunc_end205-_Z34inclusive_scan_reduce_array_kernelILj256ELj3ELN6hipcub18BlockScanAlgorithmE0EjEvPT2_S3_
                                        ; -- End function
	.section	.AMDGPU.csdata,"",@progbits
; Kernel info:
; codeLenInByte = 724
; NumSgprs: 18
; NumVgprs: 17
; ScratchSize: 0
; MemoryBound: 0
; FloatMode: 240
; IeeeMode: 1
; LDSByteSize: 32 bytes/workgroup (compile time only)
; SGPRBlocks: 2
; VGPRBlocks: 2
; NumSGPRsForWavesPerEU: 18
; NumVGPRsForWavesPerEU: 17
; Occupancy: 16
; WaveLimiterHint : 0
; COMPUTE_PGM_RSRC2:SCRATCH_EN: 0
; COMPUTE_PGM_RSRC2:USER_SGPR: 15
; COMPUTE_PGM_RSRC2:TRAP_HANDLER: 0
; COMPUTE_PGM_RSRC2:TGID_X_EN: 1
; COMPUTE_PGM_RSRC2:TGID_Y_EN: 0
; COMPUTE_PGM_RSRC2:TGID_Z_EN: 0
; COMPUTE_PGM_RSRC2:TIDIG_COMP_CNT: 0
	.section	.text._Z34inclusive_scan_reduce_array_kernelILj32ELj2ELN6hipcub18BlockScanAlgorithmE0EfEvPT2_S3_,"axG",@progbits,_Z34inclusive_scan_reduce_array_kernelILj32ELj2ELN6hipcub18BlockScanAlgorithmE0EfEvPT2_S3_,comdat
	.protected	_Z34inclusive_scan_reduce_array_kernelILj32ELj2ELN6hipcub18BlockScanAlgorithmE0EfEvPT2_S3_ ; -- Begin function _Z34inclusive_scan_reduce_array_kernelILj32ELj2ELN6hipcub18BlockScanAlgorithmE0EfEvPT2_S3_
	.globl	_Z34inclusive_scan_reduce_array_kernelILj32ELj2ELN6hipcub18BlockScanAlgorithmE0EfEvPT2_S3_
	.p2align	8
	.type	_Z34inclusive_scan_reduce_array_kernelILj32ELj2ELN6hipcub18BlockScanAlgorithmE0EfEvPT2_S3_,@function
_Z34inclusive_scan_reduce_array_kernelILj32ELj2ELN6hipcub18BlockScanAlgorithmE0EfEvPT2_S3_: ; @_Z34inclusive_scan_reduce_array_kernelILj32ELj2ELN6hipcub18BlockScanAlgorithmE0EfEvPT2_S3_
; %bb.0:
	s_load_b128 s[0:3], s[0:1], 0x0
	v_lshlrev_b32_e32 v1, 1, v0
	s_mov_b32 s4, s15
	v_mov_b32_e32 v5, 0
	v_mbcnt_lo_u32_b32 v6, -1, 0
	s_delay_alu instid0(VALU_DEP_3) | instskip(NEXT) | instid1(VALU_DEP_2)
	v_lshl_or_b32 v4, s4, 6, v1
	v_and_b32_e32 v9, 15, v6
	s_delay_alu instid0(VALU_DEP_2) | instskip(SKIP_1) | instid1(VALU_DEP_1)
	v_lshlrev_b64 v[1:2], 2, v[4:5]
	s_waitcnt lgkmcnt(0)
	v_add_co_u32 v1, vcc_lo, s0, v1
	s_delay_alu instid0(VALU_DEP_2)
	v_add_co_ci_u32_e32 v2, vcc_lo, s1, v2, vcc_lo
	v_cmp_eq_u32_e32 vcc_lo, 0, v9
	s_mov_b32 s0, exec_lo
	global_load_b64 v[3:4], v[1:2], off
	s_waitcnt vmcnt(0)
	v_add_f32_e32 v7, v3, v4
	s_delay_alu instid0(VALU_DEP_1) | instskip(NEXT) | instid1(VALU_DEP_1)
	v_mov_b32_dpp v8, v7 row_shr:1 row_mask:0xf bank_mask:0xf
	v_add_f32_e32 v8, v7, v8
	s_delay_alu instid0(VALU_DEP_1) | instskip(NEXT) | instid1(VALU_DEP_1)
	v_cndmask_b32_e32 v7, v8, v7, vcc_lo
	v_mov_b32_dpp v8, v7 row_shr:2 row_mask:0xf bank_mask:0xf
	s_delay_alu instid0(VALU_DEP_1) | instskip(SKIP_1) | instid1(VALU_DEP_2)
	v_add_f32_e32 v8, v7, v8
	v_cmp_lt_u32_e32 vcc_lo, 1, v9
	v_cndmask_b32_e32 v7, v7, v8, vcc_lo
	v_cmp_lt_u32_e32 vcc_lo, 3, v9
	s_delay_alu instid0(VALU_DEP_2) | instskip(NEXT) | instid1(VALU_DEP_1)
	v_mov_b32_dpp v8, v7 row_shr:4 row_mask:0xf bank_mask:0xf
	v_add_f32_e32 v8, v7, v8
	s_delay_alu instid0(VALU_DEP_1) | instskip(SKIP_2) | instid1(VALU_DEP_3)
	v_cndmask_b32_e32 v7, v7, v8, vcc_lo
	v_cmp_lt_u32_e32 vcc_lo, 7, v9
	v_and_b32_e32 v9, 16, v6
	v_mov_b32_dpp v8, v7 row_shr:8 row_mask:0xf bank_mask:0xf
	s_delay_alu instid0(VALU_DEP_1) | instskip(NEXT) | instid1(VALU_DEP_1)
	v_add_f32_e32 v8, v7, v8
	v_cndmask_b32_e32 v7, v7, v8, vcc_lo
	s_delay_alu instid0(VALU_DEP_4) | instskip(SKIP_3) | instid1(VALU_DEP_1)
	v_cmp_eq_u32_e32 vcc_lo, 0, v9
	ds_swizzle_b32 v8, v7 offset:swizzle(BROADCAST,32,15)
	s_waitcnt lgkmcnt(0)
	v_add_f32_e32 v8, v7, v8
	v_cndmask_b32_e32 v7, v8, v7, vcc_lo
	v_cmpx_eq_u32_e32 31, v0
	s_cbranch_execz .LBB206_2
; %bb.1:
	ds_store_b32 v5, v7
.LBB206_2:
	s_or_b32 exec_lo, exec_lo, s0
	v_add_nc_u32_e32 v5, -1, v6
	s_waitcnt vmcnt(0) lgkmcnt(0)
	s_waitcnt_vscnt null, 0x0
	; wave barrier
	s_waitcnt lgkmcnt(0)
	buffer_gl0_inv
	v_cmp_gt_i32_e32 vcc_lo, 0, v5
	v_cndmask_b32_e32 v5, v5, v6, vcc_lo
	v_cmp_eq_u32_e32 vcc_lo, 0, v0
	s_delay_alu instid0(VALU_DEP_2) | instskip(SKIP_3) | instid1(VALU_DEP_1)
	v_lshlrev_b32_e32 v5, 2, v5
	ds_bpermute_b32 v5, v5, v7
	s_waitcnt lgkmcnt(0)
	v_add_f32_e32 v5, v3, v5
	v_cndmask_b32_e32 v3, v5, v3, vcc_lo
	s_delay_alu instid0(VALU_DEP_1)
	v_add_f32_e32 v4, v4, v3
	global_store_b64 v[1:2], v[3:4], off
	s_and_saveexec_b32 s0, vcc_lo
	s_cbranch_execz .LBB206_4
; %bb.3:
	v_mov_b32_e32 v0, 0
	s_mov_b32 s5, 0
	s_delay_alu instid0(SALU_CYCLE_1) | instskip(NEXT) | instid1(SALU_CYCLE_1)
	s_lshl_b64 s[0:1], s[4:5], 2
	s_add_u32 s0, s2, s0
	ds_load_b32 v1, v0
	s_addc_u32 s1, s3, s1
	s_waitcnt lgkmcnt(0)
	global_store_b32 v0, v1, s[0:1]
.LBB206_4:
	s_nop 0
	s_sendmsg sendmsg(MSG_DEALLOC_VGPRS)
	s_endpgm
	.section	.rodata,"a",@progbits
	.p2align	6, 0x0
	.amdhsa_kernel _Z34inclusive_scan_reduce_array_kernelILj32ELj2ELN6hipcub18BlockScanAlgorithmE0EfEvPT2_S3_
		.amdhsa_group_segment_fixed_size 4
		.amdhsa_private_segment_fixed_size 0
		.amdhsa_kernarg_size 16
		.amdhsa_user_sgpr_count 15
		.amdhsa_user_sgpr_dispatch_ptr 0
		.amdhsa_user_sgpr_queue_ptr 0
		.amdhsa_user_sgpr_kernarg_segment_ptr 1
		.amdhsa_user_sgpr_dispatch_id 0
		.amdhsa_user_sgpr_private_segment_size 0
		.amdhsa_wavefront_size32 1
		.amdhsa_uses_dynamic_stack 0
		.amdhsa_enable_private_segment 0
		.amdhsa_system_sgpr_workgroup_id_x 1
		.amdhsa_system_sgpr_workgroup_id_y 0
		.amdhsa_system_sgpr_workgroup_id_z 0
		.amdhsa_system_sgpr_workgroup_info 0
		.amdhsa_system_vgpr_workitem_id 0
		.amdhsa_next_free_vgpr 10
		.amdhsa_next_free_sgpr 16
		.amdhsa_reserve_vcc 1
		.amdhsa_float_round_mode_32 0
		.amdhsa_float_round_mode_16_64 0
		.amdhsa_float_denorm_mode_32 3
		.amdhsa_float_denorm_mode_16_64 3
		.amdhsa_dx10_clamp 1
		.amdhsa_ieee_mode 1
		.amdhsa_fp16_overflow 0
		.amdhsa_workgroup_processor_mode 1
		.amdhsa_memory_ordered 1
		.amdhsa_forward_progress 0
		.amdhsa_shared_vgpr_count 0
		.amdhsa_exception_fp_ieee_invalid_op 0
		.amdhsa_exception_fp_denorm_src 0
		.amdhsa_exception_fp_ieee_div_zero 0
		.amdhsa_exception_fp_ieee_overflow 0
		.amdhsa_exception_fp_ieee_underflow 0
		.amdhsa_exception_fp_ieee_inexact 0
		.amdhsa_exception_int_div_zero 0
	.end_amdhsa_kernel
	.section	.text._Z34inclusive_scan_reduce_array_kernelILj32ELj2ELN6hipcub18BlockScanAlgorithmE0EfEvPT2_S3_,"axG",@progbits,_Z34inclusive_scan_reduce_array_kernelILj32ELj2ELN6hipcub18BlockScanAlgorithmE0EfEvPT2_S3_,comdat
.Lfunc_end206:
	.size	_Z34inclusive_scan_reduce_array_kernelILj32ELj2ELN6hipcub18BlockScanAlgorithmE0EfEvPT2_S3_, .Lfunc_end206-_Z34inclusive_scan_reduce_array_kernelILj32ELj2ELN6hipcub18BlockScanAlgorithmE0EfEvPT2_S3_
                                        ; -- End function
	.section	.AMDGPU.csdata,"",@progbits
; Kernel info:
; codeLenInByte = 396
; NumSgprs: 18
; NumVgprs: 10
; ScratchSize: 0
; MemoryBound: 0
; FloatMode: 240
; IeeeMode: 1
; LDSByteSize: 4 bytes/workgroup (compile time only)
; SGPRBlocks: 2
; VGPRBlocks: 1
; NumSGPRsForWavesPerEU: 18
; NumVGPRsForWavesPerEU: 10
; Occupancy: 16
; WaveLimiterHint : 0
; COMPUTE_PGM_RSRC2:SCRATCH_EN: 0
; COMPUTE_PGM_RSRC2:USER_SGPR: 15
; COMPUTE_PGM_RSRC2:TRAP_HANDLER: 0
; COMPUTE_PGM_RSRC2:TGID_X_EN: 1
; COMPUTE_PGM_RSRC2:TGID_Y_EN: 0
; COMPUTE_PGM_RSRC2:TGID_Z_EN: 0
; COMPUTE_PGM_RSRC2:TIDIG_COMP_CNT: 0
	.section	.text._Z34inclusive_scan_reduce_array_kernelILj6ELj32ELN6hipcub18BlockScanAlgorithmE0EfEvPT2_S3_,"axG",@progbits,_Z34inclusive_scan_reduce_array_kernelILj6ELj32ELN6hipcub18BlockScanAlgorithmE0EfEvPT2_S3_,comdat
	.protected	_Z34inclusive_scan_reduce_array_kernelILj6ELj32ELN6hipcub18BlockScanAlgorithmE0EfEvPT2_S3_ ; -- Begin function _Z34inclusive_scan_reduce_array_kernelILj6ELj32ELN6hipcub18BlockScanAlgorithmE0EfEvPT2_S3_
	.globl	_Z34inclusive_scan_reduce_array_kernelILj6ELj32ELN6hipcub18BlockScanAlgorithmE0EfEvPT2_S3_
	.p2align	8
	.type	_Z34inclusive_scan_reduce_array_kernelILj6ELj32ELN6hipcub18BlockScanAlgorithmE0EfEvPT2_S3_,@function
_Z34inclusive_scan_reduce_array_kernelILj6ELj32ELN6hipcub18BlockScanAlgorithmE0EfEvPT2_S3_: ; @_Z34inclusive_scan_reduce_array_kernelILj6ELj32ELN6hipcub18BlockScanAlgorithmE0EfEvPT2_S3_
; %bb.0:
	s_load_b128 s[0:3], s[0:1], 0x0
	s_mul_i32 s5, s15, 6
	v_mov_b32_e32 v35, 0
	v_add_lshl_u32 v34, s5, v0, 5
	s_mov_b32 s4, s15
	s_delay_alu instid0(VALU_DEP_1) | instskip(SKIP_1) | instid1(VALU_DEP_1)
	v_lshlrev_b64 v[1:2], 2, v[34:35]
	s_waitcnt lgkmcnt(0)
	v_add_co_u32 v33, vcc_lo, s0, v1
	s_delay_alu instid0(VALU_DEP_2)
	v_add_co_ci_u32_e32 v34, vcc_lo, s1, v2, vcc_lo
	s_mov_b32 s0, exec_lo
	s_clause 0x7
	global_load_b128 v[29:32], v[33:34], off
	global_load_b128 v[25:28], v[33:34], off offset:16
	global_load_b128 v[21:24], v[33:34], off offset:32
	;; [unrolled: 1-line block ×7, first 2 shown]
	s_waitcnt vmcnt(7)
	v_add_f32_e32 v36, v29, v30
	s_delay_alu instid0(VALU_DEP_1) | instskip(NEXT) | instid1(VALU_DEP_1)
	v_add_f32_e32 v36, v36, v31
	v_add_f32_e32 v36, v36, v32
	s_waitcnt vmcnt(6)
	s_delay_alu instid0(VALU_DEP_1) | instskip(NEXT) | instid1(VALU_DEP_1)
	v_add_f32_e32 v36, v36, v25
	v_add_f32_e32 v36, v36, v26
	s_delay_alu instid0(VALU_DEP_1) | instskip(NEXT) | instid1(VALU_DEP_1)
	v_add_f32_e32 v36, v36, v27
	v_add_f32_e32 v36, v36, v28
	s_waitcnt vmcnt(5)
	s_delay_alu instid0(VALU_DEP_1) | instskip(NEXT) | instid1(VALU_DEP_1)
	v_add_f32_e32 v36, v36, v21
	;; [unrolled: 7-line block ×7, first 2 shown]
	v_add_f32_e32 v36, v36, v2
	s_delay_alu instid0(VALU_DEP_1) | instskip(NEXT) | instid1(VALU_DEP_1)
	v_add_f32_e32 v36, v36, v3
	v_add_f32_e32 v37, v36, v4
	v_mbcnt_lo_u32_b32 v36, -1, 0
	s_delay_alu instid0(VALU_DEP_2) | instskip(NEXT) | instid1(VALU_DEP_1)
	v_mov_b32_dpp v38, v37 row_shr:1 row_mask:0xf bank_mask:0xf
	v_dual_add_f32 v38, v37, v38 :: v_dual_and_b32 v39, 7, v36
	s_delay_alu instid0(VALU_DEP_1) | instskip(NEXT) | instid1(VALU_DEP_2)
	v_cmp_eq_u32_e32 vcc_lo, 0, v39
	v_cndmask_b32_e32 v37, v38, v37, vcc_lo
	v_cmp_lt_u32_e32 vcc_lo, 1, v39
	s_delay_alu instid0(VALU_DEP_2) | instskip(NEXT) | instid1(VALU_DEP_1)
	v_mov_b32_dpp v38, v37 row_shr:2 row_mask:0xf bank_mask:0xf
	v_add_f32_e32 v38, v37, v38
	s_delay_alu instid0(VALU_DEP_1) | instskip(SKIP_1) | instid1(VALU_DEP_2)
	v_cndmask_b32_e32 v37, v37, v38, vcc_lo
	v_cmp_lt_u32_e32 vcc_lo, 3, v39
	v_mov_b32_dpp v38, v37 row_shr:4 row_mask:0xf bank_mask:0xf
	s_delay_alu instid0(VALU_DEP_1) | instskip(NEXT) | instid1(VALU_DEP_1)
	v_add_f32_e32 v38, v37, v38
	v_cndmask_b32_e32 v37, v37, v38, vcc_lo
	v_cmpx_eq_u32_e32 5, v0
	s_cbranch_execz .LBB207_2
; %bb.1:
	ds_store_b32 v35, v37
.LBB207_2:
	s_or_b32 exec_lo, exec_lo, s0
	v_add_nc_u32_e32 v35, -1, v36
	v_and_b32_e32 v38, 24, v36
	s_waitcnt vmcnt(0) lgkmcnt(0)
	s_waitcnt_vscnt null, 0x0
	; wave barrier
	s_waitcnt lgkmcnt(0)
	buffer_gl0_inv
	v_cmp_lt_i32_e32 vcc_lo, v35, v38
	v_cndmask_b32_e32 v35, v35, v36, vcc_lo
	v_cmp_eq_u32_e32 vcc_lo, 0, v0
	s_delay_alu instid0(VALU_DEP_2) | instskip(SKIP_3) | instid1(VALU_DEP_1)
	v_lshlrev_b32_e32 v35, 2, v35
	ds_bpermute_b32 v35, v35, v37
	s_waitcnt lgkmcnt(0)
	v_add_f32_e32 v35, v29, v35
	v_cndmask_b32_e32 v29, v35, v29, vcc_lo
	s_delay_alu instid0(VALU_DEP_1) | instskip(NEXT) | instid1(VALU_DEP_1)
	v_add_f32_e32 v30, v29, v30
	v_add_f32_e32 v31, v30, v31
	s_delay_alu instid0(VALU_DEP_1) | instskip(NEXT) | instid1(VALU_DEP_1)
	v_add_f32_e32 v32, v31, v32
	v_add_f32_e32 v25, v32, v25
	;; [unrolled: 3-line block ×6, first 2 shown]
	s_delay_alu instid0(VALU_DEP_1) | instskip(SKIP_4) | instid1(VALU_DEP_1)
	v_add_f32_e32 v14, v13, v14
	s_clause 0x1
	global_store_b128 v[33:34], v[29:32], off
	global_store_b128 v[33:34], v[25:28], off offset:16
	v_add_f32_e32 v15, v14, v15
	v_add_f32_e32 v16, v15, v16
	s_delay_alu instid0(VALU_DEP_1) | instskip(NEXT) | instid1(VALU_DEP_1)
	v_add_f32_e32 v17, v16, v17
	v_add_f32_e32 v18, v17, v18
	s_delay_alu instid0(VALU_DEP_1) | instskip(NEXT) | instid1(VALU_DEP_1)
	;; [unrolled: 3-line block ×8, first 2 shown]
	v_add_f32_e32 v2, v1, v3
	v_add_f32_e32 v3, v2, v4
	s_clause 0x5
	global_store_b128 v[33:34], v[21:24], off offset:32
	global_store_b128 v[33:34], v[13:16], off offset:48
	;; [unrolled: 1-line block ×6, first 2 shown]
	s_and_saveexec_b32 s0, vcc_lo
	s_cbranch_execz .LBB207_4
; %bb.3:
	v_mov_b32_e32 v0, 0
	s_mov_b32 s5, 0
	s_delay_alu instid0(SALU_CYCLE_1) | instskip(NEXT) | instid1(SALU_CYCLE_1)
	s_lshl_b64 s[0:1], s[4:5], 2
	s_add_u32 s0, s2, s0
	ds_load_b32 v1, v0
	s_addc_u32 s1, s3, s1
	s_waitcnt lgkmcnt(0)
	global_store_b32 v0, v1, s[0:1]
.LBB207_4:
	s_nop 0
	s_sendmsg sendmsg(MSG_DEALLOC_VGPRS)
	s_endpgm
	.section	.rodata,"a",@progbits
	.p2align	6, 0x0
	.amdhsa_kernel _Z34inclusive_scan_reduce_array_kernelILj6ELj32ELN6hipcub18BlockScanAlgorithmE0EfEvPT2_S3_
		.amdhsa_group_segment_fixed_size 4
		.amdhsa_private_segment_fixed_size 0
		.amdhsa_kernarg_size 16
		.amdhsa_user_sgpr_count 15
		.amdhsa_user_sgpr_dispatch_ptr 0
		.amdhsa_user_sgpr_queue_ptr 0
		.amdhsa_user_sgpr_kernarg_segment_ptr 1
		.amdhsa_user_sgpr_dispatch_id 0
		.amdhsa_user_sgpr_private_segment_size 0
		.amdhsa_wavefront_size32 1
		.amdhsa_uses_dynamic_stack 0
		.amdhsa_enable_private_segment 0
		.amdhsa_system_sgpr_workgroup_id_x 1
		.amdhsa_system_sgpr_workgroup_id_y 0
		.amdhsa_system_sgpr_workgroup_id_z 0
		.amdhsa_system_sgpr_workgroup_info 0
		.amdhsa_system_vgpr_workitem_id 0
		.amdhsa_next_free_vgpr 40
		.amdhsa_next_free_sgpr 16
		.amdhsa_reserve_vcc 1
		.amdhsa_float_round_mode_32 0
		.amdhsa_float_round_mode_16_64 0
		.amdhsa_float_denorm_mode_32 3
		.amdhsa_float_denorm_mode_16_64 3
		.amdhsa_dx10_clamp 1
		.amdhsa_ieee_mode 1
		.amdhsa_fp16_overflow 0
		.amdhsa_workgroup_processor_mode 1
		.amdhsa_memory_ordered 1
		.amdhsa_forward_progress 0
		.amdhsa_shared_vgpr_count 0
		.amdhsa_exception_fp_ieee_invalid_op 0
		.amdhsa_exception_fp_denorm_src 0
		.amdhsa_exception_fp_ieee_div_zero 0
		.amdhsa_exception_fp_ieee_overflow 0
		.amdhsa_exception_fp_ieee_underflow 0
		.amdhsa_exception_fp_ieee_inexact 0
		.amdhsa_exception_int_div_zero 0
	.end_amdhsa_kernel
	.section	.text._Z34inclusive_scan_reduce_array_kernelILj6ELj32ELN6hipcub18BlockScanAlgorithmE0EfEvPT2_S3_,"axG",@progbits,_Z34inclusive_scan_reduce_array_kernelILj6ELj32ELN6hipcub18BlockScanAlgorithmE0EfEvPT2_S3_,comdat
.Lfunc_end207:
	.size	_Z34inclusive_scan_reduce_array_kernelILj6ELj32ELN6hipcub18BlockScanAlgorithmE0EfEvPT2_S3_, .Lfunc_end207-_Z34inclusive_scan_reduce_array_kernelILj6ELj32ELN6hipcub18BlockScanAlgorithmE0EfEvPT2_S3_
                                        ; -- End function
	.section	.AMDGPU.csdata,"",@progbits
; Kernel info:
; codeLenInByte = 848
; NumSgprs: 18
; NumVgprs: 40
; ScratchSize: 0
; MemoryBound: 0
; FloatMode: 240
; IeeeMode: 1
; LDSByteSize: 4 bytes/workgroup (compile time only)
; SGPRBlocks: 2
; VGPRBlocks: 4
; NumSGPRsForWavesPerEU: 18
; NumVGPRsForWavesPerEU: 40
; Occupancy: 16
; WaveLimiterHint : 0
; COMPUTE_PGM_RSRC2:SCRATCH_EN: 0
; COMPUTE_PGM_RSRC2:USER_SGPR: 15
; COMPUTE_PGM_RSRC2:TRAP_HANDLER: 0
; COMPUTE_PGM_RSRC2:TGID_X_EN: 1
; COMPUTE_PGM_RSRC2:TGID_Y_EN: 0
; COMPUTE_PGM_RSRC2:TGID_Z_EN: 0
; COMPUTE_PGM_RSRC2:TIDIG_COMP_CNT: 0
	.section	.text._Z43inclusive_scan_array_prefix_callback_kernelILj16ELj5ELN6hipcub18BlockScanAlgorithmE1E12hip_bfloat16EvPT2_S4_S3_,"axG",@progbits,_Z43inclusive_scan_array_prefix_callback_kernelILj16ELj5ELN6hipcub18BlockScanAlgorithmE1E12hip_bfloat16EvPT2_S4_S3_,comdat
	.protected	_Z43inclusive_scan_array_prefix_callback_kernelILj16ELj5ELN6hipcub18BlockScanAlgorithmE1E12hip_bfloat16EvPT2_S4_S3_ ; -- Begin function _Z43inclusive_scan_array_prefix_callback_kernelILj16ELj5ELN6hipcub18BlockScanAlgorithmE1E12hip_bfloat16EvPT2_S4_S3_
	.globl	_Z43inclusive_scan_array_prefix_callback_kernelILj16ELj5ELN6hipcub18BlockScanAlgorithmE1E12hip_bfloat16EvPT2_S4_S3_
	.p2align	8
	.type	_Z43inclusive_scan_array_prefix_callback_kernelILj16ELj5ELN6hipcub18BlockScanAlgorithmE1E12hip_bfloat16EvPT2_S4_S3_,@function
_Z43inclusive_scan_array_prefix_callback_kernelILj16ELj5ELN6hipcub18BlockScanAlgorithmE1E12hip_bfloat16EvPT2_S4_S3_: ; @_Z43inclusive_scan_array_prefix_callback_kernelILj16ELj5ELN6hipcub18BlockScanAlgorithmE1E12hip_bfloat16EvPT2_S4_S3_
; %bb.0:
	s_mov_b32 s2, s15
	s_load_b128 s[4:7], s[0:1], 0x0
	v_lshl_or_b32 v1, s2, 4, v0
	s_delay_alu instid0(VALU_DEP_1) | instskip(NEXT) | instid1(VALU_DEP_1)
	v_lshl_add_u32 v8, v1, 2, v1
	v_dual_mov_b32 v9, 0 :: v_dual_add_nc_u32 v10, 2, v8
	s_delay_alu instid0(VALU_DEP_1) | instskip(SKIP_3) | instid1(VALU_DEP_4)
	v_dual_mov_b32 v2, v9 :: v_dual_add_nc_u32 v1, 1, v8
	v_dual_mov_b32 v4, v9 :: v_dual_add_nc_u32 v3, 3, v8
	v_lshlrev_b64 v[5:6], 1, v[8:9]
	v_add_nc_u32_e32 v8, 4, v8
	v_lshlrev_b64 v[11:12], 1, v[1:2]
	s_delay_alu instid0(VALU_DEP_4) | instskip(NEXT) | instid1(VALU_DEP_3)
	v_lshlrev_b64 v[1:2], 1, v[3:4]
	v_lshlrev_b64 v[7:8], 1, v[8:9]
	s_waitcnt lgkmcnt(0)
	v_add_co_u32 v3, vcc_lo, s4, v5
	v_add_co_ci_u32_e32 v4, vcc_lo, s5, v6, vcc_lo
	s_delay_alu instid0(VALU_DEP_4)
	v_add_co_u32 v1, vcc_lo, s4, v1
	v_add_co_ci_u32_e32 v2, vcc_lo, s5, v2, vcc_lo
	v_add_co_u32 v5, vcc_lo, s4, v7
	v_add_co_ci_u32_e32 v6, vcc_lo, s5, v8, vcc_lo
	v_add_co_u32 v7, vcc_lo, s4, v11
	v_mov_b32_e32 v11, v9
	v_add_co_ci_u32_e32 v8, vcc_lo, s5, v12, vcc_lo
	s_clause 0x3
	global_load_u16 v13, v[1:2], off
	global_load_u16 v14, v[5:6], off
	;; [unrolled: 1-line block ×4, first 2 shown]
	v_lshlrev_b64 v[9:10], 1, v[10:11]
	s_delay_alu instid0(VALU_DEP_1) | instskip(NEXT) | instid1(VALU_DEP_2)
	v_add_co_u32 v9, vcc_lo, s4, v9
	v_add_co_ci_u32_e32 v10, vcc_lo, s5, v10, vcc_lo
	global_load_u16 v12, v[9:10], off
	s_waitcnt vmcnt(2)
	v_lshlrev_b32_e32 v15, 16, v15
	s_waitcnt vmcnt(1)
	v_lshlrev_b32_e32 v11, 16, v16
	s_delay_alu instid0(VALU_DEP_1) | instskip(NEXT) | instid1(VALU_DEP_1)
	v_add_f32_e32 v16, v15, v11
	v_and_b32_e32 v17, 0x7f800000, v16
	s_delay_alu instid0(VALU_DEP_1) | instskip(SKIP_1) | instid1(SALU_CYCLE_1)
	v_cmp_ne_u32_e32 vcc_lo, 0x7f800000, v17
                                        ; implicit-def: $vgpr17
	s_and_saveexec_b32 s3, vcc_lo
	s_xor_b32 s3, exec_lo, s3
; %bb.1:
	v_bfe_u32 v17, v16, 16, 1
	s_delay_alu instid0(VALU_DEP_1)
	v_add3_u32 v17, v16, v17, 0x7fff
                                        ; implicit-def: $vgpr16
; %bb.2:
	s_and_not1_saveexec_b32 s3, s3
; %bb.3:
	v_and_b32_e32 v17, 0xffff, v16
	v_or_b32_e32 v18, 0x10000, v16
	s_delay_alu instid0(VALU_DEP_2) | instskip(NEXT) | instid1(VALU_DEP_2)
	v_cmp_eq_u32_e32 vcc_lo, 0, v17
	v_cndmask_b32_e32 v17, v18, v16, vcc_lo
; %bb.4:
	s_or_b32 exec_lo, exec_lo, s3
	s_delay_alu instid0(VALU_DEP_1) | instskip(SKIP_2) | instid1(VALU_DEP_1)
	v_and_b32_e32 v16, 0xffff0000, v17
	s_waitcnt vmcnt(0)
	v_lshlrev_b32_e32 v12, 16, v12
	v_add_f32_e32 v16, v16, v12
	s_delay_alu instid0(VALU_DEP_1) | instskip(NEXT) | instid1(VALU_DEP_1)
	v_and_b32_e32 v17, 0x7f800000, v16
	v_cmp_ne_u32_e32 vcc_lo, 0x7f800000, v17
                                        ; implicit-def: $vgpr17
	s_and_saveexec_b32 s3, vcc_lo
	s_delay_alu instid0(SALU_CYCLE_1)
	s_xor_b32 s3, exec_lo, s3
; %bb.5:
	v_bfe_u32 v17, v16, 16, 1
	s_delay_alu instid0(VALU_DEP_1)
	v_add3_u32 v17, v16, v17, 0x7fff
                                        ; implicit-def: $vgpr16
; %bb.6:
	s_and_not1_saveexec_b32 s3, s3
; %bb.7:
	v_and_b32_e32 v17, 0xffff, v16
	v_or_b32_e32 v18, 0x10000, v16
	s_delay_alu instid0(VALU_DEP_2) | instskip(NEXT) | instid1(VALU_DEP_2)
	v_cmp_eq_u32_e32 vcc_lo, 0, v17
	v_cndmask_b32_e32 v17, v18, v16, vcc_lo
; %bb.8:
	s_or_b32 exec_lo, exec_lo, s3
	s_delay_alu instid0(VALU_DEP_1) | instskip(SKIP_1) | instid1(VALU_DEP_1)
	v_and_b32_e32 v16, 0xffff0000, v17
	v_lshlrev_b32_e32 v13, 16, v13
	v_add_f32_e32 v16, v16, v13
	s_delay_alu instid0(VALU_DEP_1) | instskip(NEXT) | instid1(VALU_DEP_1)
	v_and_b32_e32 v17, 0x7f800000, v16
	v_cmp_ne_u32_e32 vcc_lo, 0x7f800000, v17
                                        ; implicit-def: $vgpr17
	s_and_saveexec_b32 s3, vcc_lo
	s_delay_alu instid0(SALU_CYCLE_1)
	s_xor_b32 s3, exec_lo, s3
; %bb.9:
	v_bfe_u32 v17, v16, 16, 1
	s_delay_alu instid0(VALU_DEP_1)
	v_add3_u32 v17, v16, v17, 0x7fff
                                        ; implicit-def: $vgpr16
; %bb.10:
	s_and_not1_saveexec_b32 s3, s3
; %bb.11:
	v_and_b32_e32 v17, 0xffff, v16
	v_or_b32_e32 v18, 0x10000, v16
	s_delay_alu instid0(VALU_DEP_2) | instskip(NEXT) | instid1(VALU_DEP_2)
	v_cmp_eq_u32_e32 vcc_lo, 0, v17
	v_cndmask_b32_e32 v17, v18, v16, vcc_lo
; %bb.12:
	s_or_b32 exec_lo, exec_lo, s3
	s_delay_alu instid0(VALU_DEP_1) | instskip(SKIP_1) | instid1(VALU_DEP_1)
	v_and_b32_e32 v16, 0xffff0000, v17
	v_lshlrev_b32_e32 v14, 16, v14
	v_add_f32_e32 v16, v16, v14
	s_delay_alu instid0(VALU_DEP_1) | instskip(NEXT) | instid1(VALU_DEP_1)
	v_and_b32_e32 v17, 0x7f800000, v16
	v_cmp_ne_u32_e32 vcc_lo, 0x7f800000, v17
                                        ; implicit-def: $vgpr17
	s_and_saveexec_b32 s3, vcc_lo
	s_delay_alu instid0(SALU_CYCLE_1)
	s_xor_b32 s3, exec_lo, s3
; %bb.13:
	v_bfe_u32 v17, v16, 16, 1
	s_delay_alu instid0(VALU_DEP_1)
	v_add3_u32 v17, v16, v17, 0x7fff
                                        ; implicit-def: $vgpr16
; %bb.14:
	s_and_not1_saveexec_b32 s3, s3
; %bb.15:
	v_and_b32_e32 v17, 0xffff, v16
	v_or_b32_e32 v18, 0x10000, v16
	s_delay_alu instid0(VALU_DEP_2) | instskip(NEXT) | instid1(VALU_DEP_2)
	v_cmp_eq_u32_e32 vcc_lo, 0, v17
	v_cndmask_b32_e32 v17, v18, v16, vcc_lo
; %bb.16:
	s_or_b32 exec_lo, exec_lo, s3
	s_delay_alu instid0(VALU_DEP_1) | instskip(SKIP_2) | instid1(VALU_DEP_2)
	v_lshrrev_b32_e32 v19, 16, v17
	v_and_b32_e32 v18, 0xffff0000, v17
	s_mov_b32 s3, exec_lo
                                        ; implicit-def: $vgpr20
	v_mov_b32_dpp v16, v19 row_shr:1 row_mask:0xf bank_mask:0xf
	s_delay_alu instid0(VALU_DEP_1) | instskip(NEXT) | instid1(VALU_DEP_1)
	v_lshlrev_b32_e32 v16, 16, v16
	v_add_f32_e32 v16, v18, v16
	s_delay_alu instid0(VALU_DEP_1) | instskip(NEXT) | instid1(VALU_DEP_1)
	v_and_b32_e32 v17, 0x7f800000, v16
	v_cmpx_ne_u32_e32 0x7f800000, v17
	s_xor_b32 s3, exec_lo, s3
; %bb.17:
	v_bfe_u32 v17, v16, 16, 1
	s_delay_alu instid0(VALU_DEP_1)
	v_add3_u32 v20, v16, v17, 0x7fff
                                        ; implicit-def: $vgpr16
; %bb.18:
	s_and_not1_saveexec_b32 s3, s3
; %bb.19:
	v_and_b32_e32 v17, 0xffff, v16
	v_or_b32_e32 v20, 0x10000, v16
	s_delay_alu instid0(VALU_DEP_2) | instskip(NEXT) | instid1(VALU_DEP_2)
	v_cmp_eq_u32_e32 vcc_lo, 0, v17
	v_cndmask_b32_e32 v20, v20, v16, vcc_lo
; %bb.20:
	s_or_b32 exec_lo, exec_lo, s3
	v_mbcnt_lo_u32_b32 v16, -1, 0
	s_delay_alu instid0(VALU_DEP_2) | instskip(SKIP_1) | instid1(VALU_DEP_3)
	v_lshrrev_b32_e32 v21, 16, v20
	v_and_b32_e32 v20, 0xffff0000, v20
	v_and_b32_e32 v17, 15, v16
	s_delay_alu instid0(VALU_DEP_1) | instskip(NEXT) | instid1(VALU_DEP_3)
	v_cmp_eq_u32_e32 vcc_lo, 0, v17
	v_dual_cndmask_b32 v18, v20, v18 :: v_dual_cndmask_b32 v19, v21, v19
	s_delay_alu instid0(VALU_DEP_1) | instskip(NEXT) | instid1(VALU_DEP_1)
	v_mov_b32_dpp v21, v19 row_shr:2 row_mask:0xf bank_mask:0xf
	v_lshlrev_b32_e32 v20, 16, v21
	s_delay_alu instid0(VALU_DEP_1) | instskip(NEXT) | instid1(VALU_DEP_1)
	v_add_f32_e32 v21, v18, v20
	v_and_b32_e32 v20, 0x7f800000, v21
	s_delay_alu instid0(VALU_DEP_1) | instskip(SKIP_1) | instid1(SALU_CYCLE_1)
	v_cmp_ne_u32_e32 vcc_lo, 0x7f800000, v20
                                        ; implicit-def: $vgpr20
	s_and_saveexec_b32 s3, vcc_lo
	s_xor_b32 s3, exec_lo, s3
; %bb.21:
	v_bfe_u32 v20, v21, 16, 1
	s_delay_alu instid0(VALU_DEP_1)
	v_add3_u32 v20, v21, v20, 0x7fff
                                        ; implicit-def: $vgpr21
; %bb.22:
	s_and_not1_saveexec_b32 s3, s3
; %bb.23:
	v_and_b32_e32 v20, 0xffff, v21
	v_or_b32_e32 v22, 0x10000, v21
	s_delay_alu instid0(VALU_DEP_2) | instskip(NEXT) | instid1(VALU_DEP_2)
	v_cmp_eq_u32_e32 vcc_lo, 0, v20
	v_cndmask_b32_e32 v20, v22, v21, vcc_lo
; %bb.24:
	s_or_b32 exec_lo, exec_lo, s3
	s_delay_alu instid0(VALU_DEP_1) | instskip(SKIP_1) | instid1(VALU_DEP_2)
	v_lshrrev_b32_e32 v21, 16, v20
	v_cmp_lt_u32_e32 vcc_lo, 1, v17
	v_dual_cndmask_b32 v19, v19, v21 :: v_dual_and_b32 v20, 0xffff0000, v20
	s_delay_alu instid0(VALU_DEP_1) | instskip(NEXT) | instid1(VALU_DEP_2)
	v_cndmask_b32_e32 v18, v18, v20, vcc_lo
	v_mov_b32_dpp v21, v19 row_shr:4 row_mask:0xf bank_mask:0xf
	s_delay_alu instid0(VALU_DEP_1) | instskip(NEXT) | instid1(VALU_DEP_1)
	v_lshlrev_b32_e32 v20, 16, v21
	v_add_f32_e32 v21, v18, v20
	s_delay_alu instid0(VALU_DEP_1) | instskip(NEXT) | instid1(VALU_DEP_1)
	v_and_b32_e32 v20, 0x7f800000, v21
	v_cmp_ne_u32_e32 vcc_lo, 0x7f800000, v20
                                        ; implicit-def: $vgpr20
	s_and_saveexec_b32 s3, vcc_lo
	s_delay_alu instid0(SALU_CYCLE_1)
	s_xor_b32 s3, exec_lo, s3
; %bb.25:
	v_bfe_u32 v20, v21, 16, 1
	s_delay_alu instid0(VALU_DEP_1)
	v_add3_u32 v20, v21, v20, 0x7fff
                                        ; implicit-def: $vgpr21
; %bb.26:
	s_and_not1_saveexec_b32 s3, s3
; %bb.27:
	v_and_b32_e32 v20, 0xffff, v21
	v_or_b32_e32 v22, 0x10000, v21
	s_delay_alu instid0(VALU_DEP_2) | instskip(NEXT) | instid1(VALU_DEP_2)
	v_cmp_eq_u32_e32 vcc_lo, 0, v20
	v_cndmask_b32_e32 v20, v22, v21, vcc_lo
; %bb.28:
	s_or_b32 exec_lo, exec_lo, s3
	s_delay_alu instid0(VALU_DEP_1) | instskip(SKIP_1) | instid1(VALU_DEP_2)
	v_lshrrev_b32_e32 v21, 16, v20
	v_cmp_lt_u32_e32 vcc_lo, 3, v17
	v_dual_cndmask_b32 v19, v19, v21 :: v_dual_and_b32 v20, 0xffff0000, v20
	s_delay_alu instid0(VALU_DEP_1) | instskip(NEXT) | instid1(VALU_DEP_2)
	v_cndmask_b32_e32 v18, v18, v20, vcc_lo
	v_mov_b32_dpp v21, v19 row_shr:8 row_mask:0xf bank_mask:0xf
	s_delay_alu instid0(VALU_DEP_1) | instskip(NEXT) | instid1(VALU_DEP_1)
	v_lshlrev_b32_e32 v20, 16, v21
	v_add_f32_e32 v18, v18, v20
	s_delay_alu instid0(VALU_DEP_1) | instskip(NEXT) | instid1(VALU_DEP_1)
	v_and_b32_e32 v20, 0x7f800000, v18
	v_cmp_ne_u32_e32 vcc_lo, 0x7f800000, v20
                                        ; implicit-def: $vgpr20
	s_and_saveexec_b32 s3, vcc_lo
	s_delay_alu instid0(SALU_CYCLE_1)
	s_xor_b32 s3, exec_lo, s3
; %bb.29:
	v_bfe_u32 v20, v18, 16, 1
	s_delay_alu instid0(VALU_DEP_1)
	v_add3_u32 v20, v18, v20, 0x7fff
                                        ; implicit-def: $vgpr18
; %bb.30:
	s_and_not1_saveexec_b32 s3, s3
; %bb.31:
	v_and_b32_e32 v20, 0xffff, v18
	v_or_b32_e32 v21, 0x10000, v18
	s_delay_alu instid0(VALU_DEP_2) | instskip(NEXT) | instid1(VALU_DEP_2)
	v_cmp_eq_u32_e32 vcc_lo, 0, v20
	v_cndmask_b32_e32 v20, v21, v18, vcc_lo
; %bb.32:
	s_or_b32 exec_lo, exec_lo, s3
	s_delay_alu instid0(VALU_DEP_1) | instskip(SKIP_2) | instid1(VALU_DEP_2)
	v_lshrrev_b32_e32 v18, 16, v20
	v_cmp_lt_u32_e32 vcc_lo, 7, v17
	s_mov_b32 s3, exec_lo
	v_cndmask_b32_e32 v17, v19, v18, vcc_lo
	v_cmpx_eq_u32_e32 15, v0
	s_cbranch_execz .LBB208_34
; %bb.33:
	v_mov_b32_e32 v18, 0
	ds_store_b16 v18, v17
.LBB208_34:
	s_or_b32 exec_lo, exec_lo, s3
	v_add_nc_u32_e32 v18, -1, v16
	s_load_b32 s0, s[0:1], 0x10
	v_and_b32_e32 v19, 16, v16
	s_mov_b32 s3, -1
	s_mov_b32 s1, exec_lo
	s_waitcnt vmcnt(0) lgkmcnt(0)
	s_waitcnt_vscnt null, 0x0
	; wave barrier
	s_waitcnt lgkmcnt(0)
	buffer_gl0_inv
	v_cmp_lt_i32_e32 vcc_lo, v18, v19
	v_cndmask_b32_e32 v16, v18, v16, vcc_lo
	s_delay_alu instid0(VALU_DEP_1)
	v_lshlrev_b32_e32 v16, 2, v16
	ds_bpermute_b32 v17, v16, v17
	v_mov_b32_e32 v16, s0
	v_cmpx_gt_u32_e32 32, v0
	s_cbranch_execz .LBB208_42
; %bb.35:
	v_mov_b32_e32 v16, 0
	s_lshl_b32 s4, s0, 16
                                        ; implicit-def: $sgpr5
	ds_load_u16 v16, v16
	s_waitcnt lgkmcnt(0)
	v_lshlrev_b32_e32 v16, 16, v16
	s_delay_alu instid0(VALU_DEP_1) | instskip(NEXT) | instid1(VALU_DEP_1)
	v_add_f32_e32 v16, s4, v16
	v_and_b32_e32 v18, 0x7f800000, v16
	v_readfirstlane_b32 s4, v16
	s_delay_alu instid0(VALU_DEP_2)
	v_cmp_eq_u32_e32 vcc_lo, 0x7f800000, v18
	s_cbranch_vccnz .LBB208_37
; %bb.36:
	s_delay_alu instid0(VALU_DEP_2) | instskip(NEXT) | instid1(SALU_CYCLE_1)
	s_bfe_u32 s3, s4, 0x10010
	s_add_i32 s3, s4, s3
	s_delay_alu instid0(SALU_CYCLE_1)
	s_add_i32 s5, s3, 0x7fff
	s_mov_b32 s3, 0
.LBB208_37:
	s_delay_alu instid0(SALU_CYCLE_1)
	s_and_not1_b32 vcc_lo, exec_lo, s3
	s_cbranch_vccnz .LBB208_39
; %bb.38:
	s_and_b32 s3, s4, 0xffff
	s_or_b32 s5, s4, 0x10000
	s_cmp_eq_u32 s3, 0
	s_cselect_b32 s5, s4, s5
.LBB208_39:
	s_delay_alu instid0(SALU_CYCLE_1)
	s_lshr_b32 s3, s5, 16
	s_mov_b32 s4, exec_lo
	v_cmpx_eq_u32_e32 0, v0
	s_cbranch_execz .LBB208_41
; %bb.40:
	v_mov_b32_e32 v16, 0
	v_mov_b32_e32 v18, s0
	ds_store_b16 v16, v18
.LBB208_41:
	s_or_b32 exec_lo, exec_lo, s4
	v_mov_b32_e32 v16, s3
.LBB208_42:
	s_or_b32 exec_lo, exec_lo, s1
	v_mov_b32_e32 v18, 0
	s_waitcnt vmcnt(0) lgkmcnt(0)
	s_waitcnt_vscnt null, 0x0
	; wave barrier
	s_waitcnt lgkmcnt(0)
	buffer_gl0_inv
	v_cmp_eq_u32_e32 vcc_lo, 0, v0
	s_mov_b32 s1, exec_lo
	ds_load_u16 v18, v18
	v_cmpx_ne_u32_e32 0, v0
	s_cbranch_execz .LBB208_48
; %bb.43:
	v_lshlrev_b32_e32 v0, 16, v17
	s_delay_alu instid0(VALU_DEP_1) | instskip(NEXT) | instid1(VALU_DEP_1)
	v_add_f32_e32 v0, v15, v0
	v_and_b32_e32 v15, 0x7f800000, v0
	s_delay_alu instid0(VALU_DEP_1) | instskip(NEXT) | instid1(VALU_DEP_1)
	v_cmp_ne_u32_e64 s0, 0x7f800000, v15
                                        ; implicit-def: $vgpr15
	s_and_saveexec_b32 s3, s0
	s_delay_alu instid0(SALU_CYCLE_1)
	s_xor_b32 s0, exec_lo, s3
; %bb.44:
	v_bfe_u32 v15, v0, 16, 1
	s_delay_alu instid0(VALU_DEP_1)
	v_add3_u32 v15, v0, v15, 0x7fff
                                        ; implicit-def: $vgpr0
; %bb.45:
	s_and_not1_saveexec_b32 s3, s0
; %bb.46:
	v_and_b32_e32 v15, 0xffff, v0
	v_or_b32_e32 v17, 0x10000, v0
	s_delay_alu instid0(VALU_DEP_2) | instskip(NEXT) | instid1(VALU_DEP_1)
	v_cmp_eq_u32_e64 s0, 0, v15
	v_cndmask_b32_e64 v15, v17, v0, s0
; %bb.47:
	s_or_b32 exec_lo, exec_lo, s3
	s_delay_alu instid0(VALU_DEP_1)
	v_and_b32_e32 v15, 0xffff0000, v15
.LBB208_48:
	s_or_b32 exec_lo, exec_lo, s1
	s_waitcnt lgkmcnt(0)
	v_lshlrev_b32_e32 v0, 16, v18
	s_delay_alu instid0(VALU_DEP_1) | instskip(NEXT) | instid1(VALU_DEP_1)
	v_add_f32_e32 v15, v15, v0
	v_and_b32_e32 v0, 0x7f800000, v15
	s_delay_alu instid0(VALU_DEP_1) | instskip(NEXT) | instid1(VALU_DEP_1)
	v_cmp_ne_u32_e64 s0, 0x7f800000, v0
                                        ; implicit-def: $vgpr0
	s_and_saveexec_b32 s1, s0
	s_delay_alu instid0(SALU_CYCLE_1)
	s_xor_b32 s0, exec_lo, s1
; %bb.49:
	v_bfe_u32 v0, v15, 16, 1
	s_delay_alu instid0(VALU_DEP_1)
	v_add3_u32 v0, v15, v0, 0x7fff
                                        ; implicit-def: $vgpr15
; %bb.50:
	s_and_not1_saveexec_b32 s1, s0
; %bb.51:
	v_and_b32_e32 v0, 0xffff, v15
	v_or_b32_e32 v17, 0x10000, v15
	s_delay_alu instid0(VALU_DEP_2) | instskip(NEXT) | instid1(VALU_DEP_1)
	v_cmp_eq_u32_e64 s0, 0, v0
	v_cndmask_b32_e64 v0, v17, v15, s0
; %bb.52:
	s_or_b32 exec_lo, exec_lo, s1
	s_delay_alu instid0(VALU_DEP_1) | instskip(NEXT) | instid1(VALU_DEP_1)
	v_and_b32_e32 v15, 0xffff0000, v0
	v_add_f32_e32 v15, v11, v15
	s_delay_alu instid0(VALU_DEP_1) | instskip(NEXT) | instid1(VALU_DEP_1)
	v_and_b32_e32 v11, 0x7f800000, v15
	v_cmp_ne_u32_e64 s0, 0x7f800000, v11
                                        ; implicit-def: $vgpr11
	s_delay_alu instid0(VALU_DEP_1) | instskip(NEXT) | instid1(SALU_CYCLE_1)
	s_and_saveexec_b32 s1, s0
	s_xor_b32 s0, exec_lo, s1
; %bb.53:
	v_bfe_u32 v11, v15, 16, 1
	s_delay_alu instid0(VALU_DEP_1)
	v_add3_u32 v11, v15, v11, 0x7fff
                                        ; implicit-def: $vgpr15
; %bb.54:
	s_and_not1_saveexec_b32 s1, s0
; %bb.55:
	v_and_b32_e32 v11, 0xffff, v15
	v_or_b32_e32 v17, 0x10000, v15
	s_delay_alu instid0(VALU_DEP_2) | instskip(NEXT) | instid1(VALU_DEP_1)
	v_cmp_eq_u32_e64 s0, 0, v11
	v_cndmask_b32_e64 v11, v17, v15, s0
; %bb.56:
	s_or_b32 exec_lo, exec_lo, s1
	s_delay_alu instid0(VALU_DEP_1) | instskip(NEXT) | instid1(VALU_DEP_1)
	v_and_b32_e32 v15, 0xffff0000, v11
	v_add_f32_e32 v15, v15, v12
	s_delay_alu instid0(VALU_DEP_1) | instskip(NEXT) | instid1(VALU_DEP_1)
	v_and_b32_e32 v12, 0x7f800000, v15
	v_cmp_ne_u32_e64 s0, 0x7f800000, v12
                                        ; implicit-def: $vgpr12
	s_delay_alu instid0(VALU_DEP_1) | instskip(NEXT) | instid1(SALU_CYCLE_1)
	s_and_saveexec_b32 s1, s0
	s_xor_b32 s0, exec_lo, s1
; %bb.57:
	v_bfe_u32 v12, v15, 16, 1
	s_delay_alu instid0(VALU_DEP_1)
	v_add3_u32 v12, v15, v12, 0x7fff
                                        ; implicit-def: $vgpr15
; %bb.58:
	s_and_not1_saveexec_b32 s1, s0
; %bb.59:
	v_and_b32_e32 v12, 0xffff, v15
	v_or_b32_e32 v17, 0x10000, v15
	s_delay_alu instid0(VALU_DEP_2) | instskip(NEXT) | instid1(VALU_DEP_1)
	v_cmp_eq_u32_e64 s0, 0, v12
	v_cndmask_b32_e64 v12, v17, v15, s0
; %bb.60:
	s_or_b32 exec_lo, exec_lo, s1
	s_delay_alu instid0(VALU_DEP_1) | instskip(NEXT) | instid1(VALU_DEP_1)
	v_and_b32_e32 v15, 0xffff0000, v12
	v_add_f32_e32 v15, v15, v13
	s_delay_alu instid0(VALU_DEP_1) | instskip(NEXT) | instid1(VALU_DEP_1)
	v_and_b32_e32 v13, 0x7f800000, v15
	v_cmp_ne_u32_e64 s0, 0x7f800000, v13
                                        ; implicit-def: $vgpr13
	s_delay_alu instid0(VALU_DEP_1) | instskip(NEXT) | instid1(SALU_CYCLE_1)
	s_and_saveexec_b32 s1, s0
	s_xor_b32 s0, exec_lo, s1
; %bb.61:
	v_bfe_u32 v13, v15, 16, 1
	s_delay_alu instid0(VALU_DEP_1)
	v_add3_u32 v13, v15, v13, 0x7fff
                                        ; implicit-def: $vgpr15
; %bb.62:
	s_and_not1_saveexec_b32 s1, s0
; %bb.63:
	v_and_b32_e32 v13, 0xffff, v15
	v_or_b32_e32 v17, 0x10000, v15
	s_delay_alu instid0(VALU_DEP_2) | instskip(NEXT) | instid1(VALU_DEP_1)
	v_cmp_eq_u32_e64 s0, 0, v13
	v_cndmask_b32_e64 v13, v17, v15, s0
; %bb.64:
	s_or_b32 exec_lo, exec_lo, s1
	s_delay_alu instid0(VALU_DEP_1) | instskip(NEXT) | instid1(VALU_DEP_1)
	v_and_b32_e32 v15, 0xffff0000, v13
	v_add_f32_e32 v15, v15, v14
	s_delay_alu instid0(VALU_DEP_1) | instskip(NEXT) | instid1(VALU_DEP_1)
	v_and_b32_e32 v14, 0x7f800000, v15
	v_cmp_ne_u32_e64 s0, 0x7f800000, v14
                                        ; implicit-def: $vgpr14
	s_delay_alu instid0(VALU_DEP_1) | instskip(NEXT) | instid1(SALU_CYCLE_1)
	s_and_saveexec_b32 s1, s0
	s_xor_b32 s0, exec_lo, s1
; %bb.65:
	v_bfe_u32 v14, v15, 16, 1
	s_delay_alu instid0(VALU_DEP_1)
	v_add3_u32 v14, v15, v14, 0x7fff
                                        ; implicit-def: $vgpr15
; %bb.66:
	s_and_not1_saveexec_b32 s1, s0
; %bb.67:
	v_and_b32_e32 v14, 0xffff, v15
	v_or_b32_e32 v17, 0x10000, v15
	s_delay_alu instid0(VALU_DEP_2) | instskip(NEXT) | instid1(VALU_DEP_1)
	v_cmp_eq_u32_e64 s0, 0, v14
	v_cndmask_b32_e64 v14, v17, v15, s0
; %bb.68:
	s_or_b32 exec_lo, exec_lo, s1
	s_clause 0x4
	global_store_d16_hi_b16 v[3:4], v0, off
	global_store_d16_hi_b16 v[7:8], v11, off
	;; [unrolled: 1-line block ×5, first 2 shown]
	s_and_saveexec_b32 s0, vcc_lo
	s_cbranch_execz .LBB208_70
; %bb.69:
	s_mov_b32 s3, 0
	v_mov_b32_e32 v0, 0
	s_lshl_b64 s[0:1], s[2:3], 1
	s_delay_alu instid0(SALU_CYCLE_1)
	s_add_u32 s0, s6, s0
	s_addc_u32 s1, s7, s1
	global_store_b16 v0, v16, s[0:1]
.LBB208_70:
	s_nop 0
	s_sendmsg sendmsg(MSG_DEALLOC_VGPRS)
	s_endpgm
	.section	.rodata,"a",@progbits
	.p2align	6, 0x0
	.amdhsa_kernel _Z43inclusive_scan_array_prefix_callback_kernelILj16ELj5ELN6hipcub18BlockScanAlgorithmE1E12hip_bfloat16EvPT2_S4_S3_
		.amdhsa_group_segment_fixed_size 2
		.amdhsa_private_segment_fixed_size 0
		.amdhsa_kernarg_size 20
		.amdhsa_user_sgpr_count 15
		.amdhsa_user_sgpr_dispatch_ptr 0
		.amdhsa_user_sgpr_queue_ptr 0
		.amdhsa_user_sgpr_kernarg_segment_ptr 1
		.amdhsa_user_sgpr_dispatch_id 0
		.amdhsa_user_sgpr_private_segment_size 0
		.amdhsa_wavefront_size32 1
		.amdhsa_uses_dynamic_stack 0
		.amdhsa_enable_private_segment 0
		.amdhsa_system_sgpr_workgroup_id_x 1
		.amdhsa_system_sgpr_workgroup_id_y 0
		.amdhsa_system_sgpr_workgroup_id_z 0
		.amdhsa_system_sgpr_workgroup_info 0
		.amdhsa_system_vgpr_workitem_id 0
		.amdhsa_next_free_vgpr 23
		.amdhsa_next_free_sgpr 16
		.amdhsa_reserve_vcc 1
		.amdhsa_float_round_mode_32 0
		.amdhsa_float_round_mode_16_64 0
		.amdhsa_float_denorm_mode_32 3
		.amdhsa_float_denorm_mode_16_64 3
		.amdhsa_dx10_clamp 1
		.amdhsa_ieee_mode 1
		.amdhsa_fp16_overflow 0
		.amdhsa_workgroup_processor_mode 1
		.amdhsa_memory_ordered 1
		.amdhsa_forward_progress 0
		.amdhsa_shared_vgpr_count 0
		.amdhsa_exception_fp_ieee_invalid_op 0
		.amdhsa_exception_fp_denorm_src 0
		.amdhsa_exception_fp_ieee_div_zero 0
		.amdhsa_exception_fp_ieee_overflow 0
		.amdhsa_exception_fp_ieee_underflow 0
		.amdhsa_exception_fp_ieee_inexact 0
		.amdhsa_exception_int_div_zero 0
	.end_amdhsa_kernel
	.section	.text._Z43inclusive_scan_array_prefix_callback_kernelILj16ELj5ELN6hipcub18BlockScanAlgorithmE1E12hip_bfloat16EvPT2_S4_S3_,"axG",@progbits,_Z43inclusive_scan_array_prefix_callback_kernelILj16ELj5ELN6hipcub18BlockScanAlgorithmE1E12hip_bfloat16EvPT2_S4_S3_,comdat
.Lfunc_end208:
	.size	_Z43inclusive_scan_array_prefix_callback_kernelILj16ELj5ELN6hipcub18BlockScanAlgorithmE1E12hip_bfloat16EvPT2_S4_S3_, .Lfunc_end208-_Z43inclusive_scan_array_prefix_callback_kernelILj16ELj5ELN6hipcub18BlockScanAlgorithmE1E12hip_bfloat16EvPT2_S4_S3_
                                        ; -- End function
	.section	.AMDGPU.csdata,"",@progbits
; Kernel info:
; codeLenInByte = 2424
; NumSgprs: 18
; NumVgprs: 23
; ScratchSize: 0
; MemoryBound: 0
; FloatMode: 240
; IeeeMode: 1
; LDSByteSize: 2 bytes/workgroup (compile time only)
; SGPRBlocks: 2
; VGPRBlocks: 2
; NumSGPRsForWavesPerEU: 18
; NumVGPRsForWavesPerEU: 23
; Occupancy: 16
; WaveLimiterHint : 0
; COMPUTE_PGM_RSRC2:SCRATCH_EN: 0
; COMPUTE_PGM_RSRC2:USER_SGPR: 15
; COMPUTE_PGM_RSRC2:TRAP_HANDLER: 0
; COMPUTE_PGM_RSRC2:TGID_X_EN: 1
; COMPUTE_PGM_RSRC2:TGID_Y_EN: 0
; COMPUTE_PGM_RSRC2:TGID_Z_EN: 0
; COMPUTE_PGM_RSRC2:TIDIG_COMP_CNT: 0
	.section	.text._Z43inclusive_scan_array_prefix_callback_kernelILj65ELj5ELN6hipcub18BlockScanAlgorithmE1E6__halfEvPT2_S4_S3_,"axG",@progbits,_Z43inclusive_scan_array_prefix_callback_kernelILj65ELj5ELN6hipcub18BlockScanAlgorithmE1E6__halfEvPT2_S4_S3_,comdat
	.protected	_Z43inclusive_scan_array_prefix_callback_kernelILj65ELj5ELN6hipcub18BlockScanAlgorithmE1E6__halfEvPT2_S4_S3_ ; -- Begin function _Z43inclusive_scan_array_prefix_callback_kernelILj65ELj5ELN6hipcub18BlockScanAlgorithmE1E6__halfEvPT2_S4_S3_
	.globl	_Z43inclusive_scan_array_prefix_callback_kernelILj65ELj5ELN6hipcub18BlockScanAlgorithmE1E6__halfEvPT2_S4_S3_
	.p2align	8
	.type	_Z43inclusive_scan_array_prefix_callback_kernelILj65ELj5ELN6hipcub18BlockScanAlgorithmE1E6__halfEvPT2_S4_S3_,@function
_Z43inclusive_scan_array_prefix_callback_kernelILj65ELj5ELN6hipcub18BlockScanAlgorithmE1E6__halfEvPT2_S4_S3_: ; @_Z43inclusive_scan_array_prefix_callback_kernelILj65ELj5ELN6hipcub18BlockScanAlgorithmE1E6__halfEvPT2_S4_S3_
; %bb.0:
	s_mov_b32 s2, s15
	s_clause 0x1
	s_load_b128 s[4:7], s[0:1], 0x0
	s_load_b32 s3, s[0:1], 0x10
	v_mad_u64_u32 v[1:2], null, 0x41, s2, v[0:1]
	v_lshlrev_b32_e32 v17, 1, v0
	s_delay_alu instid0(VALU_DEP_2) | instskip(NEXT) | instid1(VALU_DEP_1)
	v_lshl_add_u32 v1, v1, 2, v1
	v_dual_mov_b32 v2, 0 :: v_dual_add_nc_u32 v3, 1, v1
	s_delay_alu instid0(VALU_DEP_1) | instskip(SKIP_3) | instid1(VALU_DEP_4)
	v_dual_mov_b32 v4, v2 :: v_dual_add_nc_u32 v5, 2, v1
	v_lshlrev_b64 v[9:10], 1, v[1:2]
	v_dual_mov_b32 v6, v2 :: v_dual_add_nc_u32 v7, 3, v1
	v_dual_mov_b32 v8, v2 :: v_dual_add_nc_u32 v1, 4, v1
	v_lshlrev_b64 v[3:4], 1, v[3:4]
	s_delay_alu instid0(VALU_DEP_3) | instskip(NEXT) | instid1(VALU_DEP_3)
	v_lshlrev_b64 v[5:6], 1, v[5:6]
	v_lshlrev_b64 v[7:8], 1, v[7:8]
	s_delay_alu instid0(VALU_DEP_4)
	v_lshlrev_b64 v[14:15], 1, v[1:2]
	s_waitcnt lgkmcnt(0)
	v_add_co_u32 v1, vcc_lo, s4, v9
	v_add_co_ci_u32_e32 v2, vcc_lo, s5, v10, vcc_lo
	v_add_co_u32 v3, vcc_lo, s4, v3
	v_add_co_ci_u32_e32 v4, vcc_lo, s5, v4, vcc_lo
	;; [unrolled: 2-line block ×3, first 2 shown]
	s_clause 0x1
	global_load_u16 v12, v[1:2], off
	global_load_u16 v11, v[3:4], off
	v_add_co_u32 v7, vcc_lo, s4, v7
	v_add_co_ci_u32_e32 v8, vcc_lo, s5, v8, vcc_lo
	global_load_u16 v13, v[5:6], off
	v_add_co_u32 v9, vcc_lo, s4, v14
	v_add_co_ci_u32_e32 v10, vcc_lo, s5, v15, vcc_lo
	s_clause 0x1
	global_load_u16 v14, v[7:8], off
	global_load_u16 v15, v[9:10], off
	v_cmp_gt_u32_e32 vcc_lo, 32, v0
	s_waitcnt vmcnt(3)
	v_add_f16_e32 v16, v12, v11
	s_waitcnt vmcnt(2)
	s_delay_alu instid0(VALU_DEP_1) | instskip(SKIP_1) | instid1(VALU_DEP_1)
	v_add_f16_e32 v16, v16, v13
	s_waitcnt vmcnt(1)
	v_add_f16_e32 v16, v16, v14
	s_waitcnt vmcnt(0)
	s_delay_alu instid0(VALU_DEP_1)
	v_add_f16_e32 v16, v16, v15
	ds_store_b16 v17, v16
	s_waitcnt lgkmcnt(0)
	s_barrier
	buffer_gl0_inv
	s_and_saveexec_b32 s1, vcc_lo
	s_cbranch_execz .LBB209_2
; %bb.1:
	v_mul_u32_u24_e32 v18, 3, v0
	v_mbcnt_lo_u32_b32 v24, -1, 0
	s_delay_alu instid0(VALU_DEP_2) | instskip(NEXT) | instid1(VALU_DEP_2)
	v_lshlrev_b32_e32 v18, 1, v18
	v_and_b32_e32 v25, 15, v24
	v_add_nc_u32_e32 v26, -1, v24
	ds_load_u16 v19, v18
	ds_load_u16 v20, v18 offset:2
	ds_load_u16 v21, v18 offset:4
	v_cmp_eq_u32_e64 s0, 0, v25
	s_waitcnt lgkmcnt(1)
	v_add_f16_e32 v22, v19, v20
	s_waitcnt lgkmcnt(0)
	s_delay_alu instid0(VALU_DEP_1) | instskip(NEXT) | instid1(VALU_DEP_1)
	v_add_f16_e32 v22, v22, v21
	v_and_b32_e32 v23, 0xffff, v22
	s_delay_alu instid0(VALU_DEP_1) | instskip(NEXT) | instid1(VALU_DEP_1)
	v_mov_b32_dpp v23, v23 row_shr:1 row_mask:0xf bank_mask:0xf
	v_add_f16_e32 v23, v22, v23
	s_delay_alu instid0(VALU_DEP_1) | instskip(SKIP_1) | instid1(VALU_DEP_2)
	v_cndmask_b32_e64 v22, v23, v22, s0
	v_cmp_lt_u32_e64 s0, 1, v25
	v_and_b32_e32 v23, 0xffff, v22
	s_delay_alu instid0(VALU_DEP_1) | instskip(NEXT) | instid1(VALU_DEP_1)
	v_mov_b32_dpp v23, v23 row_shr:2 row_mask:0xf bank_mask:0xf
	v_add_f16_e32 v23, v22, v23
	s_delay_alu instid0(VALU_DEP_1) | instskip(SKIP_1) | instid1(VALU_DEP_2)
	v_cndmask_b32_e64 v22, v22, v23, s0
	v_cmp_lt_u32_e64 s0, 3, v25
	v_and_b32_e32 v23, 0xffff, v22
	s_delay_alu instid0(VALU_DEP_1) | instskip(NEXT) | instid1(VALU_DEP_1)
	v_mov_b32_dpp v23, v23 row_shr:4 row_mask:0xf bank_mask:0xf
	v_add_f16_e32 v23, v22, v23
	s_delay_alu instid0(VALU_DEP_1) | instskip(SKIP_2) | instid1(VALU_DEP_3)
	v_cndmask_b32_e64 v22, v22, v23, s0
	v_cmp_lt_u32_e64 s0, 7, v25
	v_and_b32_e32 v25, 16, v24
	v_and_b32_e32 v23, 0xffff, v22
	s_delay_alu instid0(VALU_DEP_1) | instskip(NEXT) | instid1(VALU_DEP_1)
	v_mov_b32_dpp v23, v23 row_shr:8 row_mask:0xf bank_mask:0xf
	v_add_f16_e32 v23, v22, v23
	s_delay_alu instid0(VALU_DEP_1) | instskip(SKIP_1) | instid1(VALU_DEP_2)
	v_cndmask_b32_e64 v22, v22, v23, s0
	v_cmp_eq_u32_e64 s0, 0, v25
	v_and_b32_e32 v23, 0xffff, v22
	ds_swizzle_b32 v23, v23 offset:swizzle(BROADCAST,32,15)
	s_waitcnt lgkmcnt(0)
	v_add_f16_e32 v23, v22, v23
	s_delay_alu instid0(VALU_DEP_1) | instskip(SKIP_1) | instid1(VALU_DEP_2)
	v_cndmask_b32_e64 v22, v23, v22, s0
	v_cmp_gt_i32_e64 s0, 0, v26
	v_and_b32_e32 v22, 0xffff, v22
	s_delay_alu instid0(VALU_DEP_2) | instskip(SKIP_1) | instid1(VALU_DEP_2)
	v_cndmask_b32_e64 v23, v26, v24, s0
	v_cmp_eq_u32_e64 s0, 0, v0
	v_lshlrev_b32_e32 v23, 2, v23
	ds_bpermute_b32 v22, v23, v22
	s_waitcnt lgkmcnt(0)
	v_add_f16_e32 v19, v19, v22
	s_delay_alu instid0(VALU_DEP_1) | instskip(NEXT) | instid1(VALU_DEP_1)
	v_cndmask_b32_e64 v19, v19, v16, s0
	v_add_f16_e32 v20, v20, v19
	s_delay_alu instid0(VALU_DEP_1)
	v_add_f16_e32 v21, v21, v20
	ds_store_b16 v18, v19
	ds_store_b16 v18, v20 offset:2
	ds_store_b16 v18, v21 offset:4
.LBB209_2:
	s_or_b32 exec_lo, exec_lo, s1
	v_cmp_eq_u32_e64 s0, 0, v0
	s_mov_b32 s4, exec_lo
	s_waitcnt lgkmcnt(0)
	s_barrier
	buffer_gl0_inv
	v_cmpx_ne_u32_e32 0, v0
	s_cbranch_execz .LBB209_4
; %bb.3:
	v_add_nc_u32_e32 v0, -2, v17
	ds_load_u16 v16, v0
.LBB209_4:
	s_or_b32 exec_lo, exec_lo, s4
	v_mov_b32_e32 v0, s3
	s_and_saveexec_b32 s1, vcc_lo
	s_cbranch_execz .LBB209_8
; %bb.5:
	v_mov_b32_e32 v17, 0
	ds_load_u16 v0, v17 offset:128
	s_and_saveexec_b32 s4, s0
	s_cbranch_execz .LBB209_7
; %bb.6:
	v_mov_b32_e32 v18, s3
	ds_store_b16 v17, v18
.LBB209_7:
	s_or_b32 exec_lo, exec_lo, s4
	s_waitcnt lgkmcnt(0)
	v_add_f16_e32 v0, s3, v0
.LBB209_8:
	s_or_b32 exec_lo, exec_lo, s1
	v_mov_b32_e32 v17, 0
	s_waitcnt lgkmcnt(0)
	s_barrier
	buffer_gl0_inv
	v_add_f16_e32 v16, v16, v12
	ds_load_u16 v18, v17
	v_cndmask_b32_e64 v12, v16, v12, s0
	s_waitcnt lgkmcnt(0)
	s_delay_alu instid0(VALU_DEP_1) | instskip(NEXT) | instid1(VALU_DEP_1)
	v_add_f16_e32 v12, v18, v12
	v_add_f16_e32 v11, v11, v12
	s_delay_alu instid0(VALU_DEP_1) | instskip(NEXT) | instid1(VALU_DEP_1)
	v_add_f16_e32 v13, v11, v13
	v_add_f16_e32 v14, v13, v14
	s_delay_alu instid0(VALU_DEP_1)
	v_add_f16_e32 v15, v14, v15
	s_clause 0x4
	global_store_b16 v[1:2], v12, off
	global_store_b16 v[3:4], v11, off
	global_store_b16 v[5:6], v13, off
	global_store_b16 v[7:8], v14, off
	global_store_b16 v[9:10], v15, off
	s_and_saveexec_b32 s1, s0
	s_cbranch_execz .LBB209_10
; %bb.9:
	s_mov_b32 s3, 0
	s_delay_alu instid0(SALU_CYCLE_1) | instskip(NEXT) | instid1(SALU_CYCLE_1)
	s_lshl_b64 s[0:1], s[2:3], 1
	s_add_u32 s0, s6, s0
	s_addc_u32 s1, s7, s1
	global_store_b16 v17, v0, s[0:1]
.LBB209_10:
	s_nop 0
	s_sendmsg sendmsg(MSG_DEALLOC_VGPRS)
	s_endpgm
	.section	.rodata,"a",@progbits
	.p2align	6, 0x0
	.amdhsa_kernel _Z43inclusive_scan_array_prefix_callback_kernelILj65ELj5ELN6hipcub18BlockScanAlgorithmE1E6__halfEvPT2_S4_S3_
		.amdhsa_group_segment_fixed_size 192
		.amdhsa_private_segment_fixed_size 0
		.amdhsa_kernarg_size 20
		.amdhsa_user_sgpr_count 15
		.amdhsa_user_sgpr_dispatch_ptr 0
		.amdhsa_user_sgpr_queue_ptr 0
		.amdhsa_user_sgpr_kernarg_segment_ptr 1
		.amdhsa_user_sgpr_dispatch_id 0
		.amdhsa_user_sgpr_private_segment_size 0
		.amdhsa_wavefront_size32 1
		.amdhsa_uses_dynamic_stack 0
		.amdhsa_enable_private_segment 0
		.amdhsa_system_sgpr_workgroup_id_x 1
		.amdhsa_system_sgpr_workgroup_id_y 0
		.amdhsa_system_sgpr_workgroup_id_z 0
		.amdhsa_system_sgpr_workgroup_info 0
		.amdhsa_system_vgpr_workitem_id 0
		.amdhsa_next_free_vgpr 27
		.amdhsa_next_free_sgpr 16
		.amdhsa_reserve_vcc 1
		.amdhsa_float_round_mode_32 0
		.amdhsa_float_round_mode_16_64 0
		.amdhsa_float_denorm_mode_32 3
		.amdhsa_float_denorm_mode_16_64 3
		.amdhsa_dx10_clamp 1
		.amdhsa_ieee_mode 1
		.amdhsa_fp16_overflow 0
		.amdhsa_workgroup_processor_mode 1
		.amdhsa_memory_ordered 1
		.amdhsa_forward_progress 0
		.amdhsa_shared_vgpr_count 0
		.amdhsa_exception_fp_ieee_invalid_op 0
		.amdhsa_exception_fp_denorm_src 0
		.amdhsa_exception_fp_ieee_div_zero 0
		.amdhsa_exception_fp_ieee_overflow 0
		.amdhsa_exception_fp_ieee_underflow 0
		.amdhsa_exception_fp_ieee_inexact 0
		.amdhsa_exception_int_div_zero 0
	.end_amdhsa_kernel
	.section	.text._Z43inclusive_scan_array_prefix_callback_kernelILj65ELj5ELN6hipcub18BlockScanAlgorithmE1E6__halfEvPT2_S4_S3_,"axG",@progbits,_Z43inclusive_scan_array_prefix_callback_kernelILj65ELj5ELN6hipcub18BlockScanAlgorithmE1E6__halfEvPT2_S4_S3_,comdat
.Lfunc_end209:
	.size	_Z43inclusive_scan_array_prefix_callback_kernelILj65ELj5ELN6hipcub18BlockScanAlgorithmE1E6__halfEvPT2_S4_S3_, .Lfunc_end209-_Z43inclusive_scan_array_prefix_callback_kernelILj65ELj5ELN6hipcub18BlockScanAlgorithmE1E6__halfEvPT2_S4_S3_
                                        ; -- End function
	.section	.AMDGPU.csdata,"",@progbits
; Kernel info:
; codeLenInByte = 1008
; NumSgprs: 18
; NumVgprs: 27
; ScratchSize: 0
; MemoryBound: 0
; FloatMode: 240
; IeeeMode: 1
; LDSByteSize: 192 bytes/workgroup (compile time only)
; SGPRBlocks: 2
; VGPRBlocks: 3
; NumSGPRsForWavesPerEU: 18
; NumVGPRsForWavesPerEU: 27
; Occupancy: 16
; WaveLimiterHint : 0
; COMPUTE_PGM_RSRC2:SCRATCH_EN: 0
; COMPUTE_PGM_RSRC2:USER_SGPR: 15
; COMPUTE_PGM_RSRC2:TRAP_HANDLER: 0
; COMPUTE_PGM_RSRC2:TGID_X_EN: 1
; COMPUTE_PGM_RSRC2:TGID_Y_EN: 0
; COMPUTE_PGM_RSRC2:TGID_Z_EN: 0
; COMPUTE_PGM_RSRC2:TIDIG_COMP_CNT: 0
	.section	.text._Z43inclusive_scan_array_prefix_callback_kernelILj255ELj15ELN6hipcub18BlockScanAlgorithmE1EfEvPT2_S3_S2_,"axG",@progbits,_Z43inclusive_scan_array_prefix_callback_kernelILj255ELj15ELN6hipcub18BlockScanAlgorithmE1EfEvPT2_S3_S2_,comdat
	.protected	_Z43inclusive_scan_array_prefix_callback_kernelILj255ELj15ELN6hipcub18BlockScanAlgorithmE1EfEvPT2_S3_S2_ ; -- Begin function _Z43inclusive_scan_array_prefix_callback_kernelILj255ELj15ELN6hipcub18BlockScanAlgorithmE1EfEvPT2_S3_S2_
	.globl	_Z43inclusive_scan_array_prefix_callback_kernelILj255ELj15ELN6hipcub18BlockScanAlgorithmE1EfEvPT2_S3_S2_
	.p2align	8
	.type	_Z43inclusive_scan_array_prefix_callback_kernelILj255ELj15ELN6hipcub18BlockScanAlgorithmE1EfEvPT2_S3_S2_,@function
_Z43inclusive_scan_array_prefix_callback_kernelILj255ELj15ELN6hipcub18BlockScanAlgorithmE1EfEvPT2_S3_S2_: ; @_Z43inclusive_scan_array_prefix_callback_kernelILj255ELj15ELN6hipcub18BlockScanAlgorithmE1EfEvPT2_S3_S2_
; %bb.0:
	s_mov_b32 s8, s15
	s_load_b128 s[4:7], s[0:1], 0x0
	v_mad_u64_u32 v[1:2], null, 0xff, s8, v[0:1]
	v_lshrrev_b32_e32 v47, 5, v0
	s_delay_alu instid0(VALU_DEP_1) | instskip(NEXT) | instid1(VALU_DEP_3)
	v_add_lshl_u32 v47, v47, v0, 2
	v_mul_lo_u32 v27, v1, 15
	s_delay_alu instid0(VALU_DEP_1) | instskip(NEXT) | instid1(VALU_DEP_1)
	v_dual_mov_b32 v28, 0 :: v_dual_add_nc_u32 v1, 1, v27
	v_dual_mov_b32 v2, v28 :: v_dual_add_nc_u32 v3, 2, v27
	v_lshlrev_b64 v[9:10], 2, v[27:28]
	v_dual_mov_b32 v4, v28 :: v_dual_add_nc_u32 v5, 3, v27
	s_delay_alu instid0(VALU_DEP_3) | instskip(SKIP_1) | instid1(VALU_DEP_3)
	v_lshlrev_b64 v[11:12], 2, v[1:2]
	v_dual_mov_b32 v6, v28 :: v_dual_add_nc_u32 v7, 4, v27
	v_lshlrev_b64 v[13:14], 2, v[3:4]
	s_waitcnt lgkmcnt(0)
	v_add_co_u32 v1, vcc_lo, s4, v9
	v_mov_b32_e32 v8, v28
	v_add_co_ci_u32_e32 v2, vcc_lo, s5, v10, vcc_lo
	v_lshlrev_b64 v[15:16], 2, v[5:6]
	v_add_co_u32 v3, vcc_lo, s4, v11
	v_add_nc_u32_e32 v11, 5, v27
	v_add_co_ci_u32_e32 v4, vcc_lo, s5, v12, vcc_lo
	v_lshlrev_b64 v[17:18], 2, v[7:8]
	v_add_co_u32 v5, vcc_lo, s4, v13
	v_add_co_ci_u32_e32 v6, vcc_lo, s5, v14, vcc_lo
	v_add_co_u32 v7, vcc_lo, s4, v15
	v_add_co_ci_u32_e32 v8, vcc_lo, s5, v16, vcc_lo
	v_add_co_u32 v9, vcc_lo, s4, v17
	v_dual_mov_b32 v12, v28 :: v_dual_add_nc_u32 v13, 6, v27
	v_add_co_ci_u32_e32 v10, vcc_lo, s5, v18, vcc_lo
	s_clause 0x4
	global_load_b32 v35, v[1:2], off
	global_load_b32 v31, v[3:4], off
	;; [unrolled: 1-line block ×5, first 2 shown]
	v_dual_mov_b32 v14, v28 :: v_dual_add_nc_u32 v15, 7, v27
	v_lshlrev_b64 v[11:12], 2, v[11:12]
	v_dual_mov_b32 v16, v28 :: v_dual_add_nc_u32 v17, 8, v27
	s_delay_alu instid0(VALU_DEP_3) | instskip(SKIP_1) | instid1(VALU_DEP_4)
	v_lshlrev_b64 v[13:14], 2, v[13:14]
	v_dual_mov_b32 v18, v28 :: v_dual_add_nc_u32 v19, 9, v27
	v_add_co_u32 v11, vcc_lo, s4, v11
	s_delay_alu instid0(VALU_DEP_4)
	v_lshlrev_b64 v[15:16], 2, v[15:16]
	v_add_co_ci_u32_e32 v12, vcc_lo, s5, v12, vcc_lo
	v_add_co_u32 v13, vcc_lo, s4, v13
	v_add_co_ci_u32_e32 v14, vcc_lo, s5, v14, vcc_lo
	v_dual_mov_b32 v20, v28 :: v_dual_add_nc_u32 v21, 10, v27
	v_add_co_u32 v15, vcc_lo, s4, v15
	global_load_b32 v36, v[11:12], off
	v_lshlrev_b64 v[17:18], 2, v[17:18]
	v_add_co_ci_u32_e32 v16, vcc_lo, s5, v16, vcc_lo
	v_lshlrev_b64 v[19:20], 2, v[19:20]
	s_clause 0x1
	global_load_b32 v37, v[13:14], off
	global_load_b32 v38, v[15:16], off
	v_add_co_u32 v17, vcc_lo, s4, v17
	v_dual_mov_b32 v22, v28 :: v_dual_add_nc_u32 v23, 11, v27
	v_add_co_ci_u32_e32 v18, vcc_lo, s5, v18, vcc_lo
	v_add_co_u32 v19, vcc_lo, s4, v19
	v_dual_mov_b32 v24, v28 :: v_dual_add_nc_u32 v25, 12, v27
	v_add_co_ci_u32_e32 v20, vcc_lo, s5, v20, vcc_lo
	v_lshlrev_b64 v[21:22], 2, v[21:22]
	v_dual_mov_b32 v26, v28 :: v_dual_add_nc_u32 v29, 13, v27
	s_clause 0x1
	global_load_b32 v39, v[17:18], off
	global_load_b32 v40, v[19:20], off
	v_lshlrev_b64 v[23:24], 2, v[23:24]
	v_dual_mov_b32 v30, v28 :: v_dual_add_nc_u32 v27, 14, v27
	v_add_co_u32 v21, vcc_lo, s4, v21
	v_lshlrev_b64 v[25:26], 2, v[25:26]
	v_add_co_ci_u32_e32 v22, vcc_lo, s5, v22, vcc_lo
	v_add_co_u32 v23, vcc_lo, s4, v23
	v_add_co_ci_u32_e32 v24, vcc_lo, s5, v24, vcc_lo
	s_delay_alu instid0(VALU_DEP_4)
	v_add_co_u32 v25, vcc_lo, s4, v25
	global_load_b32 v41, v[21:22], off
	v_lshlrev_b64 v[29:30], 2, v[29:30]
	v_add_co_ci_u32_e32 v26, vcc_lo, s5, v26, vcc_lo
	v_lshlrev_b64 v[44:45], 2, v[27:28]
	s_clause 0x1
	global_load_b32 v42, v[23:24], off
	global_load_b32 v43, v[25:26], off
	v_add_co_u32 v27, vcc_lo, s4, v29
	v_add_co_ci_u32_e32 v28, vcc_lo, s5, v30, vcc_lo
	v_add_co_u32 v29, vcc_lo, s4, v44
	v_add_co_ci_u32_e32 v30, vcc_lo, s5, v45, vcc_lo
	s_clause 0x1
	global_load_b32 v45, v[27:28], off
	global_load_b32 v44, v[29:30], off
	v_cmp_gt_u32_e32 vcc_lo, 32, v0
	s_waitcnt vmcnt(13)
	v_add_f32_e32 v46, v35, v31
	s_waitcnt vmcnt(12)
	s_delay_alu instid0(VALU_DEP_1) | instskip(SKIP_1) | instid1(VALU_DEP_1)
	v_add_f32_e32 v46, v32, v46
	s_waitcnt vmcnt(11)
	v_add_f32_e32 v46, v33, v46
	s_waitcnt vmcnt(10)
	s_delay_alu instid0(VALU_DEP_1) | instskip(SKIP_1) | instid1(VALU_DEP_1)
	v_add_f32_e32 v46, v34, v46
	;; [unrolled: 5-line block ×6, first 2 shown]
	s_waitcnt vmcnt(1)
	v_add_f32_e32 v46, v45, v46
	s_waitcnt vmcnt(0)
	s_delay_alu instid0(VALU_DEP_1)
	v_add_f32_e32 v46, v44, v46
	ds_store_b32 v47, v46
	s_waitcnt lgkmcnt(0)
	s_barrier
	buffer_gl0_inv
	s_and_saveexec_b32 s3, vcc_lo
	s_cbranch_execz .LBB210_2
; %bb.1:
	v_and_b32_e32 v47, 0xfc, v0
	v_mbcnt_lo_u32_b32 v57, -1, 0
	s_delay_alu instid0(VALU_DEP_2) | instskip(NEXT) | instid1(VALU_DEP_2)
	v_lshl_or_b32 v55, v0, 5, v47
	v_and_b32_e32 v60, 16, v57
	ds_load_2addr_b32 v[47:48], v55 offset1:1
	ds_load_2addr_b32 v[49:50], v55 offset0:2 offset1:3
	ds_load_2addr_b32 v[51:52], v55 offset0:4 offset1:5
	;; [unrolled: 1-line block ×3, first 2 shown]
	v_and_b32_e32 v59, 15, v57
	s_delay_alu instid0(VALU_DEP_1) | instskip(SKIP_3) | instid1(VALU_DEP_1)
	v_cmp_eq_u32_e64 s2, 0, v59
	s_waitcnt lgkmcnt(3)
	v_add_f32_e32 v56, v47, v48
	s_waitcnt lgkmcnt(2)
	v_add_f32_e32 v56, v56, v49
	s_delay_alu instid0(VALU_DEP_1) | instskip(SKIP_1) | instid1(VALU_DEP_1)
	v_add_f32_e32 v56, v56, v50
	s_waitcnt lgkmcnt(1)
	v_add_f32_e32 v56, v56, v51
	s_delay_alu instid0(VALU_DEP_1) | instskip(SKIP_1) | instid1(VALU_DEP_1)
	v_add_f32_e32 v56, v56, v52
	s_waitcnt lgkmcnt(0)
	v_add_f32_e32 v56, v56, v53
	s_delay_alu instid0(VALU_DEP_1) | instskip(NEXT) | instid1(VALU_DEP_1)
	v_add_f32_e32 v56, v56, v54
	v_mov_b32_dpp v58, v56 row_shr:1 row_mask:0xf bank_mask:0xf
	s_delay_alu instid0(VALU_DEP_1) | instskip(NEXT) | instid1(VALU_DEP_1)
	v_add_f32_e32 v58, v56, v58
	v_cndmask_b32_e64 v56, v58, v56, s2
	v_cmp_lt_u32_e64 s2, 1, v59
	s_delay_alu instid0(VALU_DEP_2) | instskip(NEXT) | instid1(VALU_DEP_1)
	v_mov_b32_dpp v58, v56 row_shr:2 row_mask:0xf bank_mask:0xf
	v_add_f32_e32 v58, v56, v58
	s_delay_alu instid0(VALU_DEP_1) | instskip(SKIP_1) | instid1(VALU_DEP_2)
	v_cndmask_b32_e64 v56, v56, v58, s2
	v_cmp_lt_u32_e64 s2, 3, v59
	v_mov_b32_dpp v58, v56 row_shr:4 row_mask:0xf bank_mask:0xf
	s_delay_alu instid0(VALU_DEP_1) | instskip(NEXT) | instid1(VALU_DEP_1)
	v_add_f32_e32 v58, v56, v58
	v_cndmask_b32_e64 v56, v56, v58, s2
	v_cmp_lt_u32_e64 s2, 7, v59
	v_add_nc_u32_e32 v59, -1, v57
	s_delay_alu instid0(VALU_DEP_3) | instskip(NEXT) | instid1(VALU_DEP_1)
	v_mov_b32_dpp v58, v56 row_shr:8 row_mask:0xf bank_mask:0xf
	v_add_f32_e32 v58, v56, v58
	s_delay_alu instid0(VALU_DEP_1) | instskip(NEXT) | instid1(VALU_DEP_4)
	v_cndmask_b32_e64 v56, v56, v58, s2
	v_cmp_gt_i32_e64 s2, 0, v59
	ds_swizzle_b32 v58, v56 offset:swizzle(BROADCAST,32,15)
	v_cndmask_b32_e64 v57, v59, v57, s2
	v_cmp_eq_u32_e64 s2, 0, v60
	s_waitcnt lgkmcnt(0)
	s_delay_alu instid0(VALU_DEP_2) | instskip(NEXT) | instid1(VALU_DEP_1)
	v_dual_add_f32 v58, v56, v58 :: v_dual_lshlrev_b32 v57, 2, v57
	v_cndmask_b32_e64 v56, v58, v56, s2
	v_cmp_eq_u32_e64 s2, 0, v0
	ds_bpermute_b32 v56, v57, v56
	s_waitcnt lgkmcnt(0)
	v_add_f32_e32 v47, v47, v56
	s_delay_alu instid0(VALU_DEP_1) | instskip(NEXT) | instid1(VALU_DEP_1)
	v_cndmask_b32_e64 v47, v47, v46, s2
	v_add_f32_e32 v48, v48, v47
	s_delay_alu instid0(VALU_DEP_1) | instskip(NEXT) | instid1(VALU_DEP_1)
	v_add_f32_e32 v49, v49, v48
	v_add_f32_e32 v50, v50, v49
	s_delay_alu instid0(VALU_DEP_1) | instskip(NEXT) | instid1(VALU_DEP_1)
	v_add_f32_e32 v51, v51, v50
	;; [unrolled: 3-line block ×3, first 2 shown]
	v_add_f32_e32 v54, v54, v53
	ds_store_2addr_b32 v55, v47, v48 offset1:1
	ds_store_2addr_b32 v55, v49, v50 offset0:2 offset1:3
	ds_store_2addr_b32 v55, v51, v52 offset0:4 offset1:5
	;; [unrolled: 1-line block ×3, first 2 shown]
.LBB210_2:
	s_or_b32 exec_lo, exec_lo, s3
	v_cmp_eq_u32_e64 s2, 0, v0
	s_mov_b32 s4, exec_lo
	s_waitcnt lgkmcnt(0)
	s_barrier
	buffer_gl0_inv
	v_cmpx_ne_u32_e32 0, v0
	s_cbranch_execz .LBB210_4
; %bb.3:
	v_add_nc_u32_e32 v0, -1, v0
	s_delay_alu instid0(VALU_DEP_1) | instskip(NEXT) | instid1(VALU_DEP_1)
	v_lshrrev_b32_e32 v46, 5, v0
	v_add_lshl_u32 v0, v46, v0, 2
	ds_load_b32 v46, v0
.LBB210_4:
	s_or_b32 exec_lo, exec_lo, s4
	s_load_b32 s1, s[0:1], 0x10
	s_waitcnt lgkmcnt(0)
	v_mov_b32_e32 v0, s1
	s_and_saveexec_b32 s0, vcc_lo
	s_cbranch_execz .LBB210_8
; %bb.5:
	v_mov_b32_e32 v47, 0
	ds_load_b32 v0, v47 offset:1044
	s_and_saveexec_b32 s3, s2
	s_cbranch_execz .LBB210_7
; %bb.6:
	v_mov_b32_e32 v48, s1
	ds_store_b32 v47, v48
.LBB210_7:
	s_or_b32 exec_lo, exec_lo, s3
	s_waitcnt lgkmcnt(0)
	v_add_f32_e32 v0, s1, v0
.LBB210_8:
	s_or_b32 exec_lo, exec_lo, s0
	v_dual_mov_b32 v47, 0 :: v_dual_add_f32 v46, v35, v46
	s_barrier
	buffer_gl0_inv
	ds_load_b32 v48, v47
	v_cndmask_b32_e64 v35, v46, v35, s2
	s_waitcnt lgkmcnt(0)
	s_delay_alu instid0(VALU_DEP_1) | instskip(NEXT) | instid1(VALU_DEP_1)
	v_add_f32_e32 v35, v35, v48
	v_add_f32_e32 v31, v31, v35
	s_delay_alu instid0(VALU_DEP_1) | instskip(NEXT) | instid1(VALU_DEP_1)
	v_add_f32_e32 v32, v32, v31
	v_add_f32_e32 v33, v33, v32
	;; [unrolled: 3-line block ×5, first 2 shown]
	s_delay_alu instid0(VALU_DEP_1)
	v_add_f32_e32 v41, v41, v40
	s_clause 0x7
	global_store_b32 v[1:2], v35, off
	global_store_b32 v[3:4], v31, off
	;; [unrolled: 1-line block ×8, first 2 shown]
	v_add_f32_e32 v42, v42, v41
	s_delay_alu instid0(VALU_DEP_1) | instskip(NEXT) | instid1(VALU_DEP_1)
	v_add_f32_e32 v43, v43, v42
	v_add_f32_e32 v45, v45, v43
	s_delay_alu instid0(VALU_DEP_1)
	v_add_f32_e32 v1, v44, v45
	s_clause 0x6
	global_store_b32 v[17:18], v39, off
	global_store_b32 v[19:20], v40, off
	;; [unrolled: 1-line block ×7, first 2 shown]
	s_and_saveexec_b32 s0, s2
	s_cbranch_execz .LBB210_10
; %bb.9:
	s_mov_b32 s9, 0
	s_delay_alu instid0(SALU_CYCLE_1) | instskip(NEXT) | instid1(SALU_CYCLE_1)
	s_lshl_b64 s[0:1], s[8:9], 2
	s_add_u32 s0, s6, s0
	s_addc_u32 s1, s7, s1
	global_store_b32 v47, v0, s[0:1]
.LBB210_10:
	s_nop 0
	s_sendmsg sendmsg(MSG_DEALLOC_VGPRS)
	s_endpgm
	.section	.rodata,"a",@progbits
	.p2align	6, 0x0
	.amdhsa_kernel _Z43inclusive_scan_array_prefix_callback_kernelILj255ELj15ELN6hipcub18BlockScanAlgorithmE1EfEvPT2_S3_S2_
		.amdhsa_group_segment_fixed_size 1056
		.amdhsa_private_segment_fixed_size 0
		.amdhsa_kernarg_size 20
		.amdhsa_user_sgpr_count 15
		.amdhsa_user_sgpr_dispatch_ptr 0
		.amdhsa_user_sgpr_queue_ptr 0
		.amdhsa_user_sgpr_kernarg_segment_ptr 1
		.amdhsa_user_sgpr_dispatch_id 0
		.amdhsa_user_sgpr_private_segment_size 0
		.amdhsa_wavefront_size32 1
		.amdhsa_uses_dynamic_stack 0
		.amdhsa_enable_private_segment 0
		.amdhsa_system_sgpr_workgroup_id_x 1
		.amdhsa_system_sgpr_workgroup_id_y 0
		.amdhsa_system_sgpr_workgroup_id_z 0
		.amdhsa_system_sgpr_workgroup_info 0
		.amdhsa_system_vgpr_workitem_id 0
		.amdhsa_next_free_vgpr 61
		.amdhsa_next_free_sgpr 16
		.amdhsa_reserve_vcc 1
		.amdhsa_float_round_mode_32 0
		.amdhsa_float_round_mode_16_64 0
		.amdhsa_float_denorm_mode_32 3
		.amdhsa_float_denorm_mode_16_64 3
		.amdhsa_dx10_clamp 1
		.amdhsa_ieee_mode 1
		.amdhsa_fp16_overflow 0
		.amdhsa_workgroup_processor_mode 1
		.amdhsa_memory_ordered 1
		.amdhsa_forward_progress 0
		.amdhsa_shared_vgpr_count 0
		.amdhsa_exception_fp_ieee_invalid_op 0
		.amdhsa_exception_fp_denorm_src 0
		.amdhsa_exception_fp_ieee_div_zero 0
		.amdhsa_exception_fp_ieee_overflow 0
		.amdhsa_exception_fp_ieee_underflow 0
		.amdhsa_exception_fp_ieee_inexact 0
		.amdhsa_exception_int_div_zero 0
	.end_amdhsa_kernel
	.section	.text._Z43inclusive_scan_array_prefix_callback_kernelILj255ELj15ELN6hipcub18BlockScanAlgorithmE1EfEvPT2_S3_S2_,"axG",@progbits,_Z43inclusive_scan_array_prefix_callback_kernelILj255ELj15ELN6hipcub18BlockScanAlgorithmE1EfEvPT2_S3_S2_,comdat
.Lfunc_end210:
	.size	_Z43inclusive_scan_array_prefix_callback_kernelILj255ELj15ELN6hipcub18BlockScanAlgorithmE1EfEvPT2_S3_S2_, .Lfunc_end210-_Z43inclusive_scan_array_prefix_callback_kernelILj255ELj15ELN6hipcub18BlockScanAlgorithmE1EfEvPT2_S3_S2_
                                        ; -- End function
	.section	.AMDGPU.csdata,"",@progbits
; Kernel info:
; codeLenInByte = 1684
; NumSgprs: 18
; NumVgprs: 61
; ScratchSize: 0
; MemoryBound: 0
; FloatMode: 240
; IeeeMode: 1
; LDSByteSize: 1056 bytes/workgroup (compile time only)
; SGPRBlocks: 2
; VGPRBlocks: 7
; NumSGPRsForWavesPerEU: 18
; NumVGPRsForWavesPerEU: 61
; Occupancy: 16
; WaveLimiterHint : 0
; COMPUTE_PGM_RSRC2:SCRATCH_EN: 0
; COMPUTE_PGM_RSRC2:USER_SGPR: 15
; COMPUTE_PGM_RSRC2:TRAP_HANDLER: 0
; COMPUTE_PGM_RSRC2:TGID_X_EN: 1
; COMPUTE_PGM_RSRC2:TGID_Y_EN: 0
; COMPUTE_PGM_RSRC2:TGID_Z_EN: 0
; COMPUTE_PGM_RSRC2:TIDIG_COMP_CNT: 0
	.section	.text._Z43inclusive_scan_array_prefix_callback_kernelILj162ELj7ELN6hipcub18BlockScanAlgorithmE1EfEvPT2_S3_S2_,"axG",@progbits,_Z43inclusive_scan_array_prefix_callback_kernelILj162ELj7ELN6hipcub18BlockScanAlgorithmE1EfEvPT2_S3_S2_,comdat
	.protected	_Z43inclusive_scan_array_prefix_callback_kernelILj162ELj7ELN6hipcub18BlockScanAlgorithmE1EfEvPT2_S3_S2_ ; -- Begin function _Z43inclusive_scan_array_prefix_callback_kernelILj162ELj7ELN6hipcub18BlockScanAlgorithmE1EfEvPT2_S3_S2_
	.globl	_Z43inclusive_scan_array_prefix_callback_kernelILj162ELj7ELN6hipcub18BlockScanAlgorithmE1EfEvPT2_S3_S2_
	.p2align	8
	.type	_Z43inclusive_scan_array_prefix_callback_kernelILj162ELj7ELN6hipcub18BlockScanAlgorithmE1EfEvPT2_S3_S2_,@function
_Z43inclusive_scan_array_prefix_callback_kernelILj162ELj7ELN6hipcub18BlockScanAlgorithmE1EfEvPT2_S3_S2_: ; @_Z43inclusive_scan_array_prefix_callback_kernelILj162ELj7ELN6hipcub18BlockScanAlgorithmE1EfEvPT2_S3_S2_
; %bb.0:
	s_mov_b32 s8, s15
	s_load_b128 s[4:7], s[0:1], 0x0
	v_mad_u64_u32 v[1:2], null, 0xa2, s8, v[0:1]
	v_lshlrev_b32_e32 v23, 2, v0
	s_delay_alu instid0(VALU_DEP_2) | instskip(NEXT) | instid1(VALU_DEP_1)
	v_mul_lo_u32 v11, v1, 7
	v_dual_mov_b32 v12, 0 :: v_dual_add_nc_u32 v1, 1, v11
	s_delay_alu instid0(VALU_DEP_1) | instskip(SKIP_2) | instid1(VALU_DEP_3)
	v_dual_mov_b32 v2, v12 :: v_dual_add_nc_u32 v3, 2, v11
	v_lshlrev_b64 v[9:10], 2, v[11:12]
	v_dual_mov_b32 v4, v12 :: v_dual_add_nc_u32 v5, 3, v11
	v_lshlrev_b64 v[13:14], 2, v[1:2]
	v_dual_mov_b32 v6, v12 :: v_dual_add_nc_u32 v7, 4, v11
	s_waitcnt lgkmcnt(0)
	s_delay_alu instid0(VALU_DEP_4)
	v_add_co_u32 v1, vcc_lo, s4, v9
	v_lshlrev_b64 v[15:16], 2, v[3:4]
	v_add_co_ci_u32_e32 v2, vcc_lo, s5, v10, vcc_lo
	v_mov_b32_e32 v8, v12
	v_add_co_u32 v3, vcc_lo, s4, v13
	v_add_nc_u32_e32 v13, 5, v11
	v_lshlrev_b64 v[17:18], 2, v[5:6]
	v_add_co_ci_u32_e32 v4, vcc_lo, s5, v14, vcc_lo
	v_add_co_u32 v5, vcc_lo, s4, v15
	v_lshlrev_b64 v[19:20], 2, v[7:8]
	v_add_co_ci_u32_e32 v6, vcc_lo, s5, v16, vcc_lo
	s_clause 0x1
	global_load_b32 v16, v[1:2], off
	global_load_b32 v15, v[3:4], off
	v_dual_mov_b32 v14, v12 :: v_dual_add_nc_u32 v11, 6, v11
	v_add_co_u32 v7, vcc_lo, s4, v17
	v_add_co_ci_u32_e32 v8, vcc_lo, s5, v18, vcc_lo
	v_add_co_u32 v9, vcc_lo, s4, v19
	global_load_b32 v17, v[5:6], off
	v_lshlrev_b64 v[13:14], 2, v[13:14]
	v_add_co_ci_u32_e32 v10, vcc_lo, s5, v20, vcc_lo
	v_lshlrev_b64 v[20:21], 2, v[11:12]
	s_clause 0x1
	global_load_b32 v18, v[7:8], off
	global_load_b32 v19, v[9:10], off
	v_add_co_u32 v11, vcc_lo, s4, v13
	v_add_co_ci_u32_e32 v12, vcc_lo, s5, v14, vcc_lo
	v_add_co_u32 v13, vcc_lo, s4, v20
	v_add_co_ci_u32_e32 v14, vcc_lo, s5, v21, vcc_lo
	s_clause 0x1
	global_load_b32 v20, v[11:12], off
	global_load_b32 v21, v[13:14], off
	v_cmp_gt_u32_e32 vcc_lo, 32, v0
	s_waitcnt vmcnt(5)
	v_add_f32_e32 v22, v16, v15
	s_waitcnt vmcnt(4)
	s_delay_alu instid0(VALU_DEP_1) | instskip(SKIP_1) | instid1(VALU_DEP_1)
	v_add_f32_e32 v22, v17, v22
	s_waitcnt vmcnt(3)
	v_add_f32_e32 v22, v18, v22
	s_waitcnt vmcnt(2)
	s_delay_alu instid0(VALU_DEP_1) | instskip(SKIP_1) | instid1(VALU_DEP_1)
	v_add_f32_e32 v22, v19, v22
	s_waitcnt vmcnt(1)
	v_add_f32_e32 v22, v20, v22
	s_waitcnt vmcnt(0)
	s_delay_alu instid0(VALU_DEP_1)
	v_add_f32_e32 v22, v21, v22
	ds_store_b32 v23, v22
	s_waitcnt lgkmcnt(0)
	s_barrier
	buffer_gl0_inv
	s_and_saveexec_b32 s3, vcc_lo
	s_cbranch_execz .LBB211_2
; %bb.1:
	v_mul_u32_u24_e32 v24, 6, v0
	v_mbcnt_lo_u32_b32 v32, -1, 0
	s_delay_alu instid0(VALU_DEP_2) | instskip(NEXT) | instid1(VALU_DEP_2)
	v_lshlrev_b32_e32 v30, 2, v24
	v_and_b32_e32 v35, 16, v32
	ds_load_2addr_b32 v[24:25], v30 offset1:1
	ds_load_2addr_b32 v[26:27], v30 offset0:2 offset1:3
	ds_load_2addr_b32 v[28:29], v30 offset0:4 offset1:5
	v_and_b32_e32 v34, 15, v32
	s_delay_alu instid0(VALU_DEP_1) | instskip(SKIP_3) | instid1(VALU_DEP_1)
	v_cmp_eq_u32_e64 s2, 0, v34
	s_waitcnt lgkmcnt(2)
	v_add_f32_e32 v31, v24, v25
	s_waitcnt lgkmcnt(1)
	v_add_f32_e32 v31, v31, v26
	s_delay_alu instid0(VALU_DEP_1) | instskip(SKIP_1) | instid1(VALU_DEP_1)
	v_add_f32_e32 v31, v31, v27
	s_waitcnt lgkmcnt(0)
	v_add_f32_e32 v31, v31, v28
	s_delay_alu instid0(VALU_DEP_1) | instskip(NEXT) | instid1(VALU_DEP_1)
	v_add_f32_e32 v31, v31, v29
	v_mov_b32_dpp v33, v31 row_shr:1 row_mask:0xf bank_mask:0xf
	s_delay_alu instid0(VALU_DEP_1) | instskip(NEXT) | instid1(VALU_DEP_1)
	v_add_f32_e32 v33, v31, v33
	v_cndmask_b32_e64 v31, v33, v31, s2
	v_cmp_lt_u32_e64 s2, 1, v34
	s_delay_alu instid0(VALU_DEP_2) | instskip(NEXT) | instid1(VALU_DEP_1)
	v_mov_b32_dpp v33, v31 row_shr:2 row_mask:0xf bank_mask:0xf
	v_add_f32_e32 v33, v31, v33
	s_delay_alu instid0(VALU_DEP_1) | instskip(SKIP_1) | instid1(VALU_DEP_2)
	v_cndmask_b32_e64 v31, v31, v33, s2
	v_cmp_lt_u32_e64 s2, 3, v34
	v_mov_b32_dpp v33, v31 row_shr:4 row_mask:0xf bank_mask:0xf
	s_delay_alu instid0(VALU_DEP_1) | instskip(NEXT) | instid1(VALU_DEP_1)
	v_add_f32_e32 v33, v31, v33
	v_cndmask_b32_e64 v31, v31, v33, s2
	v_cmp_lt_u32_e64 s2, 7, v34
	v_add_nc_u32_e32 v34, -1, v32
	s_delay_alu instid0(VALU_DEP_3) | instskip(NEXT) | instid1(VALU_DEP_1)
	v_mov_b32_dpp v33, v31 row_shr:8 row_mask:0xf bank_mask:0xf
	v_add_f32_e32 v33, v31, v33
	s_delay_alu instid0(VALU_DEP_1) | instskip(NEXT) | instid1(VALU_DEP_4)
	v_cndmask_b32_e64 v31, v31, v33, s2
	v_cmp_gt_i32_e64 s2, 0, v34
	ds_swizzle_b32 v33, v31 offset:swizzle(BROADCAST,32,15)
	v_cndmask_b32_e64 v32, v34, v32, s2
	v_cmp_eq_u32_e64 s2, 0, v35
	s_waitcnt lgkmcnt(0)
	s_delay_alu instid0(VALU_DEP_2) | instskip(NEXT) | instid1(VALU_DEP_1)
	v_dual_add_f32 v33, v31, v33 :: v_dual_lshlrev_b32 v32, 2, v32
	v_cndmask_b32_e64 v31, v33, v31, s2
	v_cmp_eq_u32_e64 s2, 0, v0
	ds_bpermute_b32 v31, v32, v31
	s_waitcnt lgkmcnt(0)
	v_add_f32_e32 v24, v24, v31
	s_delay_alu instid0(VALU_DEP_1) | instskip(NEXT) | instid1(VALU_DEP_1)
	v_cndmask_b32_e64 v24, v24, v22, s2
	v_add_f32_e32 v25, v25, v24
	s_delay_alu instid0(VALU_DEP_1) | instskip(NEXT) | instid1(VALU_DEP_1)
	v_add_f32_e32 v26, v26, v25
	v_add_f32_e32 v27, v27, v26
	s_delay_alu instid0(VALU_DEP_1) | instskip(NEXT) | instid1(VALU_DEP_1)
	v_add_f32_e32 v28, v28, v27
	v_add_f32_e32 v29, v29, v28
	ds_store_2addr_b32 v30, v24, v25 offset1:1
	ds_store_2addr_b32 v30, v26, v27 offset0:2 offset1:3
	ds_store_2addr_b32 v30, v28, v29 offset0:4 offset1:5
.LBB211_2:
	s_or_b32 exec_lo, exec_lo, s3
	v_cmp_eq_u32_e64 s2, 0, v0
	s_mov_b32 s4, exec_lo
	s_waitcnt lgkmcnt(0)
	s_barrier
	buffer_gl0_inv
	v_cmpx_ne_u32_e32 0, v0
	s_cbranch_execz .LBB211_4
; %bb.3:
	v_add_nc_u32_e32 v0, -4, v23
	ds_load_b32 v22, v0
.LBB211_4:
	s_or_b32 exec_lo, exec_lo, s4
	s_load_b32 s1, s[0:1], 0x10
	s_waitcnt lgkmcnt(0)
	v_mov_b32_e32 v0, s1
	s_and_saveexec_b32 s0, vcc_lo
	s_cbranch_execz .LBB211_8
; %bb.5:
	v_mov_b32_e32 v23, 0
	ds_load_b32 v0, v23 offset:644
	s_and_saveexec_b32 s3, s2
	s_cbranch_execz .LBB211_7
; %bb.6:
	v_mov_b32_e32 v24, s1
	ds_store_b32 v23, v24
.LBB211_7:
	s_or_b32 exec_lo, exec_lo, s3
	s_waitcnt lgkmcnt(0)
	v_add_f32_e32 v0, s1, v0
.LBB211_8:
	s_or_b32 exec_lo, exec_lo, s0
	v_dual_mov_b32 v23, 0 :: v_dual_add_f32 v22, v16, v22
	s_barrier
	buffer_gl0_inv
	ds_load_b32 v24, v23
	v_cndmask_b32_e64 v16, v22, v16, s2
	s_waitcnt lgkmcnt(0)
	s_delay_alu instid0(VALU_DEP_1) | instskip(NEXT) | instid1(VALU_DEP_1)
	v_add_f32_e32 v16, v16, v24
	v_add_f32_e32 v15, v15, v16
	s_delay_alu instid0(VALU_DEP_1) | instskip(NEXT) | instid1(VALU_DEP_1)
	v_add_f32_e32 v17, v17, v15
	v_add_f32_e32 v18, v18, v17
	;; [unrolled: 3-line block ×3, first 2 shown]
	s_delay_alu instid0(VALU_DEP_1)
	v_add_f32_e32 v21, v21, v20
	s_clause 0x6
	global_store_b32 v[1:2], v16, off
	global_store_b32 v[3:4], v15, off
	;; [unrolled: 1-line block ×7, first 2 shown]
	s_and_saveexec_b32 s0, s2
	s_cbranch_execz .LBB211_10
; %bb.9:
	s_mov_b32 s9, 0
	s_delay_alu instid0(SALU_CYCLE_1) | instskip(NEXT) | instid1(SALU_CYCLE_1)
	s_lshl_b64 s[0:1], s[8:9], 2
	s_add_u32 s0, s6, s0
	s_addc_u32 s1, s7, s1
	global_store_b32 v23, v0, s[0:1]
.LBB211_10:
	s_nop 0
	s_sendmsg sendmsg(MSG_DEALLOC_VGPRS)
	s_endpgm
	.section	.rodata,"a",@progbits
	.p2align	6, 0x0
	.amdhsa_kernel _Z43inclusive_scan_array_prefix_callback_kernelILj162ELj7ELN6hipcub18BlockScanAlgorithmE1EfEvPT2_S3_S2_
		.amdhsa_group_segment_fixed_size 768
		.amdhsa_private_segment_fixed_size 0
		.amdhsa_kernarg_size 20
		.amdhsa_user_sgpr_count 15
		.amdhsa_user_sgpr_dispatch_ptr 0
		.amdhsa_user_sgpr_queue_ptr 0
		.amdhsa_user_sgpr_kernarg_segment_ptr 1
		.amdhsa_user_sgpr_dispatch_id 0
		.amdhsa_user_sgpr_private_segment_size 0
		.amdhsa_wavefront_size32 1
		.amdhsa_uses_dynamic_stack 0
		.amdhsa_enable_private_segment 0
		.amdhsa_system_sgpr_workgroup_id_x 1
		.amdhsa_system_sgpr_workgroup_id_y 0
		.amdhsa_system_sgpr_workgroup_id_z 0
		.amdhsa_system_sgpr_workgroup_info 0
		.amdhsa_system_vgpr_workitem_id 0
		.amdhsa_next_free_vgpr 36
		.amdhsa_next_free_sgpr 16
		.amdhsa_reserve_vcc 1
		.amdhsa_float_round_mode_32 0
		.amdhsa_float_round_mode_16_64 0
		.amdhsa_float_denorm_mode_32 3
		.amdhsa_float_denorm_mode_16_64 3
		.amdhsa_dx10_clamp 1
		.amdhsa_ieee_mode 1
		.amdhsa_fp16_overflow 0
		.amdhsa_workgroup_processor_mode 1
		.amdhsa_memory_ordered 1
		.amdhsa_forward_progress 0
		.amdhsa_shared_vgpr_count 0
		.amdhsa_exception_fp_ieee_invalid_op 0
		.amdhsa_exception_fp_denorm_src 0
		.amdhsa_exception_fp_ieee_div_zero 0
		.amdhsa_exception_fp_ieee_overflow 0
		.amdhsa_exception_fp_ieee_underflow 0
		.amdhsa_exception_fp_ieee_inexact 0
		.amdhsa_exception_int_div_zero 0
	.end_amdhsa_kernel
	.section	.text._Z43inclusive_scan_array_prefix_callback_kernelILj162ELj7ELN6hipcub18BlockScanAlgorithmE1EfEvPT2_S3_S2_,"axG",@progbits,_Z43inclusive_scan_array_prefix_callback_kernelILj162ELj7ELN6hipcub18BlockScanAlgorithmE1EfEvPT2_S3_S2_,comdat
.Lfunc_end211:
	.size	_Z43inclusive_scan_array_prefix_callback_kernelILj162ELj7ELN6hipcub18BlockScanAlgorithmE1EfEvPT2_S3_S2_, .Lfunc_end211-_Z43inclusive_scan_array_prefix_callback_kernelILj162ELj7ELN6hipcub18BlockScanAlgorithmE1EfEvPT2_S3_S2_
                                        ; -- End function
	.section	.AMDGPU.csdata,"",@progbits
; Kernel info:
; codeLenInByte = 1104
; NumSgprs: 18
; NumVgprs: 36
; ScratchSize: 0
; MemoryBound: 0
; FloatMode: 240
; IeeeMode: 1
; LDSByteSize: 768 bytes/workgroup (compile time only)
; SGPRBlocks: 2
; VGPRBlocks: 4
; NumSGPRsForWavesPerEU: 18
; NumVGPRsForWavesPerEU: 36
; Occupancy: 15
; WaveLimiterHint : 0
; COMPUTE_PGM_RSRC2:SCRATCH_EN: 0
; COMPUTE_PGM_RSRC2:USER_SGPR: 15
; COMPUTE_PGM_RSRC2:TRAP_HANDLER: 0
; COMPUTE_PGM_RSRC2:TGID_X_EN: 1
; COMPUTE_PGM_RSRC2:TGID_Y_EN: 0
; COMPUTE_PGM_RSRC2:TGID_Z_EN: 0
; COMPUTE_PGM_RSRC2:TIDIG_COMP_CNT: 0
	.section	.text._Z43inclusive_scan_array_prefix_callback_kernelILj65ELj5ELN6hipcub18BlockScanAlgorithmE1EfEvPT2_S3_S2_,"axG",@progbits,_Z43inclusive_scan_array_prefix_callback_kernelILj65ELj5ELN6hipcub18BlockScanAlgorithmE1EfEvPT2_S3_S2_,comdat
	.protected	_Z43inclusive_scan_array_prefix_callback_kernelILj65ELj5ELN6hipcub18BlockScanAlgorithmE1EfEvPT2_S3_S2_ ; -- Begin function _Z43inclusive_scan_array_prefix_callback_kernelILj65ELj5ELN6hipcub18BlockScanAlgorithmE1EfEvPT2_S3_S2_
	.globl	_Z43inclusive_scan_array_prefix_callback_kernelILj65ELj5ELN6hipcub18BlockScanAlgorithmE1EfEvPT2_S3_S2_
	.p2align	8
	.type	_Z43inclusive_scan_array_prefix_callback_kernelILj65ELj5ELN6hipcub18BlockScanAlgorithmE1EfEvPT2_S3_S2_,@function
_Z43inclusive_scan_array_prefix_callback_kernelILj65ELj5ELN6hipcub18BlockScanAlgorithmE1EfEvPT2_S3_S2_: ; @_Z43inclusive_scan_array_prefix_callback_kernelILj65ELj5ELN6hipcub18BlockScanAlgorithmE1EfEvPT2_S3_S2_
; %bb.0:
	s_mov_b32 s8, s15
	s_load_b128 s[4:7], s[0:1], 0x0
	v_mad_u64_u32 v[1:2], null, 0x41, s8, v[0:1]
	v_lshlrev_b32_e32 v17, 2, v0
	s_delay_alu instid0(VALU_DEP_2) | instskip(NEXT) | instid1(VALU_DEP_1)
	v_lshl_add_u32 v1, v1, 2, v1
	v_dual_mov_b32 v2, 0 :: v_dual_add_nc_u32 v3, 1, v1
	s_delay_alu instid0(VALU_DEP_1) | instskip(SKIP_3) | instid1(VALU_DEP_4)
	v_dual_mov_b32 v4, v2 :: v_dual_add_nc_u32 v5, 2, v1
	v_lshlrev_b64 v[9:10], 2, v[1:2]
	v_dual_mov_b32 v6, v2 :: v_dual_add_nc_u32 v7, 3, v1
	v_dual_mov_b32 v8, v2 :: v_dual_add_nc_u32 v1, 4, v1
	v_lshlrev_b64 v[3:4], 2, v[3:4]
	s_delay_alu instid0(VALU_DEP_3) | instskip(NEXT) | instid1(VALU_DEP_3)
	v_lshlrev_b64 v[5:6], 2, v[5:6]
	v_lshlrev_b64 v[7:8], 2, v[7:8]
	s_delay_alu instid0(VALU_DEP_4)
	v_lshlrev_b64 v[14:15], 2, v[1:2]
	s_waitcnt lgkmcnt(0)
	v_add_co_u32 v1, vcc_lo, s4, v9
	v_add_co_ci_u32_e32 v2, vcc_lo, s5, v10, vcc_lo
	v_add_co_u32 v3, vcc_lo, s4, v3
	v_add_co_ci_u32_e32 v4, vcc_lo, s5, v4, vcc_lo
	;; [unrolled: 2-line block ×3, first 2 shown]
	s_clause 0x1
	global_load_b32 v12, v[1:2], off
	global_load_b32 v11, v[3:4], off
	v_add_co_u32 v7, vcc_lo, s4, v7
	v_add_co_ci_u32_e32 v8, vcc_lo, s5, v8, vcc_lo
	global_load_b32 v13, v[5:6], off
	v_add_co_u32 v9, vcc_lo, s4, v14
	v_add_co_ci_u32_e32 v10, vcc_lo, s5, v15, vcc_lo
	s_clause 0x1
	global_load_b32 v14, v[7:8], off
	global_load_b32 v15, v[9:10], off
	v_cmp_gt_u32_e32 vcc_lo, 32, v0
	s_waitcnt vmcnt(3)
	v_add_f32_e32 v16, v12, v11
	s_waitcnt vmcnt(2)
	s_delay_alu instid0(VALU_DEP_1) | instskip(SKIP_1) | instid1(VALU_DEP_1)
	v_add_f32_e32 v16, v13, v16
	s_waitcnt vmcnt(1)
	v_add_f32_e32 v16, v14, v16
	s_waitcnt vmcnt(0)
	s_delay_alu instid0(VALU_DEP_1)
	v_add_f32_e32 v16, v15, v16
	ds_store_b32 v17, v16
	s_waitcnt lgkmcnt(0)
	s_barrier
	buffer_gl0_inv
	s_and_saveexec_b32 s3, vcc_lo
	s_cbranch_execz .LBB212_2
; %bb.1:
	v_mul_u32_u24_e32 v18, 3, v0
	v_mbcnt_lo_u32_b32 v23, -1, 0
	s_delay_alu instid0(VALU_DEP_2) | instskip(NEXT) | instid1(VALU_DEP_2)
	v_lshlrev_b32_e32 v20, 2, v18
	v_and_b32_e32 v26, 16, v23
	ds_load_2addr_b32 v[18:19], v20 offset1:1
	ds_load_b32 v21, v20 offset:8
	v_and_b32_e32 v25, 15, v23
	s_delay_alu instid0(VALU_DEP_1) | instskip(SKIP_3) | instid1(VALU_DEP_1)
	v_cmp_eq_u32_e64 s2, 0, v25
	s_waitcnt lgkmcnt(1)
	v_add_f32_e32 v22, v18, v19
	s_waitcnt lgkmcnt(0)
	v_add_f32_e32 v22, v22, v21
	s_delay_alu instid0(VALU_DEP_1) | instskip(NEXT) | instid1(VALU_DEP_1)
	v_mov_b32_dpp v24, v22 row_shr:1 row_mask:0xf bank_mask:0xf
	v_add_f32_e32 v24, v22, v24
	s_delay_alu instid0(VALU_DEP_1) | instskip(SKIP_1) | instid1(VALU_DEP_2)
	v_cndmask_b32_e64 v22, v24, v22, s2
	v_cmp_lt_u32_e64 s2, 1, v25
	v_mov_b32_dpp v24, v22 row_shr:2 row_mask:0xf bank_mask:0xf
	s_delay_alu instid0(VALU_DEP_1) | instskip(NEXT) | instid1(VALU_DEP_1)
	v_add_f32_e32 v24, v22, v24
	v_cndmask_b32_e64 v22, v22, v24, s2
	v_cmp_lt_u32_e64 s2, 3, v25
	s_delay_alu instid0(VALU_DEP_2) | instskip(NEXT) | instid1(VALU_DEP_1)
	v_mov_b32_dpp v24, v22 row_shr:4 row_mask:0xf bank_mask:0xf
	v_add_f32_e32 v24, v22, v24
	s_delay_alu instid0(VALU_DEP_1) | instskip(SKIP_2) | instid1(VALU_DEP_3)
	v_cndmask_b32_e64 v22, v22, v24, s2
	v_cmp_lt_u32_e64 s2, 7, v25
	v_add_nc_u32_e32 v25, -1, v23
	v_mov_b32_dpp v24, v22 row_shr:8 row_mask:0xf bank_mask:0xf
	s_delay_alu instid0(VALU_DEP_1) | instskip(NEXT) | instid1(VALU_DEP_1)
	v_add_f32_e32 v24, v22, v24
	v_cndmask_b32_e64 v22, v22, v24, s2
	s_delay_alu instid0(VALU_DEP_4) | instskip(SKIP_4) | instid1(VALU_DEP_2)
	v_cmp_gt_i32_e64 s2, 0, v25
	ds_swizzle_b32 v24, v22 offset:swizzle(BROADCAST,32,15)
	v_cndmask_b32_e64 v23, v25, v23, s2
	v_cmp_eq_u32_e64 s2, 0, v26
	s_waitcnt lgkmcnt(0)
	v_dual_add_f32 v24, v22, v24 :: v_dual_lshlrev_b32 v23, 2, v23
	s_delay_alu instid0(VALU_DEP_1) | instskip(SKIP_4) | instid1(VALU_DEP_1)
	v_cndmask_b32_e64 v22, v24, v22, s2
	v_cmp_eq_u32_e64 s2, 0, v0
	ds_bpermute_b32 v22, v23, v22
	s_waitcnt lgkmcnt(0)
	v_add_f32_e32 v18, v18, v22
	v_cndmask_b32_e64 v18, v18, v16, s2
	s_delay_alu instid0(VALU_DEP_1) | instskip(NEXT) | instid1(VALU_DEP_1)
	v_add_f32_e32 v19, v19, v18
	v_add_f32_e32 v21, v21, v19
	ds_store_2addr_b32 v20, v18, v19 offset1:1
	ds_store_b32 v20, v21 offset:8
.LBB212_2:
	s_or_b32 exec_lo, exec_lo, s3
	v_cmp_eq_u32_e64 s2, 0, v0
	s_mov_b32 s4, exec_lo
	s_waitcnt lgkmcnt(0)
	s_barrier
	buffer_gl0_inv
	v_cmpx_ne_u32_e32 0, v0
	s_cbranch_execz .LBB212_4
; %bb.3:
	v_add_nc_u32_e32 v0, -4, v17
	ds_load_b32 v16, v0
.LBB212_4:
	s_or_b32 exec_lo, exec_lo, s4
	s_load_b32 s1, s[0:1], 0x10
	s_waitcnt lgkmcnt(0)
	v_mov_b32_e32 v0, s1
	s_and_saveexec_b32 s0, vcc_lo
	s_cbranch_execz .LBB212_8
; %bb.5:
	v_mov_b32_e32 v17, 0
	ds_load_b32 v0, v17 offset:256
	s_and_saveexec_b32 s3, s2
	s_cbranch_execz .LBB212_7
; %bb.6:
	v_mov_b32_e32 v18, s1
	ds_store_b32 v17, v18
.LBB212_7:
	s_or_b32 exec_lo, exec_lo, s3
	s_waitcnt lgkmcnt(0)
	v_add_f32_e32 v0, s1, v0
.LBB212_8:
	s_or_b32 exec_lo, exec_lo, s0
	v_dual_mov_b32 v17, 0 :: v_dual_add_f32 v16, v12, v16
	s_barrier
	buffer_gl0_inv
	ds_load_b32 v18, v17
	v_cndmask_b32_e64 v12, v16, v12, s2
	s_waitcnt lgkmcnt(0)
	s_delay_alu instid0(VALU_DEP_1) | instskip(NEXT) | instid1(VALU_DEP_1)
	v_add_f32_e32 v12, v12, v18
	v_add_f32_e32 v11, v11, v12
	s_delay_alu instid0(VALU_DEP_1) | instskip(NEXT) | instid1(VALU_DEP_1)
	v_add_f32_e32 v13, v13, v11
	v_add_f32_e32 v14, v14, v13
	s_delay_alu instid0(VALU_DEP_1)
	v_add_f32_e32 v15, v15, v14
	s_clause 0x4
	global_store_b32 v[1:2], v12, off
	global_store_b32 v[3:4], v11, off
	;; [unrolled: 1-line block ×5, first 2 shown]
	s_and_saveexec_b32 s0, s2
	s_cbranch_execz .LBB212_10
; %bb.9:
	s_mov_b32 s9, 0
	s_delay_alu instid0(SALU_CYCLE_1) | instskip(NEXT) | instid1(SALU_CYCLE_1)
	s_lshl_b64 s[0:1], s[8:9], 2
	s_add_u32 s0, s6, s0
	s_addc_u32 s1, s7, s1
	global_store_b32 v17, v0, s[0:1]
.LBB212_10:
	s_nop 0
	s_sendmsg sendmsg(MSG_DEALLOC_VGPRS)
	s_endpgm
	.section	.rodata,"a",@progbits
	.p2align	6, 0x0
	.amdhsa_kernel _Z43inclusive_scan_array_prefix_callback_kernelILj65ELj5ELN6hipcub18BlockScanAlgorithmE1EfEvPT2_S3_S2_
		.amdhsa_group_segment_fixed_size 384
		.amdhsa_private_segment_fixed_size 0
		.amdhsa_kernarg_size 20
		.amdhsa_user_sgpr_count 15
		.amdhsa_user_sgpr_dispatch_ptr 0
		.amdhsa_user_sgpr_queue_ptr 0
		.amdhsa_user_sgpr_kernarg_segment_ptr 1
		.amdhsa_user_sgpr_dispatch_id 0
		.amdhsa_user_sgpr_private_segment_size 0
		.amdhsa_wavefront_size32 1
		.amdhsa_uses_dynamic_stack 0
		.amdhsa_enable_private_segment 0
		.amdhsa_system_sgpr_workgroup_id_x 1
		.amdhsa_system_sgpr_workgroup_id_y 0
		.amdhsa_system_sgpr_workgroup_id_z 0
		.amdhsa_system_sgpr_workgroup_info 0
		.amdhsa_system_vgpr_workitem_id 0
		.amdhsa_next_free_vgpr 27
		.amdhsa_next_free_sgpr 16
		.amdhsa_reserve_vcc 1
		.amdhsa_float_round_mode_32 0
		.amdhsa_float_round_mode_16_64 0
		.amdhsa_float_denorm_mode_32 3
		.amdhsa_float_denorm_mode_16_64 3
		.amdhsa_dx10_clamp 1
		.amdhsa_ieee_mode 1
		.amdhsa_fp16_overflow 0
		.amdhsa_workgroup_processor_mode 1
		.amdhsa_memory_ordered 1
		.amdhsa_forward_progress 0
		.amdhsa_shared_vgpr_count 0
		.amdhsa_exception_fp_ieee_invalid_op 0
		.amdhsa_exception_fp_denorm_src 0
		.amdhsa_exception_fp_ieee_div_zero 0
		.amdhsa_exception_fp_ieee_overflow 0
		.amdhsa_exception_fp_ieee_underflow 0
		.amdhsa_exception_fp_ieee_inexact 0
		.amdhsa_exception_int_div_zero 0
	.end_amdhsa_kernel
	.section	.text._Z43inclusive_scan_array_prefix_callback_kernelILj65ELj5ELN6hipcub18BlockScanAlgorithmE1EfEvPT2_S3_S2_,"axG",@progbits,_Z43inclusive_scan_array_prefix_callback_kernelILj65ELj5ELN6hipcub18BlockScanAlgorithmE1EfEvPT2_S3_S2_,comdat
.Lfunc_end212:
	.size	_Z43inclusive_scan_array_prefix_callback_kernelILj65ELj5ELN6hipcub18BlockScanAlgorithmE1EfEvPT2_S3_S2_, .Lfunc_end212-_Z43inclusive_scan_array_prefix_callback_kernelILj65ELj5ELN6hipcub18BlockScanAlgorithmE1EfEvPT2_S3_S2_
                                        ; -- End function
	.section	.AMDGPU.csdata,"",@progbits
; Kernel info:
; codeLenInByte = 928
; NumSgprs: 18
; NumVgprs: 27
; ScratchSize: 0
; MemoryBound: 0
; FloatMode: 240
; IeeeMode: 1
; LDSByteSize: 384 bytes/workgroup (compile time only)
; SGPRBlocks: 2
; VGPRBlocks: 3
; NumSGPRsForWavesPerEU: 18
; NumVGPRsForWavesPerEU: 27
; Occupancy: 16
; WaveLimiterHint : 0
; COMPUTE_PGM_RSRC2:SCRATCH_EN: 0
; COMPUTE_PGM_RSRC2:USER_SGPR: 15
; COMPUTE_PGM_RSRC2:TRAP_HANDLER: 0
; COMPUTE_PGM_RSRC2:TGID_X_EN: 1
; COMPUTE_PGM_RSRC2:TGID_Y_EN: 0
; COMPUTE_PGM_RSRC2:TGID_Z_EN: 0
; COMPUTE_PGM_RSRC2:TIDIG_COMP_CNT: 0
	.section	.text._Z43inclusive_scan_array_prefix_callback_kernelILj37ELj2ELN6hipcub18BlockScanAlgorithmE1EfEvPT2_S3_S2_,"axG",@progbits,_Z43inclusive_scan_array_prefix_callback_kernelILj37ELj2ELN6hipcub18BlockScanAlgorithmE1EfEvPT2_S3_S2_,comdat
	.protected	_Z43inclusive_scan_array_prefix_callback_kernelILj37ELj2ELN6hipcub18BlockScanAlgorithmE1EfEvPT2_S3_S2_ ; -- Begin function _Z43inclusive_scan_array_prefix_callback_kernelILj37ELj2ELN6hipcub18BlockScanAlgorithmE1EfEvPT2_S3_S2_
	.globl	_Z43inclusive_scan_array_prefix_callback_kernelILj37ELj2ELN6hipcub18BlockScanAlgorithmE1EfEvPT2_S3_S2_
	.p2align	8
	.type	_Z43inclusive_scan_array_prefix_callback_kernelILj37ELj2ELN6hipcub18BlockScanAlgorithmE1EfEvPT2_S3_S2_,@function
_Z43inclusive_scan_array_prefix_callback_kernelILj37ELj2ELN6hipcub18BlockScanAlgorithmE1EfEvPT2_S3_S2_: ; @_Z43inclusive_scan_array_prefix_callback_kernelILj37ELj2ELN6hipcub18BlockScanAlgorithmE1EfEvPT2_S3_S2_
; %bb.0:
	s_load_b128 s[4:7], s[0:1], 0x0
	s_mul_i32 s2, s15, 37
	v_mov_b32_e32 v2, 0
	v_add_lshl_u32 v1, s2, v0, 1
	v_lshrrev_b32_e32 v5, 5, v0
	s_mov_b32 s8, s15
	s_delay_alu instid0(VALU_DEP_2) | instskip(NEXT) | instid1(VALU_DEP_2)
	v_lshlrev_b64 v[1:2], 2, v[1:2]
	v_add_lshl_u32 v6, v5, v0, 2
	s_waitcnt lgkmcnt(0)
	s_delay_alu instid0(VALU_DEP_2) | instskip(NEXT) | instid1(VALU_DEP_3)
	v_add_co_u32 v1, vcc_lo, s4, v1
	v_add_co_ci_u32_e32 v2, vcc_lo, s5, v2, vcc_lo
	v_cmp_gt_u32_e32 vcc_lo, 32, v0
	global_load_b64 v[3:4], v[1:2], off
	s_waitcnt vmcnt(0)
	v_add_f32_e32 v5, v3, v4
	ds_store_b32 v6, v5
	s_waitcnt lgkmcnt(0)
	s_barrier
	buffer_gl0_inv
	s_and_saveexec_b32 s3, vcc_lo
	s_cbranch_execz .LBB213_2
; %bb.1:
	v_lshrrev_b32_e32 v6, 2, v0
	v_mbcnt_lo_u32_b32 v10, -1, 0
	s_delay_alu instid0(VALU_DEP_2) | instskip(NEXT) | instid1(VALU_DEP_2)
	v_and_b32_e32 v6, 12, v6
	v_and_b32_e32 v13, 16, v10
	;; [unrolled: 1-line block ×3, first 2 shown]
	s_delay_alu instid0(VALU_DEP_3) | instskip(NEXT) | instid1(VALU_DEP_2)
	v_lshl_or_b32 v8, v0, 3, v6
	v_cmp_eq_u32_e64 s2, 0, v12
	ds_load_2addr_b32 v[6:7], v8 offset1:1
	s_waitcnt lgkmcnt(0)
	v_add_f32_e32 v9, v6, v7
	s_delay_alu instid0(VALU_DEP_1) | instskip(NEXT) | instid1(VALU_DEP_1)
	v_mov_b32_dpp v11, v9 row_shr:1 row_mask:0xf bank_mask:0xf
	v_add_f32_e32 v11, v9, v11
	s_delay_alu instid0(VALU_DEP_1) | instskip(SKIP_1) | instid1(VALU_DEP_2)
	v_cndmask_b32_e64 v9, v11, v9, s2
	v_cmp_lt_u32_e64 s2, 1, v12
	v_mov_b32_dpp v11, v9 row_shr:2 row_mask:0xf bank_mask:0xf
	s_delay_alu instid0(VALU_DEP_1) | instskip(NEXT) | instid1(VALU_DEP_1)
	v_add_f32_e32 v11, v9, v11
	v_cndmask_b32_e64 v9, v9, v11, s2
	v_cmp_lt_u32_e64 s2, 3, v12
	s_delay_alu instid0(VALU_DEP_2) | instskip(NEXT) | instid1(VALU_DEP_1)
	v_mov_b32_dpp v11, v9 row_shr:4 row_mask:0xf bank_mask:0xf
	v_add_f32_e32 v11, v9, v11
	s_delay_alu instid0(VALU_DEP_1) | instskip(SKIP_2) | instid1(VALU_DEP_3)
	v_cndmask_b32_e64 v9, v9, v11, s2
	v_cmp_lt_u32_e64 s2, 7, v12
	v_add_nc_u32_e32 v12, -1, v10
	v_mov_b32_dpp v11, v9 row_shr:8 row_mask:0xf bank_mask:0xf
	s_delay_alu instid0(VALU_DEP_1) | instskip(NEXT) | instid1(VALU_DEP_1)
	v_add_f32_e32 v11, v9, v11
	v_cndmask_b32_e64 v9, v9, v11, s2
	s_delay_alu instid0(VALU_DEP_4) | instskip(SKIP_4) | instid1(VALU_DEP_2)
	v_cmp_gt_i32_e64 s2, 0, v12
	ds_swizzle_b32 v11, v9 offset:swizzle(BROADCAST,32,15)
	v_cndmask_b32_e64 v10, v12, v10, s2
	v_cmp_eq_u32_e64 s2, 0, v13
	s_waitcnt lgkmcnt(0)
	v_dual_add_f32 v11, v9, v11 :: v_dual_lshlrev_b32 v10, 2, v10
	s_delay_alu instid0(VALU_DEP_1) | instskip(SKIP_4) | instid1(VALU_DEP_1)
	v_cndmask_b32_e64 v9, v11, v9, s2
	v_cmp_eq_u32_e64 s2, 0, v0
	ds_bpermute_b32 v9, v10, v9
	s_waitcnt lgkmcnt(0)
	v_add_f32_e32 v6, v6, v9
	v_cndmask_b32_e64 v6, v6, v5, s2
	s_delay_alu instid0(VALU_DEP_1)
	v_add_f32_e32 v7, v7, v6
	ds_store_2addr_b32 v8, v6, v7 offset1:1
.LBB213_2:
	s_or_b32 exec_lo, exec_lo, s3
	v_cmp_eq_u32_e64 s2, 0, v0
	s_mov_b32 s4, exec_lo
	s_waitcnt lgkmcnt(0)
	s_barrier
	buffer_gl0_inv
	v_cmpx_ne_u32_e32 0, v0
	s_cbranch_execz .LBB213_4
; %bb.3:
	v_add_nc_u32_e32 v0, -1, v0
	s_delay_alu instid0(VALU_DEP_1) | instskip(NEXT) | instid1(VALU_DEP_1)
	v_lshrrev_b32_e32 v5, 5, v0
	v_add_lshl_u32 v0, v5, v0, 2
	ds_load_b32 v5, v0
.LBB213_4:
	s_or_b32 exec_lo, exec_lo, s4
	s_load_b32 s1, s[0:1], 0x10
	s_waitcnt lgkmcnt(0)
	v_mov_b32_e32 v0, s1
	s_and_saveexec_b32 s0, vcc_lo
	s_cbranch_execz .LBB213_8
; %bb.5:
	v_mov_b32_e32 v6, 0
	ds_load_b32 v0, v6 offset:148
	s_and_saveexec_b32 s3, s2
	s_cbranch_execz .LBB213_7
; %bb.6:
	v_mov_b32_e32 v7, s1
	ds_store_b32 v6, v7
.LBB213_7:
	s_or_b32 exec_lo, exec_lo, s3
	s_waitcnt lgkmcnt(0)
	v_add_f32_e32 v0, s1, v0
.LBB213_8:
	s_or_b32 exec_lo, exec_lo, s0
	v_dual_mov_b32 v6, 0 :: v_dual_add_f32 v5, v3, v5
	s_barrier
	buffer_gl0_inv
	ds_load_b32 v7, v6
	v_cndmask_b32_e64 v3, v5, v3, s2
	s_waitcnt lgkmcnt(0)
	s_delay_alu instid0(VALU_DEP_1) | instskip(NEXT) | instid1(VALU_DEP_1)
	v_add_f32_e32 v3, v3, v7
	v_add_f32_e32 v4, v4, v3
	global_store_b64 v[1:2], v[3:4], off
	s_and_saveexec_b32 s0, s2
	s_cbranch_execz .LBB213_10
; %bb.9:
	s_mov_b32 s9, 0
	s_delay_alu instid0(SALU_CYCLE_1) | instskip(NEXT) | instid1(SALU_CYCLE_1)
	s_lshl_b64 s[0:1], s[8:9], 2
	s_add_u32 s0, s6, s0
	s_addc_u32 s1, s7, s1
	global_store_b32 v6, v0, s[0:1]
.LBB213_10:
	s_nop 0
	s_sendmsg sendmsg(MSG_DEALLOC_VGPRS)
	s_endpgm
	.section	.rodata,"a",@progbits
	.p2align	6, 0x0
	.amdhsa_kernel _Z43inclusive_scan_array_prefix_callback_kernelILj37ELj2ELN6hipcub18BlockScanAlgorithmE1EfEvPT2_S3_S2_
		.amdhsa_group_segment_fixed_size 264
		.amdhsa_private_segment_fixed_size 0
		.amdhsa_kernarg_size 20
		.amdhsa_user_sgpr_count 15
		.amdhsa_user_sgpr_dispatch_ptr 0
		.amdhsa_user_sgpr_queue_ptr 0
		.amdhsa_user_sgpr_kernarg_segment_ptr 1
		.amdhsa_user_sgpr_dispatch_id 0
		.amdhsa_user_sgpr_private_segment_size 0
		.amdhsa_wavefront_size32 1
		.amdhsa_uses_dynamic_stack 0
		.amdhsa_enable_private_segment 0
		.amdhsa_system_sgpr_workgroup_id_x 1
		.amdhsa_system_sgpr_workgroup_id_y 0
		.amdhsa_system_sgpr_workgroup_id_z 0
		.amdhsa_system_sgpr_workgroup_info 0
		.amdhsa_system_vgpr_workitem_id 0
		.amdhsa_next_free_vgpr 14
		.amdhsa_next_free_sgpr 16
		.amdhsa_reserve_vcc 1
		.amdhsa_float_round_mode_32 0
		.amdhsa_float_round_mode_16_64 0
		.amdhsa_float_denorm_mode_32 3
		.amdhsa_float_denorm_mode_16_64 3
		.amdhsa_dx10_clamp 1
		.amdhsa_ieee_mode 1
		.amdhsa_fp16_overflow 0
		.amdhsa_workgroup_processor_mode 1
		.amdhsa_memory_ordered 1
		.amdhsa_forward_progress 0
		.amdhsa_shared_vgpr_count 0
		.amdhsa_exception_fp_ieee_invalid_op 0
		.amdhsa_exception_fp_denorm_src 0
		.amdhsa_exception_fp_ieee_div_zero 0
		.amdhsa_exception_fp_ieee_overflow 0
		.amdhsa_exception_fp_ieee_underflow 0
		.amdhsa_exception_fp_ieee_inexact 0
		.amdhsa_exception_int_div_zero 0
	.end_amdhsa_kernel
	.section	.text._Z43inclusive_scan_array_prefix_callback_kernelILj37ELj2ELN6hipcub18BlockScanAlgorithmE1EfEvPT2_S3_S2_,"axG",@progbits,_Z43inclusive_scan_array_prefix_callback_kernelILj37ELj2ELN6hipcub18BlockScanAlgorithmE1EfEvPT2_S3_S2_,comdat
.Lfunc_end213:
	.size	_Z43inclusive_scan_array_prefix_callback_kernelILj37ELj2ELN6hipcub18BlockScanAlgorithmE1EfEvPT2_S3_S2_, .Lfunc_end213-_Z43inclusive_scan_array_prefix_callback_kernelILj37ELj2ELN6hipcub18BlockScanAlgorithmE1EfEvPT2_S3_S2_
                                        ; -- End function
	.section	.AMDGPU.csdata,"",@progbits
; Kernel info:
; codeLenInByte = 680
; NumSgprs: 18
; NumVgprs: 14
; ScratchSize: 0
; MemoryBound: 0
; FloatMode: 240
; IeeeMode: 1
; LDSByteSize: 264 bytes/workgroup (compile time only)
; SGPRBlocks: 2
; VGPRBlocks: 1
; NumSGPRsForWavesPerEU: 18
; NumVGPRsForWavesPerEU: 14
; Occupancy: 16
; WaveLimiterHint : 0
; COMPUTE_PGM_RSRC2:SCRATCH_EN: 0
; COMPUTE_PGM_RSRC2:USER_SGPR: 15
; COMPUTE_PGM_RSRC2:TRAP_HANDLER: 0
; COMPUTE_PGM_RSRC2:TGID_X_EN: 1
; COMPUTE_PGM_RSRC2:TGID_Y_EN: 0
; COMPUTE_PGM_RSRC2:TGID_Z_EN: 0
; COMPUTE_PGM_RSRC2:TIDIG_COMP_CNT: 0
	.section	.text._Z43inclusive_scan_array_prefix_callback_kernelILj512ELj4ELN6hipcub18BlockScanAlgorithmE1EjEvPT2_S3_S2_,"axG",@progbits,_Z43inclusive_scan_array_prefix_callback_kernelILj512ELj4ELN6hipcub18BlockScanAlgorithmE1EjEvPT2_S3_S2_,comdat
	.protected	_Z43inclusive_scan_array_prefix_callback_kernelILj512ELj4ELN6hipcub18BlockScanAlgorithmE1EjEvPT2_S3_S2_ ; -- Begin function _Z43inclusive_scan_array_prefix_callback_kernelILj512ELj4ELN6hipcub18BlockScanAlgorithmE1EjEvPT2_S3_S2_
	.globl	_Z43inclusive_scan_array_prefix_callback_kernelILj512ELj4ELN6hipcub18BlockScanAlgorithmE1EjEvPT2_S3_S2_
	.p2align	8
	.type	_Z43inclusive_scan_array_prefix_callback_kernelILj512ELj4ELN6hipcub18BlockScanAlgorithmE1EjEvPT2_S3_S2_,@function
_Z43inclusive_scan_array_prefix_callback_kernelILj512ELj4ELN6hipcub18BlockScanAlgorithmE1EjEvPT2_S3_S2_: ; @_Z43inclusive_scan_array_prefix_callback_kernelILj512ELj4ELN6hipcub18BlockScanAlgorithmE1EjEvPT2_S3_S2_
; %bb.0:
	s_load_b128 s[4:7], s[0:1], 0x0
	v_lshlrev_b32_e32 v1, 2, v0
	s_mov_b32 s8, s15
	v_mov_b32_e32 v7, 0
	v_lshrrev_b32_e32 v8, 5, v0
	s_delay_alu instid0(VALU_DEP_3) | instskip(NEXT) | instid1(VALU_DEP_2)
	v_lshl_or_b32 v6, s8, 11, v1
	v_add_lshl_u32 v10, v8, v0, 2
	s_delay_alu instid0(VALU_DEP_2) | instskip(SKIP_1) | instid1(VALU_DEP_1)
	v_lshlrev_b64 v[1:2], 2, v[6:7]
	s_waitcnt lgkmcnt(0)
	v_add_co_u32 v5, vcc_lo, s4, v1
	s_delay_alu instid0(VALU_DEP_2) | instskip(SKIP_4) | instid1(VALU_DEP_1)
	v_add_co_ci_u32_e32 v6, vcc_lo, s5, v2, vcc_lo
	v_cmp_gt_u32_e32 vcc_lo, 32, v0
	global_load_b128 v[1:4], v[5:6], off
	s_waitcnt vmcnt(0)
	v_add_nc_u32_e32 v9, v2, v1
	v_add3_u32 v8, v9, v3, v4
	ds_store_b32 v10, v8
	s_waitcnt lgkmcnt(0)
	s_barrier
	buffer_gl0_inv
	s_and_saveexec_b32 s3, vcc_lo
	s_cbranch_execz .LBB214_2
; %bb.1:
	v_lshlrev_b32_e32 v9, 1, v0
	v_mbcnt_lo_u32_b32 v27, -1, 0
	s_delay_alu instid0(VALU_DEP_2) | instskip(NEXT) | instid1(VALU_DEP_2)
	v_and_b32_e32 v9, 0x3fc, v9
	v_and_b32_e32 v28, 15, v27
	v_bfe_i32 v30, v27, 4, 1
	s_delay_alu instid0(VALU_DEP_3) | instskip(NEXT) | instid1(VALU_DEP_3)
	v_lshl_or_b32 v25, v0, 6, v9
	v_cmp_ne_u32_e64 s2, 0, v28
	ds_load_2addr_b32 v[9:10], v25 offset1:1
	ds_load_2addr_b32 v[11:12], v25 offset0:2 offset1:3
	ds_load_2addr_b32 v[13:14], v25 offset0:4 offset1:5
	;; [unrolled: 1-line block ×4, first 2 shown]
	s_waitcnt lgkmcnt(4)
	v_add_nc_u32_e32 v19, v10, v9
	s_waitcnt lgkmcnt(3)
	s_delay_alu instid0(VALU_DEP_1)
	v_add3_u32 v21, v19, v11, v12
	ds_load_2addr_b32 v[19:20], v25 offset0:10 offset1:11
	s_waitcnt lgkmcnt(3)
	v_add3_u32 v26, v21, v13, v14
	ds_load_2addr_b32 v[21:22], v25 offset0:12 offset1:13
	ds_load_2addr_b32 v[23:24], v25 offset0:14 offset1:15
	s_waitcnt lgkmcnt(4)
	v_add3_u32 v26, v26, v15, v16
	s_waitcnt lgkmcnt(3)
	s_delay_alu instid0(VALU_DEP_1) | instskip(SKIP_1) | instid1(VALU_DEP_1)
	v_add3_u32 v26, v26, v17, v18
	s_waitcnt lgkmcnt(2)
	v_add3_u32 v26, v26, v19, v20
	s_waitcnt lgkmcnt(1)
	s_delay_alu instid0(VALU_DEP_1) | instskip(SKIP_1) | instid1(VALU_DEP_1)
	v_add3_u32 v26, v26, v21, v22
	s_waitcnt lgkmcnt(0)
	v_add3_u32 v26, v26, v23, v24
	s_delay_alu instid0(VALU_DEP_1) | instskip(NEXT) | instid1(VALU_DEP_1)
	v_mov_b32_dpp v29, v26 row_shr:1 row_mask:0xf bank_mask:0xf
	v_cndmask_b32_e64 v29, 0, v29, s2
	v_cmp_lt_u32_e64 s2, 1, v28
	s_delay_alu instid0(VALU_DEP_2) | instskip(NEXT) | instid1(VALU_DEP_1)
	v_add_nc_u32_e32 v26, v29, v26
	v_mov_b32_dpp v29, v26 row_shr:2 row_mask:0xf bank_mask:0xf
	s_delay_alu instid0(VALU_DEP_1) | instskip(SKIP_1) | instid1(VALU_DEP_2)
	v_cndmask_b32_e64 v29, 0, v29, s2
	v_cmp_lt_u32_e64 s2, 3, v28
	v_add_nc_u32_e32 v26, v26, v29
	s_delay_alu instid0(VALU_DEP_1) | instskip(NEXT) | instid1(VALU_DEP_1)
	v_mov_b32_dpp v29, v26 row_shr:4 row_mask:0xf bank_mask:0xf
	v_cndmask_b32_e64 v29, 0, v29, s2
	v_cmp_lt_u32_e64 s2, 7, v28
	s_delay_alu instid0(VALU_DEP_2) | instskip(NEXT) | instid1(VALU_DEP_1)
	v_add_nc_u32_e32 v26, v26, v29
	v_mov_b32_dpp v29, v26 row_shr:8 row_mask:0xf bank_mask:0xf
	s_delay_alu instid0(VALU_DEP_1) | instskip(SKIP_1) | instid1(VALU_DEP_2)
	v_cndmask_b32_e64 v28, 0, v29, s2
	v_add_nc_u32_e32 v29, -1, v27
	v_add_nc_u32_e32 v26, v26, v28
	s_delay_alu instid0(VALU_DEP_2) | instskip(SKIP_3) | instid1(VALU_DEP_2)
	v_cmp_gt_i32_e64 s2, 0, v29
	ds_swizzle_b32 v28, v26 offset:swizzle(BROADCAST,32,15)
	v_cndmask_b32_e64 v27, v29, v27, s2
	v_cmp_eq_u32_e64 s2, 0, v0
	v_lshlrev_b32_e32 v27, 2, v27
	s_waitcnt lgkmcnt(0)
	v_and_b32_e32 v28, v30, v28
	s_delay_alu instid0(VALU_DEP_1) | instskip(SKIP_3) | instid1(VALU_DEP_1)
	v_add_nc_u32_e32 v26, v26, v28
	ds_bpermute_b32 v26, v27, v26
	s_waitcnt lgkmcnt(0)
	v_add_nc_u32_e32 v9, v26, v9
	v_cndmask_b32_e64 v8, v9, v8, s2
	s_delay_alu instid0(VALU_DEP_1) | instskip(NEXT) | instid1(VALU_DEP_1)
	v_add_nc_u32_e32 v9, v8, v10
	v_add_nc_u32_e32 v10, v9, v11
	s_delay_alu instid0(VALU_DEP_1) | instskip(NEXT) | instid1(VALU_DEP_1)
	v_add_nc_u32_e32 v11, v10, v12
	v_add_nc_u32_e32 v12, v11, v13
	;; [unrolled: 3-line block ×7, first 2 shown]
	s_delay_alu instid0(VALU_DEP_1)
	v_add_nc_u32_e32 v23, v22, v24
	ds_store_2addr_b32 v25, v8, v9 offset1:1
	ds_store_2addr_b32 v25, v10, v11 offset0:2 offset1:3
	ds_store_2addr_b32 v25, v12, v13 offset0:4 offset1:5
	;; [unrolled: 1-line block ×7, first 2 shown]
.LBB214_2:
	s_or_b32 exec_lo, exec_lo, s3
	v_cmp_eq_u32_e64 s2, 0, v0
	s_mov_b32 s4, exec_lo
	s_waitcnt lgkmcnt(0)
	s_barrier
	buffer_gl0_inv
	v_cmpx_ne_u32_e32 0, v0
	s_cbranch_execz .LBB214_4
; %bb.3:
	v_add_nc_u32_e32 v0, -1, v0
	s_delay_alu instid0(VALU_DEP_1) | instskip(NEXT) | instid1(VALU_DEP_1)
	v_lshrrev_b32_e32 v7, 5, v0
	v_add_lshl_u32 v0, v7, v0, 2
	ds_load_b32 v7, v0
.LBB214_4:
	s_or_b32 exec_lo, exec_lo, s4
	s_load_b32 s1, s[0:1], 0x10
	s_waitcnt lgkmcnt(0)
	v_mov_b32_e32 v0, s1
	s_and_saveexec_b32 s0, vcc_lo
	s_cbranch_execz .LBB214_8
; %bb.5:
	v_mov_b32_e32 v8, 0
	ds_load_b32 v0, v8 offset:2104
	s_and_saveexec_b32 s3, s2
	s_cbranch_execz .LBB214_7
; %bb.6:
	v_mov_b32_e32 v9, s1
	ds_store_b32 v8, v9
.LBB214_7:
	s_or_b32 exec_lo, exec_lo, s3
	s_waitcnt lgkmcnt(0)
	v_add_nc_u32_e32 v0, s1, v0
.LBB214_8:
	s_or_b32 exec_lo, exec_lo, s0
	v_mov_b32_e32 v8, 0
	s_barrier
	buffer_gl0_inv
	ds_load_b32 v9, v8
	s_waitcnt lgkmcnt(0)
	v_add3_u32 v1, v7, v1, v9
	s_delay_alu instid0(VALU_DEP_1) | instskip(NEXT) | instid1(VALU_DEP_1)
	v_add_nc_u32_e32 v2, v1, v2
	v_add_nc_u32_e32 v3, v2, v3
	s_delay_alu instid0(VALU_DEP_1)
	v_add_nc_u32_e32 v4, v3, v4
	global_store_b128 v[5:6], v[1:4], off
	s_and_saveexec_b32 s0, s2
	s_cbranch_execz .LBB214_10
; %bb.9:
	s_mov_b32 s9, 0
	s_delay_alu instid0(SALU_CYCLE_1) | instskip(NEXT) | instid1(SALU_CYCLE_1)
	s_lshl_b64 s[0:1], s[8:9], 2
	s_add_u32 s0, s6, s0
	s_addc_u32 s1, s7, s1
	global_store_b32 v8, v0, s[0:1]
.LBB214_10:
	s_nop 0
	s_sendmsg sendmsg(MSG_DEALLOC_VGPRS)
	s_endpgm
	.section	.rodata,"a",@progbits
	.p2align	6, 0x0
	.amdhsa_kernel _Z43inclusive_scan_array_prefix_callback_kernelILj512ELj4ELN6hipcub18BlockScanAlgorithmE1EjEvPT2_S3_S2_
		.amdhsa_group_segment_fixed_size 2112
		.amdhsa_private_segment_fixed_size 0
		.amdhsa_kernarg_size 20
		.amdhsa_user_sgpr_count 15
		.amdhsa_user_sgpr_dispatch_ptr 0
		.amdhsa_user_sgpr_queue_ptr 0
		.amdhsa_user_sgpr_kernarg_segment_ptr 1
		.amdhsa_user_sgpr_dispatch_id 0
		.amdhsa_user_sgpr_private_segment_size 0
		.amdhsa_wavefront_size32 1
		.amdhsa_uses_dynamic_stack 0
		.amdhsa_enable_private_segment 0
		.amdhsa_system_sgpr_workgroup_id_x 1
		.amdhsa_system_sgpr_workgroup_id_y 0
		.amdhsa_system_sgpr_workgroup_id_z 0
		.amdhsa_system_sgpr_workgroup_info 0
		.amdhsa_system_vgpr_workitem_id 0
		.amdhsa_next_free_vgpr 31
		.amdhsa_next_free_sgpr 16
		.amdhsa_reserve_vcc 1
		.amdhsa_float_round_mode_32 0
		.amdhsa_float_round_mode_16_64 0
		.amdhsa_float_denorm_mode_32 3
		.amdhsa_float_denorm_mode_16_64 3
		.amdhsa_dx10_clamp 1
		.amdhsa_ieee_mode 1
		.amdhsa_fp16_overflow 0
		.amdhsa_workgroup_processor_mode 1
		.amdhsa_memory_ordered 1
		.amdhsa_forward_progress 0
		.amdhsa_shared_vgpr_count 0
		.amdhsa_exception_fp_ieee_invalid_op 0
		.amdhsa_exception_fp_denorm_src 0
		.amdhsa_exception_fp_ieee_div_zero 0
		.amdhsa_exception_fp_ieee_overflow 0
		.amdhsa_exception_fp_ieee_underflow 0
		.amdhsa_exception_fp_ieee_inexact 0
		.amdhsa_exception_int_div_zero 0
	.end_amdhsa_kernel
	.section	.text._Z43inclusive_scan_array_prefix_callback_kernelILj512ELj4ELN6hipcub18BlockScanAlgorithmE1EjEvPT2_S3_S2_,"axG",@progbits,_Z43inclusive_scan_array_prefix_callback_kernelILj512ELj4ELN6hipcub18BlockScanAlgorithmE1EjEvPT2_S3_S2_,comdat
.Lfunc_end214:
	.size	_Z43inclusive_scan_array_prefix_callback_kernelILj512ELj4ELN6hipcub18BlockScanAlgorithmE1EjEvPT2_S3_S2_, .Lfunc_end214-_Z43inclusive_scan_array_prefix_callback_kernelILj512ELj4ELN6hipcub18BlockScanAlgorithmE1EjEvPT2_S3_S2_
                                        ; -- End function
	.section	.AMDGPU.csdata,"",@progbits
; Kernel info:
; codeLenInByte = 984
; NumSgprs: 18
; NumVgprs: 31
; ScratchSize: 0
; MemoryBound: 0
; FloatMode: 240
; IeeeMode: 1
; LDSByteSize: 2112 bytes/workgroup (compile time only)
; SGPRBlocks: 2
; VGPRBlocks: 3
; NumSGPRsForWavesPerEU: 18
; NumVGPRsForWavesPerEU: 31
; Occupancy: 16
; WaveLimiterHint : 0
; COMPUTE_PGM_RSRC2:SCRATCH_EN: 0
; COMPUTE_PGM_RSRC2:USER_SGPR: 15
; COMPUTE_PGM_RSRC2:TRAP_HANDLER: 0
; COMPUTE_PGM_RSRC2:TGID_X_EN: 1
; COMPUTE_PGM_RSRC2:TGID_Y_EN: 0
; COMPUTE_PGM_RSRC2:TGID_Z_EN: 0
; COMPUTE_PGM_RSRC2:TIDIG_COMP_CNT: 0
	.section	.text._Z43inclusive_scan_array_prefix_callback_kernelILj256ELj3ELN6hipcub18BlockScanAlgorithmE1EiEvPT2_S3_S2_,"axG",@progbits,_Z43inclusive_scan_array_prefix_callback_kernelILj256ELj3ELN6hipcub18BlockScanAlgorithmE1EiEvPT2_S3_S2_,comdat
	.protected	_Z43inclusive_scan_array_prefix_callback_kernelILj256ELj3ELN6hipcub18BlockScanAlgorithmE1EiEvPT2_S3_S2_ ; -- Begin function _Z43inclusive_scan_array_prefix_callback_kernelILj256ELj3ELN6hipcub18BlockScanAlgorithmE1EiEvPT2_S3_S2_
	.globl	_Z43inclusive_scan_array_prefix_callback_kernelILj256ELj3ELN6hipcub18BlockScanAlgorithmE1EiEvPT2_S3_S2_
	.p2align	8
	.type	_Z43inclusive_scan_array_prefix_callback_kernelILj256ELj3ELN6hipcub18BlockScanAlgorithmE1EiEvPT2_S3_S2_,@function
_Z43inclusive_scan_array_prefix_callback_kernelILj256ELj3ELN6hipcub18BlockScanAlgorithmE1EiEvPT2_S3_S2_: ; @_Z43inclusive_scan_array_prefix_callback_kernelILj256ELj3ELN6hipcub18BlockScanAlgorithmE1EiEvPT2_S3_S2_
; %bb.0:
	s_mov_b32 s8, s15
	s_load_b128 s[4:7], s[0:1], 0x0
	v_lshl_or_b32 v1, s8, 8, v0
	v_lshrrev_b32_e32 v11, 5, v0
	s_delay_alu instid0(VALU_DEP_2) | instskip(SKIP_1) | instid1(VALU_DEP_3)
	v_lshl_add_u32 v1, v1, 1, v1
	v_mov_b32_e32 v2, 0
	v_add_lshl_u32 v12, v11, v0, 2
	s_delay_alu instid0(VALU_DEP_2) | instskip(SKIP_2) | instid1(VALU_DEP_3)
	v_dual_mov_b32 v4, v2 :: v_dual_add_nc_u32 v3, 1, v1
	v_lshlrev_b64 v[5:6], 2, v[1:2]
	v_add_nc_u32_e32 v1, 2, v1
	v_lshlrev_b64 v[7:8], 2, v[3:4]
	s_delay_alu instid0(VALU_DEP_2) | instskip(SKIP_1) | instid1(VALU_DEP_4)
	v_lshlrev_b64 v[9:10], 2, v[1:2]
	s_waitcnt lgkmcnt(0)
	v_add_co_u32 v3, vcc_lo, s4, v5
	v_add_co_ci_u32_e32 v4, vcc_lo, s5, v6, vcc_lo
	s_delay_alu instid0(VALU_DEP_4)
	v_add_co_u32 v5, vcc_lo, s4, v7
	v_add_co_ci_u32_e32 v6, vcc_lo, s5, v8, vcc_lo
	v_add_co_u32 v7, vcc_lo, s4, v9
	v_add_co_ci_u32_e32 v8, vcc_lo, s5, v10, vcc_lo
	s_clause 0x2
	global_load_b32 v1, v[3:4], off
	global_load_b32 v9, v[5:6], off
	;; [unrolled: 1-line block ×3, first 2 shown]
	v_cmp_gt_u32_e32 vcc_lo, 32, v0
	s_waitcnt vmcnt(0)
	v_add3_u32 v11, v9, v1, v10
	ds_store_b32 v12, v11
	s_waitcnt lgkmcnt(0)
	s_barrier
	buffer_gl0_inv
	s_and_saveexec_b32 s3, vcc_lo
	s_cbranch_execz .LBB215_2
; %bb.1:
	v_and_b32_e32 v12, 0xfc, v0
	v_mbcnt_lo_u32_b32 v22, -1, 0
	s_delay_alu instid0(VALU_DEP_2) | instskip(NEXT) | instid1(VALU_DEP_2)
	v_lshl_or_b32 v20, v0, 5, v12
	v_and_b32_e32 v23, 15, v22
	v_add_nc_u32_e32 v25, -1, v22
	ds_load_2addr_b32 v[12:13], v20 offset1:1
	ds_load_2addr_b32 v[14:15], v20 offset0:2 offset1:3
	ds_load_2addr_b32 v[16:17], v20 offset0:4 offset1:5
	;; [unrolled: 1-line block ×3, first 2 shown]
	v_cmp_ne_u32_e64 s2, 0, v23
	s_waitcnt lgkmcnt(3)
	v_add_nc_u32_e32 v21, v13, v12
	s_waitcnt lgkmcnt(2)
	s_delay_alu instid0(VALU_DEP_1) | instskip(SKIP_1) | instid1(VALU_DEP_1)
	v_add3_u32 v21, v21, v14, v15
	s_waitcnt lgkmcnt(1)
	v_add3_u32 v21, v21, v16, v17
	s_waitcnt lgkmcnt(0)
	s_delay_alu instid0(VALU_DEP_1) | instskip(NEXT) | instid1(VALU_DEP_1)
	v_add3_u32 v21, v21, v18, v19
	v_mov_b32_dpp v24, v21 row_shr:1 row_mask:0xf bank_mask:0xf
	s_delay_alu instid0(VALU_DEP_1) | instskip(SKIP_1) | instid1(VALU_DEP_2)
	v_cndmask_b32_e64 v24, 0, v24, s2
	v_cmp_lt_u32_e64 s2, 1, v23
	v_add_nc_u32_e32 v21, v24, v21
	s_delay_alu instid0(VALU_DEP_1) | instskip(NEXT) | instid1(VALU_DEP_1)
	v_mov_b32_dpp v24, v21 row_shr:2 row_mask:0xf bank_mask:0xf
	v_cndmask_b32_e64 v24, 0, v24, s2
	v_cmp_lt_u32_e64 s2, 3, v23
	s_delay_alu instid0(VALU_DEP_2) | instskip(NEXT) | instid1(VALU_DEP_1)
	v_add_nc_u32_e32 v21, v21, v24
	v_mov_b32_dpp v24, v21 row_shr:4 row_mask:0xf bank_mask:0xf
	s_delay_alu instid0(VALU_DEP_1) | instskip(SKIP_1) | instid1(VALU_DEP_2)
	v_cndmask_b32_e64 v24, 0, v24, s2
	v_cmp_lt_u32_e64 s2, 7, v23
	v_add_nc_u32_e32 v21, v21, v24
	s_delay_alu instid0(VALU_DEP_1) | instskip(NEXT) | instid1(VALU_DEP_1)
	v_mov_b32_dpp v24, v21 row_shr:8 row_mask:0xf bank_mask:0xf
	v_cndmask_b32_e64 v23, 0, v24, s2
	v_bfe_i32 v24, v22, 4, 1
	v_cmp_gt_i32_e64 s2, 0, v25
	s_delay_alu instid0(VALU_DEP_3) | instskip(NEXT) | instid1(VALU_DEP_2)
	v_add_nc_u32_e32 v21, v21, v23
	v_cndmask_b32_e64 v22, v25, v22, s2
	v_cmp_eq_u32_e64 s2, 0, v0
	ds_swizzle_b32 v23, v21 offset:swizzle(BROADCAST,32,15)
	v_lshlrev_b32_e32 v22, 2, v22
	s_waitcnt lgkmcnt(0)
	v_and_b32_e32 v23, v24, v23
	s_delay_alu instid0(VALU_DEP_1) | instskip(SKIP_3) | instid1(VALU_DEP_1)
	v_add_nc_u32_e32 v21, v21, v23
	ds_bpermute_b32 v21, v22, v21
	s_waitcnt lgkmcnt(0)
	v_add_nc_u32_e32 v12, v21, v12
	v_cndmask_b32_e64 v11, v12, v11, s2
	s_delay_alu instid0(VALU_DEP_1) | instskip(NEXT) | instid1(VALU_DEP_1)
	v_add_nc_u32_e32 v12, v11, v13
	v_add_nc_u32_e32 v13, v12, v14
	s_delay_alu instid0(VALU_DEP_1) | instskip(NEXT) | instid1(VALU_DEP_1)
	v_add_nc_u32_e32 v14, v13, v15
	v_add_nc_u32_e32 v15, v14, v16
	s_delay_alu instid0(VALU_DEP_1) | instskip(NEXT) | instid1(VALU_DEP_1)
	v_add_nc_u32_e32 v16, v15, v17
	v_add_nc_u32_e32 v17, v16, v18
	s_delay_alu instid0(VALU_DEP_1)
	v_add_nc_u32_e32 v18, v17, v19
	ds_store_2addr_b32 v20, v11, v12 offset1:1
	ds_store_2addr_b32 v20, v13, v14 offset0:2 offset1:3
	ds_store_2addr_b32 v20, v15, v16 offset0:4 offset1:5
	;; [unrolled: 1-line block ×3, first 2 shown]
.LBB215_2:
	s_or_b32 exec_lo, exec_lo, s3
	v_cmp_eq_u32_e64 s2, 0, v0
	s_mov_b32 s4, exec_lo
	s_waitcnt lgkmcnt(0)
	s_barrier
	buffer_gl0_inv
	v_cmpx_ne_u32_e32 0, v0
	s_cbranch_execz .LBB215_4
; %bb.3:
	v_add_nc_u32_e32 v0, -1, v0
	s_delay_alu instid0(VALU_DEP_1) | instskip(NEXT) | instid1(VALU_DEP_1)
	v_lshrrev_b32_e32 v2, 5, v0
	v_add_lshl_u32 v0, v2, v0, 2
	ds_load_b32 v2, v0
.LBB215_4:
	s_or_b32 exec_lo, exec_lo, s4
	s_load_b32 s1, s[0:1], 0x10
	s_waitcnt lgkmcnt(0)
	v_mov_b32_e32 v0, s1
	s_and_saveexec_b32 s0, vcc_lo
	s_cbranch_execz .LBB215_8
; %bb.5:
	v_mov_b32_e32 v11, 0
	ds_load_b32 v0, v11 offset:1048
	s_and_saveexec_b32 s3, s2
	s_cbranch_execz .LBB215_7
; %bb.6:
	v_mov_b32_e32 v12, s1
	ds_store_b32 v11, v12
.LBB215_7:
	s_or_b32 exec_lo, exec_lo, s3
	s_waitcnt lgkmcnt(0)
	v_add_nc_u32_e32 v0, s1, v0
.LBB215_8:
	s_or_b32 exec_lo, exec_lo, s0
	v_mov_b32_e32 v11, 0
	s_barrier
	buffer_gl0_inv
	ds_load_b32 v12, v11
	s_waitcnt lgkmcnt(0)
	v_add3_u32 v1, v2, v1, v12
	s_delay_alu instid0(VALU_DEP_1) | instskip(NEXT) | instid1(VALU_DEP_1)
	v_add_nc_u32_e32 v2, v1, v9
	v_add_nc_u32_e32 v9, v2, v10
	s_clause 0x2
	global_store_b32 v[3:4], v1, off
	global_store_b32 v[5:6], v2, off
	;; [unrolled: 1-line block ×3, first 2 shown]
	s_and_saveexec_b32 s0, s2
	s_cbranch_execz .LBB215_10
; %bb.9:
	s_mov_b32 s9, 0
	s_delay_alu instid0(SALU_CYCLE_1) | instskip(NEXT) | instid1(SALU_CYCLE_1)
	s_lshl_b64 s[0:1], s[8:9], 2
	s_add_u32 s0, s6, s0
	s_addc_u32 s1, s7, s1
	global_store_b32 v11, v0, s[0:1]
.LBB215_10:
	s_nop 0
	s_sendmsg sendmsg(MSG_DEALLOC_VGPRS)
	s_endpgm
	.section	.rodata,"a",@progbits
	.p2align	6, 0x0
	.amdhsa_kernel _Z43inclusive_scan_array_prefix_callback_kernelILj256ELj3ELN6hipcub18BlockScanAlgorithmE1EiEvPT2_S3_S2_
		.amdhsa_group_segment_fixed_size 1056
		.amdhsa_private_segment_fixed_size 0
		.amdhsa_kernarg_size 20
		.amdhsa_user_sgpr_count 15
		.amdhsa_user_sgpr_dispatch_ptr 0
		.amdhsa_user_sgpr_queue_ptr 0
		.amdhsa_user_sgpr_kernarg_segment_ptr 1
		.amdhsa_user_sgpr_dispatch_id 0
		.amdhsa_user_sgpr_private_segment_size 0
		.amdhsa_wavefront_size32 1
		.amdhsa_uses_dynamic_stack 0
		.amdhsa_enable_private_segment 0
		.amdhsa_system_sgpr_workgroup_id_x 1
		.amdhsa_system_sgpr_workgroup_id_y 0
		.amdhsa_system_sgpr_workgroup_id_z 0
		.amdhsa_system_sgpr_workgroup_info 0
		.amdhsa_system_vgpr_workitem_id 0
		.amdhsa_next_free_vgpr 26
		.amdhsa_next_free_sgpr 16
		.amdhsa_reserve_vcc 1
		.amdhsa_float_round_mode_32 0
		.amdhsa_float_round_mode_16_64 0
		.amdhsa_float_denorm_mode_32 3
		.amdhsa_float_denorm_mode_16_64 3
		.amdhsa_dx10_clamp 1
		.amdhsa_ieee_mode 1
		.amdhsa_fp16_overflow 0
		.amdhsa_workgroup_processor_mode 1
		.amdhsa_memory_ordered 1
		.amdhsa_forward_progress 0
		.amdhsa_shared_vgpr_count 0
		.amdhsa_exception_fp_ieee_invalid_op 0
		.amdhsa_exception_fp_denorm_src 0
		.amdhsa_exception_fp_ieee_div_zero 0
		.amdhsa_exception_fp_ieee_overflow 0
		.amdhsa_exception_fp_ieee_underflow 0
		.amdhsa_exception_fp_ieee_inexact 0
		.amdhsa_exception_int_div_zero 0
	.end_amdhsa_kernel
	.section	.text._Z43inclusive_scan_array_prefix_callback_kernelILj256ELj3ELN6hipcub18BlockScanAlgorithmE1EiEvPT2_S3_S2_,"axG",@progbits,_Z43inclusive_scan_array_prefix_callback_kernelILj256ELj3ELN6hipcub18BlockScanAlgorithmE1EiEvPT2_S3_S2_,comdat
.Lfunc_end215:
	.size	_Z43inclusive_scan_array_prefix_callback_kernelILj256ELj3ELN6hipcub18BlockScanAlgorithmE1EiEvPT2_S3_S2_, .Lfunc_end215-_Z43inclusive_scan_array_prefix_callback_kernelILj256ELj3ELN6hipcub18BlockScanAlgorithmE1EiEvPT2_S3_S2_
                                        ; -- End function
	.section	.AMDGPU.csdata,"",@progbits
; Kernel info:
; codeLenInByte = 896
; NumSgprs: 18
; NumVgprs: 26
; ScratchSize: 0
; MemoryBound: 0
; FloatMode: 240
; IeeeMode: 1
; LDSByteSize: 1056 bytes/workgroup (compile time only)
; SGPRBlocks: 2
; VGPRBlocks: 3
; NumSGPRsForWavesPerEU: 18
; NumVGPRsForWavesPerEU: 26
; Occupancy: 16
; WaveLimiterHint : 0
; COMPUTE_PGM_RSRC2:SCRATCH_EN: 0
; COMPUTE_PGM_RSRC2:USER_SGPR: 15
; COMPUTE_PGM_RSRC2:TRAP_HANDLER: 0
; COMPUTE_PGM_RSRC2:TGID_X_EN: 1
; COMPUTE_PGM_RSRC2:TGID_Y_EN: 0
; COMPUTE_PGM_RSRC2:TGID_Z_EN: 0
; COMPUTE_PGM_RSRC2:TIDIG_COMP_CNT: 0
	.section	.text._Z43inclusive_scan_array_prefix_callback_kernelILj32ELj2ELN6hipcub18BlockScanAlgorithmE1EfEvPT2_S3_S2_,"axG",@progbits,_Z43inclusive_scan_array_prefix_callback_kernelILj32ELj2ELN6hipcub18BlockScanAlgorithmE1EfEvPT2_S3_S2_,comdat
	.protected	_Z43inclusive_scan_array_prefix_callback_kernelILj32ELj2ELN6hipcub18BlockScanAlgorithmE1EfEvPT2_S3_S2_ ; -- Begin function _Z43inclusive_scan_array_prefix_callback_kernelILj32ELj2ELN6hipcub18BlockScanAlgorithmE1EfEvPT2_S3_S2_
	.globl	_Z43inclusive_scan_array_prefix_callback_kernelILj32ELj2ELN6hipcub18BlockScanAlgorithmE1EfEvPT2_S3_S2_
	.p2align	8
	.type	_Z43inclusive_scan_array_prefix_callback_kernelILj32ELj2ELN6hipcub18BlockScanAlgorithmE1EfEvPT2_S3_S2_,@function
_Z43inclusive_scan_array_prefix_callback_kernelILj32ELj2ELN6hipcub18BlockScanAlgorithmE1EfEvPT2_S3_S2_: ; @_Z43inclusive_scan_array_prefix_callback_kernelILj32ELj2ELN6hipcub18BlockScanAlgorithmE1EfEvPT2_S3_S2_
; %bb.0:
	s_load_b128 s[4:7], s[0:1], 0x0
	v_lshlrev_b32_e32 v1, 1, v0
	s_mov_b32 s2, s15
	v_mov_b32_e32 v5, 0
	v_mbcnt_lo_u32_b32 v6, -1, 0
	s_mov_b32 s3, exec_lo
	v_lshl_or_b32 v4, s2, 6, v1
	s_delay_alu instid0(VALU_DEP_2) | instskip(NEXT) | instid1(VALU_DEP_2)
	v_and_b32_e32 v9, 15, v6
	v_lshlrev_b64 v[1:2], 2, v[4:5]
	s_waitcnt lgkmcnt(0)
	s_delay_alu instid0(VALU_DEP_1) | instskip(NEXT) | instid1(VALU_DEP_2)
	v_add_co_u32 v1, vcc_lo, s4, v1
	v_add_co_ci_u32_e32 v2, vcc_lo, s5, v2, vcc_lo
	v_cmp_eq_u32_e32 vcc_lo, 0, v9
	global_load_b64 v[3:4], v[1:2], off
	s_waitcnt vmcnt(0)
	v_add_f32_e32 v7, v3, v4
	s_delay_alu instid0(VALU_DEP_1) | instskip(NEXT) | instid1(VALU_DEP_1)
	v_mov_b32_dpp v8, v7 row_shr:1 row_mask:0xf bank_mask:0xf
	v_add_f32_e32 v8, v7, v8
	s_delay_alu instid0(VALU_DEP_1) | instskip(NEXT) | instid1(VALU_DEP_1)
	v_cndmask_b32_e32 v7, v8, v7, vcc_lo
	v_mov_b32_dpp v8, v7 row_shr:2 row_mask:0xf bank_mask:0xf
	s_delay_alu instid0(VALU_DEP_1) | instskip(SKIP_1) | instid1(VALU_DEP_2)
	v_add_f32_e32 v8, v7, v8
	v_cmp_lt_u32_e32 vcc_lo, 1, v9
	v_cndmask_b32_e32 v7, v7, v8, vcc_lo
	v_cmp_lt_u32_e32 vcc_lo, 3, v9
	s_delay_alu instid0(VALU_DEP_2) | instskip(NEXT) | instid1(VALU_DEP_1)
	v_mov_b32_dpp v8, v7 row_shr:4 row_mask:0xf bank_mask:0xf
	v_add_f32_e32 v8, v7, v8
	s_delay_alu instid0(VALU_DEP_1) | instskip(SKIP_2) | instid1(VALU_DEP_3)
	v_cndmask_b32_e32 v7, v7, v8, vcc_lo
	v_cmp_lt_u32_e32 vcc_lo, 7, v9
	v_and_b32_e32 v9, 16, v6
	v_mov_b32_dpp v8, v7 row_shr:8 row_mask:0xf bank_mask:0xf
	s_delay_alu instid0(VALU_DEP_1) | instskip(NEXT) | instid1(VALU_DEP_1)
	v_add_f32_e32 v8, v7, v8
	v_cndmask_b32_e32 v7, v7, v8, vcc_lo
	s_delay_alu instid0(VALU_DEP_4) | instskip(SKIP_3) | instid1(VALU_DEP_1)
	v_cmp_eq_u32_e32 vcc_lo, 0, v9
	ds_swizzle_b32 v8, v7 offset:swizzle(BROADCAST,32,15)
	s_waitcnt lgkmcnt(0)
	v_add_f32_e32 v8, v7, v8
	v_cndmask_b32_e32 v7, v8, v7, vcc_lo
	v_cmpx_eq_u32_e32 31, v0
	s_cbranch_execz .LBB216_2
; %bb.1:
	ds_store_b32 v5, v7
.LBB216_2:
	s_or_b32 exec_lo, exec_lo, s3
	v_add_nc_u32_e32 v5, -1, v6
	s_load_b32 s0, s[0:1], 0x10
	s_mov_b32 s1, exec_lo
	s_waitcnt vmcnt(0) lgkmcnt(0)
	s_waitcnt_vscnt null, 0x0
	; wave barrier
	s_waitcnt lgkmcnt(0)
	buffer_gl0_inv
	v_cmp_gt_i32_e32 vcc_lo, 0, v5
	v_cndmask_b32_e32 v5, v5, v6, vcc_lo
	s_delay_alu instid0(VALU_DEP_1)
	v_lshlrev_b32_e32 v5, 2, v5
	ds_bpermute_b32 v6, v5, v7
	v_mov_b32_e32 v5, s0
	v_cmpx_gt_u32_e32 32, v0
	s_cbranch_execz .LBB216_6
; %bb.3:
	v_mov_b32_e32 v7, 0
	s_mov_b32 s3, exec_lo
	ds_load_b32 v5, v7
	v_cmpx_eq_u32_e32 0, v0
	s_cbranch_execz .LBB216_5
; %bb.4:
	v_mov_b32_e32 v8, s0
	ds_store_b32 v7, v8
.LBB216_5:
	s_or_b32 exec_lo, exec_lo, s3
	s_waitcnt lgkmcnt(0)
	v_add_f32_e32 v5, s0, v5
.LBB216_6:
	s_or_b32 exec_lo, exec_lo, s1
	s_waitcnt lgkmcnt(0)
	v_dual_mov_b32 v7, 0 :: v_dual_add_f32 v6, v3, v6
	s_waitcnt vmcnt(0) lgkmcnt(0)
	s_waitcnt_vscnt null, 0x0
	; wave barrier
	buffer_gl0_inv
	v_cmp_eq_u32_e32 vcc_lo, 0, v0
	ds_load_b32 v8, v7
	s_mov_b32 s3, 0
	v_cndmask_b32_e32 v0, v6, v3, vcc_lo
	s_waitcnt lgkmcnt(0)
	s_delay_alu instid0(VALU_DEP_1) | instskip(NEXT) | instid1(VALU_DEP_1)
	v_add_f32_e32 v3, v0, v8
	v_add_f32_e32 v4, v4, v3
	global_store_b64 v[1:2], v[3:4], off
	s_and_saveexec_b32 s0, vcc_lo
	s_cbranch_execz .LBB216_8
; %bb.7:
	s_lshl_b64 s[0:1], s[2:3], 2
	s_delay_alu instid0(SALU_CYCLE_1)
	s_add_u32 s0, s6, s0
	s_addc_u32 s1, s7, s1
	global_store_b32 v7, v5, s[0:1]
.LBB216_8:
	s_nop 0
	s_sendmsg sendmsg(MSG_DEALLOC_VGPRS)
	s_endpgm
	.section	.rodata,"a",@progbits
	.p2align	6, 0x0
	.amdhsa_kernel _Z43inclusive_scan_array_prefix_callback_kernelILj32ELj2ELN6hipcub18BlockScanAlgorithmE1EfEvPT2_S3_S2_
		.amdhsa_group_segment_fixed_size 4
		.amdhsa_private_segment_fixed_size 0
		.amdhsa_kernarg_size 20
		.amdhsa_user_sgpr_count 15
		.amdhsa_user_sgpr_dispatch_ptr 0
		.amdhsa_user_sgpr_queue_ptr 0
		.amdhsa_user_sgpr_kernarg_segment_ptr 1
		.amdhsa_user_sgpr_dispatch_id 0
		.amdhsa_user_sgpr_private_segment_size 0
		.amdhsa_wavefront_size32 1
		.amdhsa_uses_dynamic_stack 0
		.amdhsa_enable_private_segment 0
		.amdhsa_system_sgpr_workgroup_id_x 1
		.amdhsa_system_sgpr_workgroup_id_y 0
		.amdhsa_system_sgpr_workgroup_id_z 0
		.amdhsa_system_sgpr_workgroup_info 0
		.amdhsa_system_vgpr_workitem_id 0
		.amdhsa_next_free_vgpr 10
		.amdhsa_next_free_sgpr 16
		.amdhsa_reserve_vcc 1
		.amdhsa_float_round_mode_32 0
		.amdhsa_float_round_mode_16_64 0
		.amdhsa_float_denorm_mode_32 3
		.amdhsa_float_denorm_mode_16_64 3
		.amdhsa_dx10_clamp 1
		.amdhsa_ieee_mode 1
		.amdhsa_fp16_overflow 0
		.amdhsa_workgroup_processor_mode 1
		.amdhsa_memory_ordered 1
		.amdhsa_forward_progress 0
		.amdhsa_shared_vgpr_count 0
		.amdhsa_exception_fp_ieee_invalid_op 0
		.amdhsa_exception_fp_denorm_src 0
		.amdhsa_exception_fp_ieee_div_zero 0
		.amdhsa_exception_fp_ieee_overflow 0
		.amdhsa_exception_fp_ieee_underflow 0
		.amdhsa_exception_fp_ieee_inexact 0
		.amdhsa_exception_int_div_zero 0
	.end_amdhsa_kernel
	.section	.text._Z43inclusive_scan_array_prefix_callback_kernelILj32ELj2ELN6hipcub18BlockScanAlgorithmE1EfEvPT2_S3_S2_,"axG",@progbits,_Z43inclusive_scan_array_prefix_callback_kernelILj32ELj2ELN6hipcub18BlockScanAlgorithmE1EfEvPT2_S3_S2_,comdat
.Lfunc_end216:
	.size	_Z43inclusive_scan_array_prefix_callback_kernelILj32ELj2ELN6hipcub18BlockScanAlgorithmE1EfEvPT2_S3_S2_, .Lfunc_end216-_Z43inclusive_scan_array_prefix_callback_kernelILj32ELj2ELN6hipcub18BlockScanAlgorithmE1EfEvPT2_S3_S2_
                                        ; -- End function
	.section	.AMDGPU.csdata,"",@progbits
; Kernel info:
; codeLenInByte = 488
; NumSgprs: 18
; NumVgprs: 10
; ScratchSize: 0
; MemoryBound: 0
; FloatMode: 240
; IeeeMode: 1
; LDSByteSize: 4 bytes/workgroup (compile time only)
; SGPRBlocks: 2
; VGPRBlocks: 1
; NumSGPRsForWavesPerEU: 18
; NumVGPRsForWavesPerEU: 10
; Occupancy: 16
; WaveLimiterHint : 0
; COMPUTE_PGM_RSRC2:SCRATCH_EN: 0
; COMPUTE_PGM_RSRC2:USER_SGPR: 15
; COMPUTE_PGM_RSRC2:TRAP_HANDLER: 0
; COMPUTE_PGM_RSRC2:TGID_X_EN: 1
; COMPUTE_PGM_RSRC2:TGID_Y_EN: 0
; COMPUTE_PGM_RSRC2:TGID_Z_EN: 0
; COMPUTE_PGM_RSRC2:TIDIG_COMP_CNT: 0
	.section	.text._Z43inclusive_scan_array_prefix_callback_kernelILj6ELj32ELN6hipcub18BlockScanAlgorithmE1EfEvPT2_S3_S2_,"axG",@progbits,_Z43inclusive_scan_array_prefix_callback_kernelILj6ELj32ELN6hipcub18BlockScanAlgorithmE1EfEvPT2_S3_S2_,comdat
	.protected	_Z43inclusive_scan_array_prefix_callback_kernelILj6ELj32ELN6hipcub18BlockScanAlgorithmE1EfEvPT2_S3_S2_ ; -- Begin function _Z43inclusive_scan_array_prefix_callback_kernelILj6ELj32ELN6hipcub18BlockScanAlgorithmE1EfEvPT2_S3_S2_
	.globl	_Z43inclusive_scan_array_prefix_callback_kernelILj6ELj32ELN6hipcub18BlockScanAlgorithmE1EfEvPT2_S3_S2_
	.p2align	8
	.type	_Z43inclusive_scan_array_prefix_callback_kernelILj6ELj32ELN6hipcub18BlockScanAlgorithmE1EfEvPT2_S3_S2_,@function
_Z43inclusive_scan_array_prefix_callback_kernelILj6ELj32ELN6hipcub18BlockScanAlgorithmE1EfEvPT2_S3_S2_: ; @_Z43inclusive_scan_array_prefix_callback_kernelILj6ELj32ELN6hipcub18BlockScanAlgorithmE1EfEvPT2_S3_S2_
; %bb.0:
	s_load_b128 s[4:7], s[0:1], 0x0
	s_mul_i32 s3, s15, 6
	v_mov_b32_e32 v35, 0
	v_add_lshl_u32 v34, s3, v0, 5
	s_mov_b32 s2, s15
	s_mov_b32 s3, exec_lo
	s_delay_alu instid0(VALU_DEP_1) | instskip(SKIP_1) | instid1(VALU_DEP_1)
	v_lshlrev_b64 v[1:2], 2, v[34:35]
	s_waitcnt lgkmcnt(0)
	v_add_co_u32 v33, vcc_lo, s4, v1
	s_delay_alu instid0(VALU_DEP_2)
	v_add_co_ci_u32_e32 v34, vcc_lo, s5, v2, vcc_lo
	s_clause 0x7
	global_load_b128 v[29:32], v[33:34], off
	global_load_b128 v[25:28], v[33:34], off offset:16
	global_load_b128 v[21:24], v[33:34], off offset:32
	global_load_b128 v[13:16], v[33:34], off offset:48
	global_load_b128 v[17:20], v[33:34], off offset:64
	global_load_b128 v[9:12], v[33:34], off offset:80
	global_load_b128 v[5:8], v[33:34], off offset:96
	global_load_b128 v[1:4], v[33:34], off offset:112
	s_waitcnt vmcnt(7)
	v_add_f32_e32 v36, v29, v30
	s_delay_alu instid0(VALU_DEP_1) | instskip(NEXT) | instid1(VALU_DEP_1)
	v_add_f32_e32 v36, v36, v31
	v_add_f32_e32 v36, v36, v32
	s_waitcnt vmcnt(6)
	s_delay_alu instid0(VALU_DEP_1) | instskip(NEXT) | instid1(VALU_DEP_1)
	v_add_f32_e32 v36, v36, v25
	v_add_f32_e32 v36, v36, v26
	s_delay_alu instid0(VALU_DEP_1) | instskip(NEXT) | instid1(VALU_DEP_1)
	v_add_f32_e32 v36, v36, v27
	v_add_f32_e32 v36, v36, v28
	s_waitcnt vmcnt(5)
	s_delay_alu instid0(VALU_DEP_1) | instskip(NEXT) | instid1(VALU_DEP_1)
	v_add_f32_e32 v36, v36, v21
	;; [unrolled: 7-line block ×7, first 2 shown]
	v_add_f32_e32 v36, v36, v2
	s_delay_alu instid0(VALU_DEP_1) | instskip(NEXT) | instid1(VALU_DEP_1)
	v_add_f32_e32 v36, v36, v3
	v_add_f32_e32 v37, v36, v4
	v_mbcnt_lo_u32_b32 v36, -1, 0
	s_delay_alu instid0(VALU_DEP_2) | instskip(NEXT) | instid1(VALU_DEP_1)
	v_mov_b32_dpp v38, v37 row_shr:1 row_mask:0xf bank_mask:0xf
	v_dual_add_f32 v38, v37, v38 :: v_dual_and_b32 v39, 7, v36
	s_delay_alu instid0(VALU_DEP_1) | instskip(NEXT) | instid1(VALU_DEP_2)
	v_cmp_eq_u32_e32 vcc_lo, 0, v39
	v_cndmask_b32_e32 v37, v38, v37, vcc_lo
	v_cmp_lt_u32_e32 vcc_lo, 1, v39
	s_delay_alu instid0(VALU_DEP_2) | instskip(NEXT) | instid1(VALU_DEP_1)
	v_mov_b32_dpp v38, v37 row_shr:2 row_mask:0xf bank_mask:0xf
	v_add_f32_e32 v38, v37, v38
	s_delay_alu instid0(VALU_DEP_1) | instskip(SKIP_1) | instid1(VALU_DEP_2)
	v_cndmask_b32_e32 v37, v37, v38, vcc_lo
	v_cmp_lt_u32_e32 vcc_lo, 3, v39
	v_mov_b32_dpp v38, v37 row_shr:4 row_mask:0xf bank_mask:0xf
	s_delay_alu instid0(VALU_DEP_1) | instskip(NEXT) | instid1(VALU_DEP_1)
	v_add_f32_e32 v38, v37, v38
	v_cndmask_b32_e32 v37, v37, v38, vcc_lo
	v_cmpx_eq_u32_e32 5, v0
	s_cbranch_execz .LBB217_2
; %bb.1:
	ds_store_b32 v35, v37
.LBB217_2:
	s_or_b32 exec_lo, exec_lo, s3
	v_add_nc_u32_e32 v35, -1, v36
	s_load_b32 s0, s[0:1], 0x10
	v_and_b32_e32 v38, 24, v36
	s_mov_b32 s1, exec_lo
	s_waitcnt vmcnt(0) lgkmcnt(0)
	s_waitcnt_vscnt null, 0x0
	; wave barrier
	s_waitcnt lgkmcnt(0)
	buffer_gl0_inv
	v_cmp_lt_i32_e32 vcc_lo, v35, v38
	v_cndmask_b32_e32 v35, v35, v36, vcc_lo
	s_delay_alu instid0(VALU_DEP_1)
	v_lshlrev_b32_e32 v35, 2, v35
	ds_bpermute_b32 v37, v35, v37
	v_mov_b32_e32 v35, s0
	v_cmpx_gt_u32_e32 32, v0
	s_cbranch_execz .LBB217_6
; %bb.3:
	v_mov_b32_e32 v36, 0
	s_mov_b32 s3, exec_lo
	ds_load_b32 v35, v36
	v_cmpx_eq_u32_e32 0, v0
	s_cbranch_execz .LBB217_5
; %bb.4:
	v_mov_b32_e32 v38, s0
	ds_store_b32 v36, v38
.LBB217_5:
	s_or_b32 exec_lo, exec_lo, s3
	s_waitcnt lgkmcnt(0)
	v_add_f32_e32 v35, s0, v35
.LBB217_6:
	s_or_b32 exec_lo, exec_lo, s1
	s_waitcnt lgkmcnt(0)
	v_dual_mov_b32 v36, 0 :: v_dual_add_f32 v37, v29, v37
	s_waitcnt vmcnt(0) lgkmcnt(0)
	s_waitcnt_vscnt null, 0x0
	; wave barrier
	buffer_gl0_inv
	v_cmp_eq_u32_e32 vcc_lo, 0, v0
	ds_load_b32 v38, v36
	s_mov_b32 s3, 0
	v_cndmask_b32_e32 v0, v37, v29, vcc_lo
	s_waitcnt lgkmcnt(0)
	s_delay_alu instid0(VALU_DEP_1) | instskip(NEXT) | instid1(VALU_DEP_1)
	v_add_f32_e32 v29, v38, v0
	v_add_f32_e32 v30, v30, v29
	s_delay_alu instid0(VALU_DEP_1) | instskip(NEXT) | instid1(VALU_DEP_1)
	v_add_f32_e32 v31, v30, v31
	v_add_f32_e32 v32, v31, v32
	;; [unrolled: 3-line block ×15, first 2 shown]
	s_clause 0x1
	global_store_b128 v[33:34], v[29:32], off
	global_store_b128 v[33:34], v[25:28], off offset:16
	v_add_f32_e32 v2, v1, v3
	s_delay_alu instid0(VALU_DEP_1)
	v_add_f32_e32 v3, v2, v4
	s_clause 0x5
	global_store_b128 v[33:34], v[21:24], off offset:32
	global_store_b128 v[33:34], v[13:16], off offset:48
	;; [unrolled: 1-line block ×6, first 2 shown]
	s_and_saveexec_b32 s0, vcc_lo
	s_cbranch_execz .LBB217_8
; %bb.7:
	s_lshl_b64 s[0:1], s[2:3], 2
	s_delay_alu instid0(SALU_CYCLE_1)
	s_add_u32 s0, s6, s0
	s_addc_u32 s1, s7, s1
	global_store_b32 v36, v35, s[0:1]
.LBB217_8:
	s_nop 0
	s_sendmsg sendmsg(MSG_DEALLOC_VGPRS)
	s_endpgm
	.section	.rodata,"a",@progbits
	.p2align	6, 0x0
	.amdhsa_kernel _Z43inclusive_scan_array_prefix_callback_kernelILj6ELj32ELN6hipcub18BlockScanAlgorithmE1EfEvPT2_S3_S2_
		.amdhsa_group_segment_fixed_size 4
		.amdhsa_private_segment_fixed_size 0
		.amdhsa_kernarg_size 20
		.amdhsa_user_sgpr_count 15
		.amdhsa_user_sgpr_dispatch_ptr 0
		.amdhsa_user_sgpr_queue_ptr 0
		.amdhsa_user_sgpr_kernarg_segment_ptr 1
		.amdhsa_user_sgpr_dispatch_id 0
		.amdhsa_user_sgpr_private_segment_size 0
		.amdhsa_wavefront_size32 1
		.amdhsa_uses_dynamic_stack 0
		.amdhsa_enable_private_segment 0
		.amdhsa_system_sgpr_workgroup_id_x 1
		.amdhsa_system_sgpr_workgroup_id_y 0
		.amdhsa_system_sgpr_workgroup_id_z 0
		.amdhsa_system_sgpr_workgroup_info 0
		.amdhsa_system_vgpr_workitem_id 0
		.amdhsa_next_free_vgpr 40
		.amdhsa_next_free_sgpr 16
		.amdhsa_reserve_vcc 1
		.amdhsa_float_round_mode_32 0
		.amdhsa_float_round_mode_16_64 0
		.amdhsa_float_denorm_mode_32 3
		.amdhsa_float_denorm_mode_16_64 3
		.amdhsa_dx10_clamp 1
		.amdhsa_ieee_mode 1
		.amdhsa_fp16_overflow 0
		.amdhsa_workgroup_processor_mode 1
		.amdhsa_memory_ordered 1
		.amdhsa_forward_progress 0
		.amdhsa_shared_vgpr_count 0
		.amdhsa_exception_fp_ieee_invalid_op 0
		.amdhsa_exception_fp_denorm_src 0
		.amdhsa_exception_fp_ieee_div_zero 0
		.amdhsa_exception_fp_ieee_overflow 0
		.amdhsa_exception_fp_ieee_underflow 0
		.amdhsa_exception_fp_ieee_inexact 0
		.amdhsa_exception_int_div_zero 0
	.end_amdhsa_kernel
	.section	.text._Z43inclusive_scan_array_prefix_callback_kernelILj6ELj32ELN6hipcub18BlockScanAlgorithmE1EfEvPT2_S3_S2_,"axG",@progbits,_Z43inclusive_scan_array_prefix_callback_kernelILj6ELj32ELN6hipcub18BlockScanAlgorithmE1EfEvPT2_S3_S2_,comdat
.Lfunc_end217:
	.size	_Z43inclusive_scan_array_prefix_callback_kernelILj6ELj32ELN6hipcub18BlockScanAlgorithmE1EfEvPT2_S3_S2_, .Lfunc_end217-_Z43inclusive_scan_array_prefix_callback_kernelILj6ELj32ELN6hipcub18BlockScanAlgorithmE1EfEvPT2_S3_S2_
                                        ; -- End function
	.section	.AMDGPU.csdata,"",@progbits
; Kernel info:
; codeLenInByte = 948
; NumSgprs: 18
; NumVgprs: 40
; ScratchSize: 0
; MemoryBound: 0
; FloatMode: 240
; IeeeMode: 1
; LDSByteSize: 4 bytes/workgroup (compile time only)
; SGPRBlocks: 2
; VGPRBlocks: 4
; NumSGPRsForWavesPerEU: 18
; NumVGPRsForWavesPerEU: 40
; Occupancy: 16
; WaveLimiterHint : 0
; COMPUTE_PGM_RSRC2:SCRATCH_EN: 0
; COMPUTE_PGM_RSRC2:USER_SGPR: 15
; COMPUTE_PGM_RSRC2:TRAP_HANDLER: 0
; COMPUTE_PGM_RSRC2:TGID_X_EN: 1
; COMPUTE_PGM_RSRC2:TGID_Y_EN: 0
; COMPUTE_PGM_RSRC2:TGID_Z_EN: 0
; COMPUTE_PGM_RSRC2:TIDIG_COMP_CNT: 0
	.section	.text._Z43inclusive_scan_array_prefix_callback_kernelILj16ELj5ELN6hipcub18BlockScanAlgorithmE0E12hip_bfloat16EvPT2_S4_S3_,"axG",@progbits,_Z43inclusive_scan_array_prefix_callback_kernelILj16ELj5ELN6hipcub18BlockScanAlgorithmE0E12hip_bfloat16EvPT2_S4_S3_,comdat
	.protected	_Z43inclusive_scan_array_prefix_callback_kernelILj16ELj5ELN6hipcub18BlockScanAlgorithmE0E12hip_bfloat16EvPT2_S4_S3_ ; -- Begin function _Z43inclusive_scan_array_prefix_callback_kernelILj16ELj5ELN6hipcub18BlockScanAlgorithmE0E12hip_bfloat16EvPT2_S4_S3_
	.globl	_Z43inclusive_scan_array_prefix_callback_kernelILj16ELj5ELN6hipcub18BlockScanAlgorithmE0E12hip_bfloat16EvPT2_S4_S3_
	.p2align	8
	.type	_Z43inclusive_scan_array_prefix_callback_kernelILj16ELj5ELN6hipcub18BlockScanAlgorithmE0E12hip_bfloat16EvPT2_S4_S3_,@function
_Z43inclusive_scan_array_prefix_callback_kernelILj16ELj5ELN6hipcub18BlockScanAlgorithmE0E12hip_bfloat16EvPT2_S4_S3_: ; @_Z43inclusive_scan_array_prefix_callback_kernelILj16ELj5ELN6hipcub18BlockScanAlgorithmE0E12hip_bfloat16EvPT2_S4_S3_
; %bb.0:
	s_mov_b32 s2, s15
	s_load_b128 s[4:7], s[0:1], 0x0
	v_lshl_or_b32 v1, s2, 4, v0
	s_delay_alu instid0(VALU_DEP_1) | instskip(NEXT) | instid1(VALU_DEP_1)
	v_lshl_add_u32 v8, v1, 2, v1
	v_dual_mov_b32 v9, 0 :: v_dual_add_nc_u32 v10, 2, v8
	s_delay_alu instid0(VALU_DEP_1) | instskip(SKIP_3) | instid1(VALU_DEP_4)
	v_dual_mov_b32 v2, v9 :: v_dual_add_nc_u32 v1, 1, v8
	v_dual_mov_b32 v4, v9 :: v_dual_add_nc_u32 v3, 3, v8
	v_lshlrev_b64 v[5:6], 1, v[8:9]
	v_add_nc_u32_e32 v8, 4, v8
	v_lshlrev_b64 v[11:12], 1, v[1:2]
	s_delay_alu instid0(VALU_DEP_4) | instskip(NEXT) | instid1(VALU_DEP_3)
	v_lshlrev_b64 v[1:2], 1, v[3:4]
	v_lshlrev_b64 v[7:8], 1, v[8:9]
	s_waitcnt lgkmcnt(0)
	v_add_co_u32 v3, vcc_lo, s4, v5
	v_add_co_ci_u32_e32 v4, vcc_lo, s5, v6, vcc_lo
	s_delay_alu instid0(VALU_DEP_4)
	v_add_co_u32 v1, vcc_lo, s4, v1
	v_add_co_ci_u32_e32 v2, vcc_lo, s5, v2, vcc_lo
	v_add_co_u32 v5, vcc_lo, s4, v7
	v_add_co_ci_u32_e32 v6, vcc_lo, s5, v8, vcc_lo
	v_add_co_u32 v7, vcc_lo, s4, v11
	v_mov_b32_e32 v11, v9
	v_add_co_ci_u32_e32 v8, vcc_lo, s5, v12, vcc_lo
	s_clause 0x3
	global_load_u16 v13, v[1:2], off
	global_load_u16 v14, v[5:6], off
	;; [unrolled: 1-line block ×4, first 2 shown]
	v_lshlrev_b64 v[9:10], 1, v[10:11]
	s_delay_alu instid0(VALU_DEP_1) | instskip(NEXT) | instid1(VALU_DEP_2)
	v_add_co_u32 v9, vcc_lo, s4, v9
	v_add_co_ci_u32_e32 v10, vcc_lo, s5, v10, vcc_lo
	global_load_u16 v12, v[9:10], off
	s_waitcnt vmcnt(2)
	v_lshlrev_b32_e32 v15, 16, v15
	s_waitcnt vmcnt(1)
	v_lshlrev_b32_e32 v11, 16, v16
	s_delay_alu instid0(VALU_DEP_1) | instskip(NEXT) | instid1(VALU_DEP_1)
	v_add_f32_e32 v16, v15, v11
	v_and_b32_e32 v17, 0x7f800000, v16
	s_delay_alu instid0(VALU_DEP_1) | instskip(SKIP_1) | instid1(SALU_CYCLE_1)
	v_cmp_ne_u32_e32 vcc_lo, 0x7f800000, v17
                                        ; implicit-def: $vgpr17
	s_and_saveexec_b32 s3, vcc_lo
	s_xor_b32 s3, exec_lo, s3
; %bb.1:
	v_bfe_u32 v17, v16, 16, 1
	s_delay_alu instid0(VALU_DEP_1)
	v_add3_u32 v17, v16, v17, 0x7fff
                                        ; implicit-def: $vgpr16
; %bb.2:
	s_and_not1_saveexec_b32 s3, s3
; %bb.3:
	v_and_b32_e32 v17, 0xffff, v16
	v_or_b32_e32 v18, 0x10000, v16
	s_delay_alu instid0(VALU_DEP_2) | instskip(NEXT) | instid1(VALU_DEP_2)
	v_cmp_eq_u32_e32 vcc_lo, 0, v17
	v_cndmask_b32_e32 v17, v18, v16, vcc_lo
; %bb.4:
	s_or_b32 exec_lo, exec_lo, s3
	s_delay_alu instid0(VALU_DEP_1) | instskip(SKIP_2) | instid1(VALU_DEP_1)
	v_and_b32_e32 v16, 0xffff0000, v17
	s_waitcnt vmcnt(0)
	v_lshlrev_b32_e32 v12, 16, v12
	v_add_f32_e32 v16, v16, v12
	s_delay_alu instid0(VALU_DEP_1) | instskip(NEXT) | instid1(VALU_DEP_1)
	v_and_b32_e32 v17, 0x7f800000, v16
	v_cmp_ne_u32_e32 vcc_lo, 0x7f800000, v17
                                        ; implicit-def: $vgpr17
	s_and_saveexec_b32 s3, vcc_lo
	s_delay_alu instid0(SALU_CYCLE_1)
	s_xor_b32 s3, exec_lo, s3
; %bb.5:
	v_bfe_u32 v17, v16, 16, 1
	s_delay_alu instid0(VALU_DEP_1)
	v_add3_u32 v17, v16, v17, 0x7fff
                                        ; implicit-def: $vgpr16
; %bb.6:
	s_and_not1_saveexec_b32 s3, s3
; %bb.7:
	v_and_b32_e32 v17, 0xffff, v16
	v_or_b32_e32 v18, 0x10000, v16
	s_delay_alu instid0(VALU_DEP_2) | instskip(NEXT) | instid1(VALU_DEP_2)
	v_cmp_eq_u32_e32 vcc_lo, 0, v17
	v_cndmask_b32_e32 v17, v18, v16, vcc_lo
; %bb.8:
	s_or_b32 exec_lo, exec_lo, s3
	s_delay_alu instid0(VALU_DEP_1) | instskip(SKIP_1) | instid1(VALU_DEP_1)
	v_and_b32_e32 v16, 0xffff0000, v17
	v_lshlrev_b32_e32 v13, 16, v13
	v_add_f32_e32 v16, v16, v13
	s_delay_alu instid0(VALU_DEP_1) | instskip(NEXT) | instid1(VALU_DEP_1)
	v_and_b32_e32 v17, 0x7f800000, v16
	v_cmp_ne_u32_e32 vcc_lo, 0x7f800000, v17
                                        ; implicit-def: $vgpr17
	s_and_saveexec_b32 s3, vcc_lo
	s_delay_alu instid0(SALU_CYCLE_1)
	s_xor_b32 s3, exec_lo, s3
; %bb.9:
	v_bfe_u32 v17, v16, 16, 1
	s_delay_alu instid0(VALU_DEP_1)
	v_add3_u32 v17, v16, v17, 0x7fff
                                        ; implicit-def: $vgpr16
; %bb.10:
	s_and_not1_saveexec_b32 s3, s3
; %bb.11:
	v_and_b32_e32 v17, 0xffff, v16
	v_or_b32_e32 v18, 0x10000, v16
	s_delay_alu instid0(VALU_DEP_2) | instskip(NEXT) | instid1(VALU_DEP_2)
	v_cmp_eq_u32_e32 vcc_lo, 0, v17
	v_cndmask_b32_e32 v17, v18, v16, vcc_lo
; %bb.12:
	s_or_b32 exec_lo, exec_lo, s3
	s_delay_alu instid0(VALU_DEP_1) | instskip(SKIP_1) | instid1(VALU_DEP_1)
	v_and_b32_e32 v16, 0xffff0000, v17
	v_lshlrev_b32_e32 v14, 16, v14
	v_add_f32_e32 v16, v16, v14
	s_delay_alu instid0(VALU_DEP_1) | instskip(NEXT) | instid1(VALU_DEP_1)
	v_and_b32_e32 v17, 0x7f800000, v16
	v_cmp_ne_u32_e32 vcc_lo, 0x7f800000, v17
                                        ; implicit-def: $vgpr17
	s_and_saveexec_b32 s3, vcc_lo
	s_delay_alu instid0(SALU_CYCLE_1)
	s_xor_b32 s3, exec_lo, s3
; %bb.13:
	v_bfe_u32 v17, v16, 16, 1
	s_delay_alu instid0(VALU_DEP_1)
	v_add3_u32 v17, v16, v17, 0x7fff
                                        ; implicit-def: $vgpr16
; %bb.14:
	s_and_not1_saveexec_b32 s3, s3
; %bb.15:
	v_and_b32_e32 v17, 0xffff, v16
	v_or_b32_e32 v18, 0x10000, v16
	s_delay_alu instid0(VALU_DEP_2) | instskip(NEXT) | instid1(VALU_DEP_2)
	v_cmp_eq_u32_e32 vcc_lo, 0, v17
	v_cndmask_b32_e32 v17, v18, v16, vcc_lo
; %bb.16:
	s_or_b32 exec_lo, exec_lo, s3
	s_delay_alu instid0(VALU_DEP_1) | instskip(SKIP_2) | instid1(VALU_DEP_2)
	v_lshrrev_b32_e32 v19, 16, v17
	v_and_b32_e32 v18, 0xffff0000, v17
	s_mov_b32 s3, exec_lo
                                        ; implicit-def: $vgpr20
	v_mov_b32_dpp v16, v19 row_shr:1 row_mask:0xf bank_mask:0xf
	s_delay_alu instid0(VALU_DEP_1) | instskip(NEXT) | instid1(VALU_DEP_1)
	v_lshlrev_b32_e32 v16, 16, v16
	v_add_f32_e32 v16, v18, v16
	s_delay_alu instid0(VALU_DEP_1) | instskip(NEXT) | instid1(VALU_DEP_1)
	v_and_b32_e32 v17, 0x7f800000, v16
	v_cmpx_ne_u32_e32 0x7f800000, v17
	s_xor_b32 s3, exec_lo, s3
; %bb.17:
	v_bfe_u32 v17, v16, 16, 1
	s_delay_alu instid0(VALU_DEP_1)
	v_add3_u32 v20, v16, v17, 0x7fff
                                        ; implicit-def: $vgpr16
; %bb.18:
	s_and_not1_saveexec_b32 s3, s3
; %bb.19:
	v_and_b32_e32 v17, 0xffff, v16
	v_or_b32_e32 v20, 0x10000, v16
	s_delay_alu instid0(VALU_DEP_2) | instskip(NEXT) | instid1(VALU_DEP_2)
	v_cmp_eq_u32_e32 vcc_lo, 0, v17
	v_cndmask_b32_e32 v20, v20, v16, vcc_lo
; %bb.20:
	s_or_b32 exec_lo, exec_lo, s3
	v_mbcnt_lo_u32_b32 v16, -1, 0
	s_delay_alu instid0(VALU_DEP_2) | instskip(SKIP_1) | instid1(VALU_DEP_3)
	v_lshrrev_b32_e32 v21, 16, v20
	v_and_b32_e32 v20, 0xffff0000, v20
	v_and_b32_e32 v17, 15, v16
	s_delay_alu instid0(VALU_DEP_1) | instskip(NEXT) | instid1(VALU_DEP_3)
	v_cmp_eq_u32_e32 vcc_lo, 0, v17
	v_dual_cndmask_b32 v18, v20, v18 :: v_dual_cndmask_b32 v19, v21, v19
	s_delay_alu instid0(VALU_DEP_1) | instskip(NEXT) | instid1(VALU_DEP_1)
	v_mov_b32_dpp v21, v19 row_shr:2 row_mask:0xf bank_mask:0xf
	v_lshlrev_b32_e32 v20, 16, v21
	s_delay_alu instid0(VALU_DEP_1) | instskip(NEXT) | instid1(VALU_DEP_1)
	v_add_f32_e32 v21, v18, v20
	v_and_b32_e32 v20, 0x7f800000, v21
	s_delay_alu instid0(VALU_DEP_1) | instskip(SKIP_1) | instid1(SALU_CYCLE_1)
	v_cmp_ne_u32_e32 vcc_lo, 0x7f800000, v20
                                        ; implicit-def: $vgpr20
	s_and_saveexec_b32 s3, vcc_lo
	s_xor_b32 s3, exec_lo, s3
; %bb.21:
	v_bfe_u32 v20, v21, 16, 1
	s_delay_alu instid0(VALU_DEP_1)
	v_add3_u32 v20, v21, v20, 0x7fff
                                        ; implicit-def: $vgpr21
; %bb.22:
	s_and_not1_saveexec_b32 s3, s3
; %bb.23:
	v_and_b32_e32 v20, 0xffff, v21
	v_or_b32_e32 v22, 0x10000, v21
	s_delay_alu instid0(VALU_DEP_2) | instskip(NEXT) | instid1(VALU_DEP_2)
	v_cmp_eq_u32_e32 vcc_lo, 0, v20
	v_cndmask_b32_e32 v20, v22, v21, vcc_lo
; %bb.24:
	s_or_b32 exec_lo, exec_lo, s3
	s_delay_alu instid0(VALU_DEP_1) | instskip(SKIP_1) | instid1(VALU_DEP_2)
	v_lshrrev_b32_e32 v21, 16, v20
	v_cmp_lt_u32_e32 vcc_lo, 1, v17
	v_dual_cndmask_b32 v19, v19, v21 :: v_dual_and_b32 v20, 0xffff0000, v20
	s_delay_alu instid0(VALU_DEP_1) | instskip(NEXT) | instid1(VALU_DEP_2)
	v_cndmask_b32_e32 v18, v18, v20, vcc_lo
	v_mov_b32_dpp v21, v19 row_shr:4 row_mask:0xf bank_mask:0xf
	s_delay_alu instid0(VALU_DEP_1) | instskip(NEXT) | instid1(VALU_DEP_1)
	v_lshlrev_b32_e32 v20, 16, v21
	v_add_f32_e32 v21, v18, v20
	s_delay_alu instid0(VALU_DEP_1) | instskip(NEXT) | instid1(VALU_DEP_1)
	v_and_b32_e32 v20, 0x7f800000, v21
	v_cmp_ne_u32_e32 vcc_lo, 0x7f800000, v20
                                        ; implicit-def: $vgpr20
	s_and_saveexec_b32 s3, vcc_lo
	s_delay_alu instid0(SALU_CYCLE_1)
	s_xor_b32 s3, exec_lo, s3
; %bb.25:
	v_bfe_u32 v20, v21, 16, 1
	s_delay_alu instid0(VALU_DEP_1)
	v_add3_u32 v20, v21, v20, 0x7fff
                                        ; implicit-def: $vgpr21
; %bb.26:
	s_and_not1_saveexec_b32 s3, s3
; %bb.27:
	v_and_b32_e32 v20, 0xffff, v21
	v_or_b32_e32 v22, 0x10000, v21
	s_delay_alu instid0(VALU_DEP_2) | instskip(NEXT) | instid1(VALU_DEP_2)
	v_cmp_eq_u32_e32 vcc_lo, 0, v20
	v_cndmask_b32_e32 v20, v22, v21, vcc_lo
; %bb.28:
	s_or_b32 exec_lo, exec_lo, s3
	s_delay_alu instid0(VALU_DEP_1) | instskip(SKIP_1) | instid1(VALU_DEP_2)
	v_lshrrev_b32_e32 v21, 16, v20
	v_cmp_lt_u32_e32 vcc_lo, 3, v17
	v_dual_cndmask_b32 v19, v19, v21 :: v_dual_and_b32 v20, 0xffff0000, v20
	s_delay_alu instid0(VALU_DEP_1) | instskip(NEXT) | instid1(VALU_DEP_2)
	v_cndmask_b32_e32 v18, v18, v20, vcc_lo
	v_mov_b32_dpp v21, v19 row_shr:8 row_mask:0xf bank_mask:0xf
	s_delay_alu instid0(VALU_DEP_1) | instskip(NEXT) | instid1(VALU_DEP_1)
	v_lshlrev_b32_e32 v20, 16, v21
	v_add_f32_e32 v18, v18, v20
	s_delay_alu instid0(VALU_DEP_1) | instskip(NEXT) | instid1(VALU_DEP_1)
	v_and_b32_e32 v20, 0x7f800000, v18
	v_cmp_ne_u32_e32 vcc_lo, 0x7f800000, v20
                                        ; implicit-def: $vgpr20
	s_and_saveexec_b32 s3, vcc_lo
	s_delay_alu instid0(SALU_CYCLE_1)
	s_xor_b32 s3, exec_lo, s3
; %bb.29:
	v_bfe_u32 v20, v18, 16, 1
	s_delay_alu instid0(VALU_DEP_1)
	v_add3_u32 v20, v18, v20, 0x7fff
                                        ; implicit-def: $vgpr18
; %bb.30:
	s_and_not1_saveexec_b32 s3, s3
; %bb.31:
	v_and_b32_e32 v20, 0xffff, v18
	v_or_b32_e32 v21, 0x10000, v18
	s_delay_alu instid0(VALU_DEP_2) | instskip(NEXT) | instid1(VALU_DEP_2)
	v_cmp_eq_u32_e32 vcc_lo, 0, v20
	v_cndmask_b32_e32 v20, v21, v18, vcc_lo
; %bb.32:
	s_or_b32 exec_lo, exec_lo, s3
	s_delay_alu instid0(VALU_DEP_1) | instskip(SKIP_2) | instid1(VALU_DEP_2)
	v_lshrrev_b32_e32 v18, 16, v20
	v_cmp_lt_u32_e32 vcc_lo, 7, v17
	s_mov_b32 s3, exec_lo
	v_cndmask_b32_e32 v17, v19, v18, vcc_lo
	v_cmpx_eq_u32_e32 15, v0
	s_cbranch_execz .LBB218_34
; %bb.33:
	v_mov_b32_e32 v18, 0
	ds_store_b16 v18, v17
.LBB218_34:
	s_or_b32 exec_lo, exec_lo, s3
	v_add_nc_u32_e32 v18, -1, v16
	s_load_b32 s0, s[0:1], 0x10
	v_and_b32_e32 v19, 16, v16
	s_mov_b32 s3, -1
	s_mov_b32 s1, exec_lo
	s_waitcnt vmcnt(0) lgkmcnt(0)
	s_waitcnt_vscnt null, 0x0
	; wave barrier
	s_waitcnt lgkmcnt(0)
	buffer_gl0_inv
	v_cmp_lt_i32_e32 vcc_lo, v18, v19
	v_cndmask_b32_e32 v16, v18, v16, vcc_lo
	s_delay_alu instid0(VALU_DEP_1)
	v_lshlrev_b32_e32 v16, 2, v16
	ds_bpermute_b32 v17, v16, v17
	v_mov_b32_e32 v16, s0
	v_cmpx_gt_u32_e32 32, v0
	s_cbranch_execz .LBB218_42
; %bb.35:
	v_mov_b32_e32 v16, 0
	s_lshl_b32 s4, s0, 16
                                        ; implicit-def: $sgpr5
	ds_load_u16 v16, v16
	s_waitcnt lgkmcnt(0)
	v_lshlrev_b32_e32 v16, 16, v16
	s_delay_alu instid0(VALU_DEP_1) | instskip(NEXT) | instid1(VALU_DEP_1)
	v_add_f32_e32 v16, s4, v16
	v_and_b32_e32 v18, 0x7f800000, v16
	v_readfirstlane_b32 s4, v16
	s_delay_alu instid0(VALU_DEP_2)
	v_cmp_eq_u32_e32 vcc_lo, 0x7f800000, v18
	s_cbranch_vccnz .LBB218_37
; %bb.36:
	s_delay_alu instid0(VALU_DEP_2) | instskip(NEXT) | instid1(SALU_CYCLE_1)
	s_bfe_u32 s3, s4, 0x10010
	s_add_i32 s3, s4, s3
	s_delay_alu instid0(SALU_CYCLE_1)
	s_add_i32 s5, s3, 0x7fff
	s_mov_b32 s3, 0
.LBB218_37:
	s_delay_alu instid0(SALU_CYCLE_1)
	s_and_not1_b32 vcc_lo, exec_lo, s3
	s_cbranch_vccnz .LBB218_39
; %bb.38:
	s_and_b32 s3, s4, 0xffff
	s_or_b32 s5, s4, 0x10000
	s_cmp_eq_u32 s3, 0
	s_cselect_b32 s5, s4, s5
.LBB218_39:
	s_delay_alu instid0(SALU_CYCLE_1)
	s_lshr_b32 s3, s5, 16
	s_mov_b32 s4, exec_lo
	v_cmpx_eq_u32_e32 0, v0
	s_cbranch_execz .LBB218_41
; %bb.40:
	v_mov_b32_e32 v16, 0
	v_mov_b32_e32 v18, s0
	ds_store_b16 v16, v18
.LBB218_41:
	s_or_b32 exec_lo, exec_lo, s4
	v_mov_b32_e32 v16, s3
.LBB218_42:
	s_or_b32 exec_lo, exec_lo, s1
	v_mov_b32_e32 v18, 0
	s_waitcnt vmcnt(0) lgkmcnt(0)
	s_waitcnt_vscnt null, 0x0
	; wave barrier
	s_waitcnt lgkmcnt(0)
	buffer_gl0_inv
	v_cmp_eq_u32_e32 vcc_lo, 0, v0
	s_mov_b32 s1, exec_lo
	ds_load_u16 v18, v18
	v_cmpx_ne_u32_e32 0, v0
	s_cbranch_execz .LBB218_48
; %bb.43:
	v_lshlrev_b32_e32 v0, 16, v17
	s_delay_alu instid0(VALU_DEP_1) | instskip(NEXT) | instid1(VALU_DEP_1)
	v_add_f32_e32 v0, v15, v0
	v_and_b32_e32 v15, 0x7f800000, v0
	s_delay_alu instid0(VALU_DEP_1) | instskip(NEXT) | instid1(VALU_DEP_1)
	v_cmp_ne_u32_e64 s0, 0x7f800000, v15
                                        ; implicit-def: $vgpr15
	s_and_saveexec_b32 s3, s0
	s_delay_alu instid0(SALU_CYCLE_1)
	s_xor_b32 s0, exec_lo, s3
; %bb.44:
	v_bfe_u32 v15, v0, 16, 1
	s_delay_alu instid0(VALU_DEP_1)
	v_add3_u32 v15, v0, v15, 0x7fff
                                        ; implicit-def: $vgpr0
; %bb.45:
	s_and_not1_saveexec_b32 s3, s0
; %bb.46:
	v_and_b32_e32 v15, 0xffff, v0
	v_or_b32_e32 v17, 0x10000, v0
	s_delay_alu instid0(VALU_DEP_2) | instskip(NEXT) | instid1(VALU_DEP_1)
	v_cmp_eq_u32_e64 s0, 0, v15
	v_cndmask_b32_e64 v15, v17, v0, s0
; %bb.47:
	s_or_b32 exec_lo, exec_lo, s3
	s_delay_alu instid0(VALU_DEP_1)
	v_and_b32_e32 v15, 0xffff0000, v15
.LBB218_48:
	s_or_b32 exec_lo, exec_lo, s1
	s_waitcnt lgkmcnt(0)
	v_lshlrev_b32_e32 v0, 16, v18
	s_delay_alu instid0(VALU_DEP_1) | instskip(NEXT) | instid1(VALU_DEP_1)
	v_add_f32_e32 v15, v15, v0
	v_and_b32_e32 v0, 0x7f800000, v15
	s_delay_alu instid0(VALU_DEP_1) | instskip(NEXT) | instid1(VALU_DEP_1)
	v_cmp_ne_u32_e64 s0, 0x7f800000, v0
                                        ; implicit-def: $vgpr0
	s_and_saveexec_b32 s1, s0
	s_delay_alu instid0(SALU_CYCLE_1)
	s_xor_b32 s0, exec_lo, s1
; %bb.49:
	v_bfe_u32 v0, v15, 16, 1
	s_delay_alu instid0(VALU_DEP_1)
	v_add3_u32 v0, v15, v0, 0x7fff
                                        ; implicit-def: $vgpr15
; %bb.50:
	s_and_not1_saveexec_b32 s1, s0
; %bb.51:
	v_and_b32_e32 v0, 0xffff, v15
	v_or_b32_e32 v17, 0x10000, v15
	s_delay_alu instid0(VALU_DEP_2) | instskip(NEXT) | instid1(VALU_DEP_1)
	v_cmp_eq_u32_e64 s0, 0, v0
	v_cndmask_b32_e64 v0, v17, v15, s0
; %bb.52:
	s_or_b32 exec_lo, exec_lo, s1
	s_delay_alu instid0(VALU_DEP_1) | instskip(NEXT) | instid1(VALU_DEP_1)
	v_and_b32_e32 v15, 0xffff0000, v0
	v_add_f32_e32 v15, v11, v15
	s_delay_alu instid0(VALU_DEP_1) | instskip(NEXT) | instid1(VALU_DEP_1)
	v_and_b32_e32 v11, 0x7f800000, v15
	v_cmp_ne_u32_e64 s0, 0x7f800000, v11
                                        ; implicit-def: $vgpr11
	s_delay_alu instid0(VALU_DEP_1) | instskip(NEXT) | instid1(SALU_CYCLE_1)
	s_and_saveexec_b32 s1, s0
	s_xor_b32 s0, exec_lo, s1
; %bb.53:
	v_bfe_u32 v11, v15, 16, 1
	s_delay_alu instid0(VALU_DEP_1)
	v_add3_u32 v11, v15, v11, 0x7fff
                                        ; implicit-def: $vgpr15
; %bb.54:
	s_and_not1_saveexec_b32 s1, s0
; %bb.55:
	v_and_b32_e32 v11, 0xffff, v15
	v_or_b32_e32 v17, 0x10000, v15
	s_delay_alu instid0(VALU_DEP_2) | instskip(NEXT) | instid1(VALU_DEP_1)
	v_cmp_eq_u32_e64 s0, 0, v11
	v_cndmask_b32_e64 v11, v17, v15, s0
; %bb.56:
	s_or_b32 exec_lo, exec_lo, s1
	s_delay_alu instid0(VALU_DEP_1) | instskip(NEXT) | instid1(VALU_DEP_1)
	v_and_b32_e32 v15, 0xffff0000, v11
	v_add_f32_e32 v15, v15, v12
	s_delay_alu instid0(VALU_DEP_1) | instskip(NEXT) | instid1(VALU_DEP_1)
	v_and_b32_e32 v12, 0x7f800000, v15
	v_cmp_ne_u32_e64 s0, 0x7f800000, v12
                                        ; implicit-def: $vgpr12
	s_delay_alu instid0(VALU_DEP_1) | instskip(NEXT) | instid1(SALU_CYCLE_1)
	s_and_saveexec_b32 s1, s0
	s_xor_b32 s0, exec_lo, s1
; %bb.57:
	v_bfe_u32 v12, v15, 16, 1
	s_delay_alu instid0(VALU_DEP_1)
	v_add3_u32 v12, v15, v12, 0x7fff
                                        ; implicit-def: $vgpr15
; %bb.58:
	s_and_not1_saveexec_b32 s1, s0
; %bb.59:
	v_and_b32_e32 v12, 0xffff, v15
	v_or_b32_e32 v17, 0x10000, v15
	s_delay_alu instid0(VALU_DEP_2) | instskip(NEXT) | instid1(VALU_DEP_1)
	v_cmp_eq_u32_e64 s0, 0, v12
	v_cndmask_b32_e64 v12, v17, v15, s0
; %bb.60:
	s_or_b32 exec_lo, exec_lo, s1
	s_delay_alu instid0(VALU_DEP_1) | instskip(NEXT) | instid1(VALU_DEP_1)
	v_and_b32_e32 v15, 0xffff0000, v12
	v_add_f32_e32 v15, v15, v13
	s_delay_alu instid0(VALU_DEP_1) | instskip(NEXT) | instid1(VALU_DEP_1)
	v_and_b32_e32 v13, 0x7f800000, v15
	v_cmp_ne_u32_e64 s0, 0x7f800000, v13
                                        ; implicit-def: $vgpr13
	s_delay_alu instid0(VALU_DEP_1) | instskip(NEXT) | instid1(SALU_CYCLE_1)
	s_and_saveexec_b32 s1, s0
	s_xor_b32 s0, exec_lo, s1
; %bb.61:
	v_bfe_u32 v13, v15, 16, 1
	s_delay_alu instid0(VALU_DEP_1)
	v_add3_u32 v13, v15, v13, 0x7fff
                                        ; implicit-def: $vgpr15
; %bb.62:
	s_and_not1_saveexec_b32 s1, s0
; %bb.63:
	v_and_b32_e32 v13, 0xffff, v15
	v_or_b32_e32 v17, 0x10000, v15
	s_delay_alu instid0(VALU_DEP_2) | instskip(NEXT) | instid1(VALU_DEP_1)
	v_cmp_eq_u32_e64 s0, 0, v13
	v_cndmask_b32_e64 v13, v17, v15, s0
; %bb.64:
	s_or_b32 exec_lo, exec_lo, s1
	s_delay_alu instid0(VALU_DEP_1) | instskip(NEXT) | instid1(VALU_DEP_1)
	v_and_b32_e32 v15, 0xffff0000, v13
	v_add_f32_e32 v15, v15, v14
	s_delay_alu instid0(VALU_DEP_1) | instskip(NEXT) | instid1(VALU_DEP_1)
	v_and_b32_e32 v14, 0x7f800000, v15
	v_cmp_ne_u32_e64 s0, 0x7f800000, v14
                                        ; implicit-def: $vgpr14
	s_delay_alu instid0(VALU_DEP_1) | instskip(NEXT) | instid1(SALU_CYCLE_1)
	s_and_saveexec_b32 s1, s0
	s_xor_b32 s0, exec_lo, s1
; %bb.65:
	v_bfe_u32 v14, v15, 16, 1
	s_delay_alu instid0(VALU_DEP_1)
	v_add3_u32 v14, v15, v14, 0x7fff
                                        ; implicit-def: $vgpr15
; %bb.66:
	s_and_not1_saveexec_b32 s1, s0
; %bb.67:
	v_and_b32_e32 v14, 0xffff, v15
	v_or_b32_e32 v17, 0x10000, v15
	s_delay_alu instid0(VALU_DEP_2) | instskip(NEXT) | instid1(VALU_DEP_1)
	v_cmp_eq_u32_e64 s0, 0, v14
	v_cndmask_b32_e64 v14, v17, v15, s0
; %bb.68:
	s_or_b32 exec_lo, exec_lo, s1
	s_clause 0x4
	global_store_d16_hi_b16 v[3:4], v0, off
	global_store_d16_hi_b16 v[7:8], v11, off
	global_store_d16_hi_b16 v[9:10], v12, off
	global_store_d16_hi_b16 v[1:2], v13, off
	global_store_d16_hi_b16 v[5:6], v14, off
	s_and_saveexec_b32 s0, vcc_lo
	s_cbranch_execz .LBB218_70
; %bb.69:
	s_mov_b32 s3, 0
	v_mov_b32_e32 v0, 0
	s_lshl_b64 s[0:1], s[2:3], 1
	s_delay_alu instid0(SALU_CYCLE_1)
	s_add_u32 s0, s6, s0
	s_addc_u32 s1, s7, s1
	global_store_b16 v0, v16, s[0:1]
.LBB218_70:
	s_nop 0
	s_sendmsg sendmsg(MSG_DEALLOC_VGPRS)
	s_endpgm
	.section	.rodata,"a",@progbits
	.p2align	6, 0x0
	.amdhsa_kernel _Z43inclusive_scan_array_prefix_callback_kernelILj16ELj5ELN6hipcub18BlockScanAlgorithmE0E12hip_bfloat16EvPT2_S4_S3_
		.amdhsa_group_segment_fixed_size 2
		.amdhsa_private_segment_fixed_size 0
		.amdhsa_kernarg_size 20
		.amdhsa_user_sgpr_count 15
		.amdhsa_user_sgpr_dispatch_ptr 0
		.amdhsa_user_sgpr_queue_ptr 0
		.amdhsa_user_sgpr_kernarg_segment_ptr 1
		.amdhsa_user_sgpr_dispatch_id 0
		.amdhsa_user_sgpr_private_segment_size 0
		.amdhsa_wavefront_size32 1
		.amdhsa_uses_dynamic_stack 0
		.amdhsa_enable_private_segment 0
		.amdhsa_system_sgpr_workgroup_id_x 1
		.amdhsa_system_sgpr_workgroup_id_y 0
		.amdhsa_system_sgpr_workgroup_id_z 0
		.amdhsa_system_sgpr_workgroup_info 0
		.amdhsa_system_vgpr_workitem_id 0
		.amdhsa_next_free_vgpr 23
		.amdhsa_next_free_sgpr 16
		.amdhsa_reserve_vcc 1
		.amdhsa_float_round_mode_32 0
		.amdhsa_float_round_mode_16_64 0
		.amdhsa_float_denorm_mode_32 3
		.amdhsa_float_denorm_mode_16_64 3
		.amdhsa_dx10_clamp 1
		.amdhsa_ieee_mode 1
		.amdhsa_fp16_overflow 0
		.amdhsa_workgroup_processor_mode 1
		.amdhsa_memory_ordered 1
		.amdhsa_forward_progress 0
		.amdhsa_shared_vgpr_count 0
		.amdhsa_exception_fp_ieee_invalid_op 0
		.amdhsa_exception_fp_denorm_src 0
		.amdhsa_exception_fp_ieee_div_zero 0
		.amdhsa_exception_fp_ieee_overflow 0
		.amdhsa_exception_fp_ieee_underflow 0
		.amdhsa_exception_fp_ieee_inexact 0
		.amdhsa_exception_int_div_zero 0
	.end_amdhsa_kernel
	.section	.text._Z43inclusive_scan_array_prefix_callback_kernelILj16ELj5ELN6hipcub18BlockScanAlgorithmE0E12hip_bfloat16EvPT2_S4_S3_,"axG",@progbits,_Z43inclusive_scan_array_prefix_callback_kernelILj16ELj5ELN6hipcub18BlockScanAlgorithmE0E12hip_bfloat16EvPT2_S4_S3_,comdat
.Lfunc_end218:
	.size	_Z43inclusive_scan_array_prefix_callback_kernelILj16ELj5ELN6hipcub18BlockScanAlgorithmE0E12hip_bfloat16EvPT2_S4_S3_, .Lfunc_end218-_Z43inclusive_scan_array_prefix_callback_kernelILj16ELj5ELN6hipcub18BlockScanAlgorithmE0E12hip_bfloat16EvPT2_S4_S3_
                                        ; -- End function
	.section	.AMDGPU.csdata,"",@progbits
; Kernel info:
; codeLenInByte = 2424
; NumSgprs: 18
; NumVgprs: 23
; ScratchSize: 0
; MemoryBound: 0
; FloatMode: 240
; IeeeMode: 1
; LDSByteSize: 2 bytes/workgroup (compile time only)
; SGPRBlocks: 2
; VGPRBlocks: 2
; NumSGPRsForWavesPerEU: 18
; NumVGPRsForWavesPerEU: 23
; Occupancy: 16
; WaveLimiterHint : 0
; COMPUTE_PGM_RSRC2:SCRATCH_EN: 0
; COMPUTE_PGM_RSRC2:USER_SGPR: 15
; COMPUTE_PGM_RSRC2:TRAP_HANDLER: 0
; COMPUTE_PGM_RSRC2:TGID_X_EN: 1
; COMPUTE_PGM_RSRC2:TGID_Y_EN: 0
; COMPUTE_PGM_RSRC2:TGID_Z_EN: 0
; COMPUTE_PGM_RSRC2:TIDIG_COMP_CNT: 0
	.section	.text._Z43inclusive_scan_array_prefix_callback_kernelILj65ELj5ELN6hipcub18BlockScanAlgorithmE0E6__halfEvPT2_S4_S3_,"axG",@progbits,_Z43inclusive_scan_array_prefix_callback_kernelILj65ELj5ELN6hipcub18BlockScanAlgorithmE0E6__halfEvPT2_S4_S3_,comdat
	.protected	_Z43inclusive_scan_array_prefix_callback_kernelILj65ELj5ELN6hipcub18BlockScanAlgorithmE0E6__halfEvPT2_S4_S3_ ; -- Begin function _Z43inclusive_scan_array_prefix_callback_kernelILj65ELj5ELN6hipcub18BlockScanAlgorithmE0E6__halfEvPT2_S4_S3_
	.globl	_Z43inclusive_scan_array_prefix_callback_kernelILj65ELj5ELN6hipcub18BlockScanAlgorithmE0E6__halfEvPT2_S4_S3_
	.p2align	8
	.type	_Z43inclusive_scan_array_prefix_callback_kernelILj65ELj5ELN6hipcub18BlockScanAlgorithmE0E6__halfEvPT2_S4_S3_,@function
_Z43inclusive_scan_array_prefix_callback_kernelILj65ELj5ELN6hipcub18BlockScanAlgorithmE0E6__halfEvPT2_S4_S3_: ; @_Z43inclusive_scan_array_prefix_callback_kernelILj65ELj5ELN6hipcub18BlockScanAlgorithmE0E6__halfEvPT2_S4_S3_
; %bb.0:
	s_mov_b32 s2, s15
	s_load_b128 s[4:7], s[0:1], 0x0
	v_mad_u64_u32 v[1:2], null, 0x41, s2, v[0:1]
	s_mov_b32 s3, exec_lo
	s_delay_alu instid0(VALU_DEP_1) | instskip(NEXT) | instid1(VALU_DEP_1)
	v_lshl_add_u32 v1, v1, 2, v1
	v_dual_mov_b32 v2, 0 :: v_dual_add_nc_u32 v3, 1, v1
	s_delay_alu instid0(VALU_DEP_1) | instskip(SKIP_3) | instid1(VALU_DEP_4)
	v_dual_mov_b32 v4, v2 :: v_dual_add_nc_u32 v5, 2, v1
	v_lshlrev_b64 v[9:10], 1, v[1:2]
	v_dual_mov_b32 v6, v2 :: v_dual_add_nc_u32 v7, 3, v1
	v_dual_mov_b32 v8, v2 :: v_dual_add_nc_u32 v1, 4, v1
	v_lshlrev_b64 v[3:4], 1, v[3:4]
	s_delay_alu instid0(VALU_DEP_3) | instskip(NEXT) | instid1(VALU_DEP_3)
	v_lshlrev_b64 v[5:6], 1, v[5:6]
	v_lshlrev_b64 v[7:8], 1, v[7:8]
	s_delay_alu instid0(VALU_DEP_4)
	v_lshlrev_b64 v[14:15], 1, v[1:2]
	s_waitcnt lgkmcnt(0)
	v_add_co_u32 v1, vcc_lo, s4, v9
	v_add_co_ci_u32_e32 v2, vcc_lo, s5, v10, vcc_lo
	v_add_co_u32 v3, vcc_lo, s4, v3
	v_add_co_ci_u32_e32 v4, vcc_lo, s5, v4, vcc_lo
	;; [unrolled: 2-line block ×3, first 2 shown]
	s_clause 0x1
	global_load_u16 v12, v[1:2], off
	global_load_u16 v11, v[3:4], off
	v_add_co_u32 v7, vcc_lo, s4, v7
	v_add_co_ci_u32_e32 v8, vcc_lo, s5, v8, vcc_lo
	global_load_u16 v13, v[5:6], off
	v_add_co_u32 v9, vcc_lo, s4, v14
	v_add_co_ci_u32_e32 v10, vcc_lo, s5, v15, vcc_lo
	s_clause 0x1
	global_load_u16 v14, v[7:8], off
	global_load_u16 v15, v[9:10], off
	s_waitcnt vmcnt(3)
	v_add_f16_e32 v16, v12, v11
	s_waitcnt vmcnt(2)
	s_delay_alu instid0(VALU_DEP_1) | instskip(SKIP_1) | instid1(VALU_DEP_1)
	v_add_f16_e32 v16, v16, v13
	s_waitcnt vmcnt(1)
	v_add_f16_e32 v16, v16, v14
	s_waitcnt vmcnt(0)
	s_delay_alu instid0(VALU_DEP_1) | instskip(SKIP_1) | instid1(VALU_DEP_2)
	v_add_f16_e32 v17, v16, v15
	v_mbcnt_lo_u32_b32 v16, -1, 0
	v_and_b32_e32 v18, 0xffff, v17
	s_delay_alu instid0(VALU_DEP_2) | instskip(SKIP_1) | instid1(VALU_DEP_3)
	v_and_b32_e32 v19, 15, v16
	v_and_b32_e32 v20, 16, v16
	v_mov_b32_dpp v18, v18 row_shr:1 row_mask:0xf bank_mask:0xf
	s_delay_alu instid0(VALU_DEP_3) | instskip(NEXT) | instid1(VALU_DEP_2)
	v_cmp_eq_u32_e32 vcc_lo, 0, v19
	v_add_f16_e32 v18, v17, v18
	s_delay_alu instid0(VALU_DEP_1) | instskip(SKIP_1) | instid1(VALU_DEP_2)
	v_cndmask_b32_e32 v17, v18, v17, vcc_lo
	v_cmp_lt_u32_e32 vcc_lo, 1, v19
	v_and_b32_e32 v18, 0xffff, v17
	s_delay_alu instid0(VALU_DEP_1) | instskip(NEXT) | instid1(VALU_DEP_1)
	v_mov_b32_dpp v18, v18 row_shr:2 row_mask:0xf bank_mask:0xf
	v_add_f16_e32 v18, v17, v18
	s_delay_alu instid0(VALU_DEP_1) | instskip(SKIP_1) | instid1(VALU_DEP_2)
	v_cndmask_b32_e32 v17, v17, v18, vcc_lo
	v_cmp_lt_u32_e32 vcc_lo, 3, v19
	v_and_b32_e32 v18, 0xffff, v17
	s_delay_alu instid0(VALU_DEP_1) | instskip(NEXT) | instid1(VALU_DEP_1)
	v_mov_b32_dpp v18, v18 row_shr:4 row_mask:0xf bank_mask:0xf
	v_add_f16_e32 v18, v17, v18
	s_delay_alu instid0(VALU_DEP_1) | instskip(SKIP_2) | instid1(VALU_DEP_3)
	v_cndmask_b32_e32 v17, v17, v18, vcc_lo
	v_cmp_lt_u32_e32 vcc_lo, 7, v19
	v_and_b32_e32 v19, 0x60, v0
	v_and_b32_e32 v18, 0xffff, v17
	s_delay_alu instid0(VALU_DEP_2) | instskip(NEXT) | instid1(VALU_DEP_2)
	v_min_u32_e32 v19, 33, v19
	v_mov_b32_dpp v18, v18 row_shr:8 row_mask:0xf bank_mask:0xf
	s_delay_alu instid0(VALU_DEP_2) | instskip(NEXT) | instid1(VALU_DEP_2)
	v_add_nc_u32_e32 v19, 31, v19
	v_add_f16_e32 v18, v17, v18
	s_delay_alu instid0(VALU_DEP_1) | instskip(SKIP_1) | instid1(VALU_DEP_2)
	v_cndmask_b32_e32 v17, v17, v18, vcc_lo
	v_cmp_eq_u32_e32 vcc_lo, 0, v20
	v_and_b32_e32 v18, 0xffff, v17
	ds_swizzle_b32 v18, v18 offset:swizzle(BROADCAST,32,15)
	s_waitcnt lgkmcnt(0)
	v_add_f16_e32 v21, v17, v18
	v_lshrrev_b32_e32 v18, 5, v0
	s_delay_alu instid0(VALU_DEP_2)
	v_cndmask_b32_e32 v17, v21, v17, vcc_lo
	v_cmpx_eq_u32_e64 v19, v0
	s_cbranch_execz .LBB219_2
; %bb.1:
	s_delay_alu instid0(VALU_DEP_3)
	v_lshlrev_b32_e32 v19, 1, v18
	ds_store_b16 v19, v17
.LBB219_2:
	s_or_b32 exec_lo, exec_lo, s3
	s_load_b32 s1, s[0:1], 0x10
	s_mov_b32 s0, exec_lo
	s_waitcnt lgkmcnt(0)
	s_barrier
	buffer_gl0_inv
	v_cmpx_gt_u32_e32 3, v0
	s_cbranch_execz .LBB219_4
; %bb.3:
	v_lshlrev_b32_e32 v19, 1, v0
	v_and_b32_e32 v22, 3, v16
	ds_load_u16 v20, v19
	v_cmp_eq_u32_e32 vcc_lo, 0, v22
	s_waitcnt lgkmcnt(0)
	v_and_b32_e32 v21, 0xffff, v20
	s_delay_alu instid0(VALU_DEP_1) | instskip(NEXT) | instid1(VALU_DEP_1)
	v_mov_b32_dpp v21, v21 row_shr:1 row_mask:0xf bank_mask:0xf
	v_add_f16_e32 v21, v20, v21
	s_delay_alu instid0(VALU_DEP_1) | instskip(SKIP_1) | instid1(VALU_DEP_2)
	v_cndmask_b32_e32 v20, v21, v20, vcc_lo
	v_cmp_lt_u32_e32 vcc_lo, 1, v22
	v_and_b32_e32 v21, 0xffff, v20
	s_delay_alu instid0(VALU_DEP_1) | instskip(NEXT) | instid1(VALU_DEP_1)
	v_mov_b32_dpp v21, v21 row_shr:2 row_mask:0xf bank_mask:0xf
	v_add_f16_e32 v21, v20, v21
	s_delay_alu instid0(VALU_DEP_1)
	v_cndmask_b32_e32 v20, v20, v21, vcc_lo
	ds_store_b16 v19, v20
.LBB219_4:
	s_or_b32 exec_lo, exec_lo, s0
	v_cmp_gt_u32_e32 vcc_lo, 32, v0
	s_mov_b32 s3, exec_lo
	s_waitcnt lgkmcnt(0)
	s_barrier
	buffer_gl0_inv
                                        ; implicit-def: $vgpr19
	v_cmpx_lt_u32_e32 31, v0
	s_cbranch_execz .LBB219_6
; %bb.5:
	v_lshl_add_u32 v18, v18, 1, -2
	ds_load_u16 v19, v18
	s_waitcnt lgkmcnt(0)
	v_add_f16_e32 v17, v17, v19
.LBB219_6:
	s_or_b32 exec_lo, exec_lo, s3
	v_add_nc_u32_e32 v18, -1, v16
	s_delay_alu instid0(VALU_DEP_2) | instskip(NEXT) | instid1(VALU_DEP_2)
	v_and_b32_e32 v17, 0xffff, v17
	v_cmp_gt_i32_e64 s0, 0, v18
	s_delay_alu instid0(VALU_DEP_1) | instskip(NEXT) | instid1(VALU_DEP_1)
	v_cndmask_b32_e64 v18, v18, v16, s0
	v_lshlrev_b32_e32 v18, 2, v18
	ds_bpermute_b32 v18, v18, v17
	v_mov_b32_e32 v17, s1
	s_and_saveexec_b32 s0, vcc_lo
	s_cbranch_execz .LBB219_10
; %bb.7:
	v_mov_b32_e32 v20, 0
	s_mov_b32 s3, exec_lo
	ds_load_u16 v17, v20 offset:4
	v_cmpx_eq_u32_e32 0, v0
	s_cbranch_execz .LBB219_9
; %bb.8:
	v_mov_b32_e32 v21, s1
	ds_store_b16 v20, v21 offset:4
.LBB219_9:
	s_or_b32 exec_lo, exec_lo, s3
	s_waitcnt lgkmcnt(0)
	v_add_f16_e32 v17, s1, v17
.LBB219_10:
	s_or_b32 exec_lo, exec_lo, s0
	v_mov_b32_e32 v20, 0
	s_waitcnt lgkmcnt(0)
	s_barrier
	buffer_gl0_inv
	v_cmp_eq_u32_e32 vcc_lo, 0, v16
	ds_load_u16 v21, v20 offset:4
	v_cndmask_b32_e32 v16, v18, v19, vcc_lo
	v_cmp_eq_u32_e32 vcc_lo, 0, v0
	s_delay_alu instid0(VALU_DEP_2) | instskip(NEXT) | instid1(VALU_DEP_1)
	v_add_f16_e32 v16, v12, v16
	v_cndmask_b32_e32 v0, v16, v12, vcc_lo
	s_waitcnt lgkmcnt(0)
	s_delay_alu instid0(VALU_DEP_1) | instskip(NEXT) | instid1(VALU_DEP_1)
	v_add_f16_e32 v0, v21, v0
	v_add_f16_e32 v11, v11, v0
	s_delay_alu instid0(VALU_DEP_1) | instskip(NEXT) | instid1(VALU_DEP_1)
	v_add_f16_e32 v12, v11, v13
	v_add_f16_e32 v13, v12, v14
	s_delay_alu instid0(VALU_DEP_1)
	v_add_f16_e32 v14, v13, v15
	s_clause 0x4
	global_store_b16 v[1:2], v0, off
	global_store_b16 v[3:4], v11, off
	;; [unrolled: 1-line block ×5, first 2 shown]
	s_and_saveexec_b32 s0, vcc_lo
	s_cbranch_execz .LBB219_12
; %bb.11:
	s_mov_b32 s3, 0
	s_delay_alu instid0(SALU_CYCLE_1) | instskip(NEXT) | instid1(SALU_CYCLE_1)
	s_lshl_b64 s[0:1], s[2:3], 1
	s_add_u32 s0, s6, s0
	s_addc_u32 s1, s7, s1
	global_store_b16 v20, v17, s[0:1]
.LBB219_12:
	s_nop 0
	s_sendmsg sendmsg(MSG_DEALLOC_VGPRS)
	s_endpgm
	.section	.rodata,"a",@progbits
	.p2align	6, 0x0
	.amdhsa_kernel _Z43inclusive_scan_array_prefix_callback_kernelILj65ELj5ELN6hipcub18BlockScanAlgorithmE0E6__halfEvPT2_S4_S3_
		.amdhsa_group_segment_fixed_size 6
		.amdhsa_private_segment_fixed_size 0
		.amdhsa_kernarg_size 20
		.amdhsa_user_sgpr_count 15
		.amdhsa_user_sgpr_dispatch_ptr 0
		.amdhsa_user_sgpr_queue_ptr 0
		.amdhsa_user_sgpr_kernarg_segment_ptr 1
		.amdhsa_user_sgpr_dispatch_id 0
		.amdhsa_user_sgpr_private_segment_size 0
		.amdhsa_wavefront_size32 1
		.amdhsa_uses_dynamic_stack 0
		.amdhsa_enable_private_segment 0
		.amdhsa_system_sgpr_workgroup_id_x 1
		.amdhsa_system_sgpr_workgroup_id_y 0
		.amdhsa_system_sgpr_workgroup_id_z 0
		.amdhsa_system_sgpr_workgroup_info 0
		.amdhsa_system_vgpr_workitem_id 0
		.amdhsa_next_free_vgpr 23
		.amdhsa_next_free_sgpr 16
		.amdhsa_reserve_vcc 1
		.amdhsa_float_round_mode_32 0
		.amdhsa_float_round_mode_16_64 0
		.amdhsa_float_denorm_mode_32 3
		.amdhsa_float_denorm_mode_16_64 3
		.amdhsa_dx10_clamp 1
		.amdhsa_ieee_mode 1
		.amdhsa_fp16_overflow 0
		.amdhsa_workgroup_processor_mode 1
		.amdhsa_memory_ordered 1
		.amdhsa_forward_progress 0
		.amdhsa_shared_vgpr_count 0
		.amdhsa_exception_fp_ieee_invalid_op 0
		.amdhsa_exception_fp_denorm_src 0
		.amdhsa_exception_fp_ieee_div_zero 0
		.amdhsa_exception_fp_ieee_overflow 0
		.amdhsa_exception_fp_ieee_underflow 0
		.amdhsa_exception_fp_ieee_inexact 0
		.amdhsa_exception_int_div_zero 0
	.end_amdhsa_kernel
	.section	.text._Z43inclusive_scan_array_prefix_callback_kernelILj65ELj5ELN6hipcub18BlockScanAlgorithmE0E6__halfEvPT2_S4_S3_,"axG",@progbits,_Z43inclusive_scan_array_prefix_callback_kernelILj65ELj5ELN6hipcub18BlockScanAlgorithmE0E6__halfEvPT2_S4_S3_,comdat
.Lfunc_end219:
	.size	_Z43inclusive_scan_array_prefix_callback_kernelILj65ELj5ELN6hipcub18BlockScanAlgorithmE0E6__halfEvPT2_S4_S3_, .Lfunc_end219-_Z43inclusive_scan_array_prefix_callback_kernelILj65ELj5ELN6hipcub18BlockScanAlgorithmE0E6__halfEvPT2_S4_S3_
                                        ; -- End function
	.section	.AMDGPU.csdata,"",@progbits
; Kernel info:
; codeLenInByte = 1024
; NumSgprs: 18
; NumVgprs: 23
; ScratchSize: 0
; MemoryBound: 0
; FloatMode: 240
; IeeeMode: 1
; LDSByteSize: 6 bytes/workgroup (compile time only)
; SGPRBlocks: 2
; VGPRBlocks: 2
; NumSGPRsForWavesPerEU: 18
; NumVGPRsForWavesPerEU: 23
; Occupancy: 16
; WaveLimiterHint : 0
; COMPUTE_PGM_RSRC2:SCRATCH_EN: 0
; COMPUTE_PGM_RSRC2:USER_SGPR: 15
; COMPUTE_PGM_RSRC2:TRAP_HANDLER: 0
; COMPUTE_PGM_RSRC2:TGID_X_EN: 1
; COMPUTE_PGM_RSRC2:TGID_Y_EN: 0
; COMPUTE_PGM_RSRC2:TGID_Z_EN: 0
; COMPUTE_PGM_RSRC2:TIDIG_COMP_CNT: 0
	.section	.text._Z43inclusive_scan_array_prefix_callback_kernelILj255ELj15ELN6hipcub18BlockScanAlgorithmE0EfEvPT2_S3_S2_,"axG",@progbits,_Z43inclusive_scan_array_prefix_callback_kernelILj255ELj15ELN6hipcub18BlockScanAlgorithmE0EfEvPT2_S3_S2_,comdat
	.protected	_Z43inclusive_scan_array_prefix_callback_kernelILj255ELj15ELN6hipcub18BlockScanAlgorithmE0EfEvPT2_S3_S2_ ; -- Begin function _Z43inclusive_scan_array_prefix_callback_kernelILj255ELj15ELN6hipcub18BlockScanAlgorithmE0EfEvPT2_S3_S2_
	.globl	_Z43inclusive_scan_array_prefix_callback_kernelILj255ELj15ELN6hipcub18BlockScanAlgorithmE0EfEvPT2_S3_S2_
	.p2align	8
	.type	_Z43inclusive_scan_array_prefix_callback_kernelILj255ELj15ELN6hipcub18BlockScanAlgorithmE0EfEvPT2_S3_S2_,@function
_Z43inclusive_scan_array_prefix_callback_kernelILj255ELj15ELN6hipcub18BlockScanAlgorithmE0EfEvPT2_S3_S2_: ; @_Z43inclusive_scan_array_prefix_callback_kernelILj255ELj15ELN6hipcub18BlockScanAlgorithmE0EfEvPT2_S3_S2_
; %bb.0:
	s_mov_b32 s8, s15
	s_load_b128 s[4:7], s[0:1], 0x0
	v_mad_u64_u32 v[1:2], null, 0xff, s8, v[0:1]
	s_mov_b32 s2, exec_lo
	s_delay_alu instid0(VALU_DEP_1) | instskip(NEXT) | instid1(VALU_DEP_1)
	v_mul_lo_u32 v27, v1, 15
	v_dual_mov_b32 v28, 0 :: v_dual_add_nc_u32 v1, 1, v27
	s_delay_alu instid0(VALU_DEP_1) | instskip(SKIP_2) | instid1(VALU_DEP_3)
	v_dual_mov_b32 v2, v28 :: v_dual_add_nc_u32 v3, 2, v27
	v_lshlrev_b64 v[9:10], 2, v[27:28]
	v_dual_mov_b32 v4, v28 :: v_dual_add_nc_u32 v5, 3, v27
	v_lshlrev_b64 v[11:12], 2, v[1:2]
	v_dual_mov_b32 v6, v28 :: v_dual_add_nc_u32 v7, 4, v27
	s_delay_alu instid0(VALU_DEP_3)
	v_lshlrev_b64 v[13:14], 2, v[3:4]
	s_waitcnt lgkmcnt(0)
	v_add_co_u32 v1, vcc_lo, s4, v9
	v_mov_b32_e32 v8, v28
	v_add_co_ci_u32_e32 v2, vcc_lo, s5, v10, vcc_lo
	v_lshlrev_b64 v[15:16], 2, v[5:6]
	v_add_co_u32 v3, vcc_lo, s4, v11
	v_add_nc_u32_e32 v11, 5, v27
	v_add_co_ci_u32_e32 v4, vcc_lo, s5, v12, vcc_lo
	v_lshlrev_b64 v[17:18], 2, v[7:8]
	v_add_co_u32 v5, vcc_lo, s4, v13
	v_add_co_ci_u32_e32 v6, vcc_lo, s5, v14, vcc_lo
	v_add_co_u32 v7, vcc_lo, s4, v15
	v_add_co_ci_u32_e32 v8, vcc_lo, s5, v16, vcc_lo
	v_add_co_u32 v9, vcc_lo, s4, v17
	v_dual_mov_b32 v12, v28 :: v_dual_add_nc_u32 v13, 6, v27
	v_add_co_ci_u32_e32 v10, vcc_lo, s5, v18, vcc_lo
	s_clause 0x4
	global_load_b32 v35, v[1:2], off
	global_load_b32 v31, v[3:4], off
	;; [unrolled: 1-line block ×5, first 2 shown]
	v_dual_mov_b32 v14, v28 :: v_dual_add_nc_u32 v15, 7, v27
	v_lshlrev_b64 v[11:12], 2, v[11:12]
	v_dual_mov_b32 v16, v28 :: v_dual_add_nc_u32 v17, 8, v27
	s_delay_alu instid0(VALU_DEP_3) | instskip(SKIP_1) | instid1(VALU_DEP_4)
	v_lshlrev_b64 v[13:14], 2, v[13:14]
	v_dual_mov_b32 v18, v28 :: v_dual_add_nc_u32 v19, 9, v27
	v_add_co_u32 v11, vcc_lo, s4, v11
	s_delay_alu instid0(VALU_DEP_4)
	v_lshlrev_b64 v[15:16], 2, v[15:16]
	v_add_co_ci_u32_e32 v12, vcc_lo, s5, v12, vcc_lo
	v_add_co_u32 v13, vcc_lo, s4, v13
	v_add_co_ci_u32_e32 v14, vcc_lo, s5, v14, vcc_lo
	v_dual_mov_b32 v20, v28 :: v_dual_add_nc_u32 v21, 10, v27
	v_add_co_u32 v15, vcc_lo, s4, v15
	global_load_b32 v36, v[11:12], off
	v_lshlrev_b64 v[17:18], 2, v[17:18]
	v_add_co_ci_u32_e32 v16, vcc_lo, s5, v16, vcc_lo
	v_lshlrev_b64 v[19:20], 2, v[19:20]
	s_clause 0x1
	global_load_b32 v37, v[13:14], off
	global_load_b32 v38, v[15:16], off
	v_add_co_u32 v17, vcc_lo, s4, v17
	v_dual_mov_b32 v22, v28 :: v_dual_add_nc_u32 v23, 11, v27
	v_add_co_ci_u32_e32 v18, vcc_lo, s5, v18, vcc_lo
	v_add_co_u32 v19, vcc_lo, s4, v19
	v_dual_mov_b32 v24, v28 :: v_dual_add_nc_u32 v25, 12, v27
	v_add_co_ci_u32_e32 v20, vcc_lo, s5, v20, vcc_lo
	v_lshlrev_b64 v[21:22], 2, v[21:22]
	v_dual_mov_b32 v26, v28 :: v_dual_add_nc_u32 v29, 13, v27
	s_clause 0x1
	global_load_b32 v39, v[17:18], off
	global_load_b32 v40, v[19:20], off
	v_lshlrev_b64 v[23:24], 2, v[23:24]
	v_dual_mov_b32 v30, v28 :: v_dual_add_nc_u32 v27, 14, v27
	v_add_co_u32 v21, vcc_lo, s4, v21
	v_lshlrev_b64 v[25:26], 2, v[25:26]
	v_add_co_ci_u32_e32 v22, vcc_lo, s5, v22, vcc_lo
	v_add_co_u32 v23, vcc_lo, s4, v23
	v_add_co_ci_u32_e32 v24, vcc_lo, s5, v24, vcc_lo
	s_delay_alu instid0(VALU_DEP_4)
	v_add_co_u32 v25, vcc_lo, s4, v25
	global_load_b32 v41, v[21:22], off
	v_lshlrev_b64 v[29:30], 2, v[29:30]
	v_add_co_ci_u32_e32 v26, vcc_lo, s5, v26, vcc_lo
	v_lshlrev_b64 v[44:45], 2, v[27:28]
	s_clause 0x1
	global_load_b32 v42, v[23:24], off
	global_load_b32 v43, v[25:26], off
	v_add_co_u32 v27, vcc_lo, s4, v29
	v_add_co_ci_u32_e32 v28, vcc_lo, s5, v30, vcc_lo
	v_add_co_u32 v29, vcc_lo, s4, v44
	v_add_co_ci_u32_e32 v30, vcc_lo, s5, v45, vcc_lo
	s_clause 0x1
	global_load_b32 v45, v[27:28], off
	global_load_b32 v44, v[29:30], off
	s_waitcnt vmcnt(13)
	v_add_f32_e32 v46, v35, v31
	s_waitcnt vmcnt(12)
	s_delay_alu instid0(VALU_DEP_1) | instskip(SKIP_1) | instid1(VALU_DEP_1)
	v_add_f32_e32 v46, v32, v46
	s_waitcnt vmcnt(11)
	v_add_f32_e32 v46, v33, v46
	s_waitcnt vmcnt(10)
	s_delay_alu instid0(VALU_DEP_1) | instskip(SKIP_1) | instid1(VALU_DEP_1)
	v_add_f32_e32 v46, v34, v46
	;; [unrolled: 5-line block ×6, first 2 shown]
	s_waitcnt vmcnt(1)
	v_add_f32_e32 v46, v45, v46
	s_waitcnt vmcnt(0)
	s_delay_alu instid0(VALU_DEP_1) | instskip(SKIP_1) | instid1(VALU_DEP_2)
	v_add_f32_e32 v47, v44, v46
	v_mbcnt_lo_u32_b32 v46, -1, 0
	v_mov_b32_dpp v48, v47 row_shr:1 row_mask:0xf bank_mask:0xf
	s_delay_alu instid0(VALU_DEP_2) | instskip(SKIP_1) | instid1(VALU_DEP_3)
	v_and_b32_e32 v49, 15, v46
	v_and_b32_e32 v50, 16, v46
	v_add_f32_e32 v48, v47, v48
	s_delay_alu instid0(VALU_DEP_3) | instskip(NEXT) | instid1(VALU_DEP_2)
	v_cmp_eq_u32_e32 vcc_lo, 0, v49
	v_cndmask_b32_e32 v47, v48, v47, vcc_lo
	v_cmp_lt_u32_e32 vcc_lo, 1, v49
	s_delay_alu instid0(VALU_DEP_2) | instskip(NEXT) | instid1(VALU_DEP_1)
	v_mov_b32_dpp v48, v47 row_shr:2 row_mask:0xf bank_mask:0xf
	v_add_f32_e32 v48, v47, v48
	s_delay_alu instid0(VALU_DEP_1) | instskip(SKIP_1) | instid1(VALU_DEP_2)
	v_cndmask_b32_e32 v47, v47, v48, vcc_lo
	v_cmp_lt_u32_e32 vcc_lo, 3, v49
	v_mov_b32_dpp v48, v47 row_shr:4 row_mask:0xf bank_mask:0xf
	s_delay_alu instid0(VALU_DEP_1) | instskip(NEXT) | instid1(VALU_DEP_1)
	v_add_f32_e32 v48, v47, v48
	v_cndmask_b32_e32 v47, v47, v48, vcc_lo
	v_cmp_lt_u32_e32 vcc_lo, 7, v49
	v_and_b32_e32 v49, 0xe0, v0
	s_delay_alu instid0(VALU_DEP_3) | instskip(NEXT) | instid1(VALU_DEP_2)
	v_mov_b32_dpp v48, v47 row_shr:8 row_mask:0xf bank_mask:0xf
	v_min_u32_e32 v49, 0xdf, v49
	s_delay_alu instid0(VALU_DEP_1) | instskip(NEXT) | instid1(VALU_DEP_1)
	v_dual_add_f32 v48, v47, v48 :: v_dual_add_nc_u32 v49, 31, v49
	v_cndmask_b32_e32 v47, v47, v48, vcc_lo
	v_cmp_eq_u32_e32 vcc_lo, 0, v50
	ds_swizzle_b32 v48, v47 offset:swizzle(BROADCAST,32,15)
	s_waitcnt lgkmcnt(0)
	v_add_f32_e32 v51, v47, v48
	v_lshrrev_b32_e32 v48, 5, v0
	s_delay_alu instid0(VALU_DEP_2)
	v_cndmask_b32_e32 v47, v51, v47, vcc_lo
	v_cmpx_eq_u32_e64 v49, v0
	s_cbranch_execz .LBB220_2
; %bb.1:
	s_delay_alu instid0(VALU_DEP_3)
	v_lshlrev_b32_e32 v49, 2, v48
	ds_store_b32 v49, v47
.LBB220_2:
	s_or_b32 exec_lo, exec_lo, s2
	s_delay_alu instid0(SALU_CYCLE_1)
	s_mov_b32 s2, exec_lo
	s_waitcnt lgkmcnt(0)
	s_barrier
	buffer_gl0_inv
	v_cmpx_gt_u32_e32 8, v0
	s_cbranch_execz .LBB220_4
; %bb.3:
	v_and_b32_e32 v52, 7, v46
	s_delay_alu instid0(VALU_DEP_1) | instskip(SKIP_4) | instid1(VALU_DEP_1)
	v_cmp_eq_u32_e32 vcc_lo, 0, v52
	v_lshlrev_b32_e32 v49, 2, v0
	ds_load_b32 v50, v49
	s_waitcnt lgkmcnt(0)
	v_mov_b32_dpp v51, v50 row_shr:1 row_mask:0xf bank_mask:0xf
	v_add_f32_e32 v51, v50, v51
	s_delay_alu instid0(VALU_DEP_1) | instskip(SKIP_1) | instid1(VALU_DEP_2)
	v_cndmask_b32_e32 v50, v51, v50, vcc_lo
	v_cmp_lt_u32_e32 vcc_lo, 1, v52
	v_mov_b32_dpp v51, v50 row_shr:2 row_mask:0xf bank_mask:0xf
	s_delay_alu instid0(VALU_DEP_1) | instskip(NEXT) | instid1(VALU_DEP_1)
	v_add_f32_e32 v51, v50, v51
	v_cndmask_b32_e32 v50, v50, v51, vcc_lo
	v_cmp_lt_u32_e32 vcc_lo, 3, v52
	s_delay_alu instid0(VALU_DEP_2) | instskip(NEXT) | instid1(VALU_DEP_1)
	v_mov_b32_dpp v51, v50 row_shr:4 row_mask:0xf bank_mask:0xf
	v_add_f32_e32 v51, v50, v51
	s_delay_alu instid0(VALU_DEP_1)
	v_cndmask_b32_e32 v50, v50, v51, vcc_lo
	ds_store_b32 v49, v50
.LBB220_4:
	s_or_b32 exec_lo, exec_lo, s2
	v_cmp_gt_u32_e32 vcc_lo, 32, v0
	s_mov_b32 s3, exec_lo
	s_waitcnt lgkmcnt(0)
	s_barrier
	buffer_gl0_inv
                                        ; implicit-def: $vgpr49
	v_cmpx_lt_u32_e32 31, v0
	s_cbranch_execz .LBB220_6
; %bb.5:
	v_lshl_add_u32 v48, v48, 2, -4
	ds_load_b32 v49, v48
	s_waitcnt lgkmcnt(0)
	v_add_f32_e32 v47, v47, v49
.LBB220_6:
	s_or_b32 exec_lo, exec_lo, s3
	s_load_b32 s0, s[0:1], 0x10
	v_add_nc_u32_e32 v48, -1, v46
	s_delay_alu instid0(VALU_DEP_1) | instskip(NEXT) | instid1(VALU_DEP_1)
	v_cmp_gt_i32_e64 s2, 0, v48
	v_cndmask_b32_e64 v48, v48, v46, s2
	s_delay_alu instid0(VALU_DEP_1)
	v_lshlrev_b32_e32 v48, 2, v48
	ds_bpermute_b32 v50, v48, v47
	s_waitcnt lgkmcnt(0)
	v_mov_b32_e32 v47, s0
	s_and_saveexec_b32 s1, vcc_lo
	s_cbranch_execz .LBB220_10
; %bb.7:
	v_mov_b32_e32 v48, 0
	s_mov_b32 s2, exec_lo
	ds_load_b32 v47, v48 offset:28
	v_cmpx_eq_u32_e32 0, v0
	s_cbranch_execz .LBB220_9
; %bb.8:
	v_mov_b32_e32 v51, s0
	ds_store_b32 v48, v51 offset:28
.LBB220_9:
	s_or_b32 exec_lo, exec_lo, s2
	s_waitcnt lgkmcnt(0)
	v_add_f32_e32 v47, s0, v47
.LBB220_10:
	s_or_b32 exec_lo, exec_lo, s1
	v_mov_b32_e32 v48, 0
	s_barrier
	buffer_gl0_inv
	v_cmp_eq_u32_e32 vcc_lo, 0, v46
	ds_load_b32 v51, v48 offset:28
	v_cndmask_b32_e32 v46, v50, v49, vcc_lo
	v_cmp_eq_u32_e32 vcc_lo, 0, v0
	s_delay_alu instid0(VALU_DEP_2) | instskip(NEXT) | instid1(VALU_DEP_1)
	v_add_f32_e32 v46, v35, v46
	v_cndmask_b32_e32 v0, v46, v35, vcc_lo
	s_waitcnt lgkmcnt(0)
	s_delay_alu instid0(VALU_DEP_1) | instskip(NEXT) | instid1(VALU_DEP_1)
	v_add_f32_e32 v0, v0, v51
	v_add_f32_e32 v31, v31, v0
	s_delay_alu instid0(VALU_DEP_1) | instskip(NEXT) | instid1(VALU_DEP_1)
	v_add_f32_e32 v32, v32, v31
	v_add_f32_e32 v33, v33, v32
	s_delay_alu instid0(VALU_DEP_1) | instskip(NEXT) | instid1(VALU_DEP_1)
	v_add_f32_e32 v34, v34, v33
	v_add_f32_e32 v35, v36, v34
	s_delay_alu instid0(VALU_DEP_1) | instskip(NEXT) | instid1(VALU_DEP_1)
	v_add_f32_e32 v36, v37, v35
	v_add_f32_e32 v37, v38, v36
	s_delay_alu instid0(VALU_DEP_1) | instskip(NEXT) | instid1(VALU_DEP_1)
	v_add_f32_e32 v38, v39, v37
	v_add_f32_e32 v39, v40, v38
	s_delay_alu instid0(VALU_DEP_1) | instskip(NEXT) | instid1(VALU_DEP_1)
	v_add_f32_e32 v40, v41, v39
	v_add_f32_e32 v41, v42, v40
	s_delay_alu instid0(VALU_DEP_1) | instskip(NEXT) | instid1(VALU_DEP_1)
	v_add_f32_e32 v42, v43, v41
	v_add_f32_e32 v43, v45, v42
	s_clause 0x7
	global_store_b32 v[1:2], v0, off
	global_store_b32 v[3:4], v31, off
	;; [unrolled: 1-line block ×8, first 2 shown]
	v_add_f32_e32 v0, v44, v43
	s_clause 0x6
	global_store_b32 v[17:18], v38, off
	global_store_b32 v[19:20], v39, off
	;; [unrolled: 1-line block ×7, first 2 shown]
	s_and_saveexec_b32 s0, vcc_lo
	s_cbranch_execz .LBB220_12
; %bb.11:
	s_mov_b32 s9, 0
	s_delay_alu instid0(SALU_CYCLE_1) | instskip(NEXT) | instid1(SALU_CYCLE_1)
	s_lshl_b64 s[0:1], s[8:9], 2
	s_add_u32 s0, s6, s0
	s_addc_u32 s1, s7, s1
	global_store_b32 v48, v47, s[0:1]
.LBB220_12:
	s_nop 0
	s_sendmsg sendmsg(MSG_DEALLOC_VGPRS)
	s_endpgm
	.section	.rodata,"a",@progbits
	.p2align	6, 0x0
	.amdhsa_kernel _Z43inclusive_scan_array_prefix_callback_kernelILj255ELj15ELN6hipcub18BlockScanAlgorithmE0EfEvPT2_S3_S2_
		.amdhsa_group_segment_fixed_size 32
		.amdhsa_private_segment_fixed_size 0
		.amdhsa_kernarg_size 20
		.amdhsa_user_sgpr_count 15
		.amdhsa_user_sgpr_dispatch_ptr 0
		.amdhsa_user_sgpr_queue_ptr 0
		.amdhsa_user_sgpr_kernarg_segment_ptr 1
		.amdhsa_user_sgpr_dispatch_id 0
		.amdhsa_user_sgpr_private_segment_size 0
		.amdhsa_wavefront_size32 1
		.amdhsa_uses_dynamic_stack 0
		.amdhsa_enable_private_segment 0
		.amdhsa_system_sgpr_workgroup_id_x 1
		.amdhsa_system_sgpr_workgroup_id_y 0
		.amdhsa_system_sgpr_workgroup_id_z 0
		.amdhsa_system_sgpr_workgroup_info 0
		.amdhsa_system_vgpr_workitem_id 0
		.amdhsa_next_free_vgpr 53
		.amdhsa_next_free_sgpr 16
		.amdhsa_reserve_vcc 1
		.amdhsa_float_round_mode_32 0
		.amdhsa_float_round_mode_16_64 0
		.amdhsa_float_denorm_mode_32 3
		.amdhsa_float_denorm_mode_16_64 3
		.amdhsa_dx10_clamp 1
		.amdhsa_ieee_mode 1
		.amdhsa_fp16_overflow 0
		.amdhsa_workgroup_processor_mode 1
		.amdhsa_memory_ordered 1
		.amdhsa_forward_progress 0
		.amdhsa_shared_vgpr_count 0
		.amdhsa_exception_fp_ieee_invalid_op 0
		.amdhsa_exception_fp_denorm_src 0
		.amdhsa_exception_fp_ieee_div_zero 0
		.amdhsa_exception_fp_ieee_overflow 0
		.amdhsa_exception_fp_ieee_underflow 0
		.amdhsa_exception_fp_ieee_inexact 0
		.amdhsa_exception_int_div_zero 0
	.end_amdhsa_kernel
	.section	.text._Z43inclusive_scan_array_prefix_callback_kernelILj255ELj15ELN6hipcub18BlockScanAlgorithmE0EfEvPT2_S3_S2_,"axG",@progbits,_Z43inclusive_scan_array_prefix_callback_kernelILj255ELj15ELN6hipcub18BlockScanAlgorithmE0EfEvPT2_S3_S2_,comdat
.Lfunc_end220:
	.size	_Z43inclusive_scan_array_prefix_callback_kernelILj255ELj15ELN6hipcub18BlockScanAlgorithmE0EfEvPT2_S3_S2_, .Lfunc_end220-_Z43inclusive_scan_array_prefix_callback_kernelILj255ELj15ELN6hipcub18BlockScanAlgorithmE0EfEvPT2_S3_S2_
                                        ; -- End function
	.section	.AMDGPU.csdata,"",@progbits
; Kernel info:
; codeLenInByte = 1600
; NumSgprs: 18
; NumVgprs: 53
; ScratchSize: 0
; MemoryBound: 0
; FloatMode: 240
; IeeeMode: 1
; LDSByteSize: 32 bytes/workgroup (compile time only)
; SGPRBlocks: 2
; VGPRBlocks: 6
; NumSGPRsForWavesPerEU: 18
; NumVGPRsForWavesPerEU: 53
; Occupancy: 16
; WaveLimiterHint : 0
; COMPUTE_PGM_RSRC2:SCRATCH_EN: 0
; COMPUTE_PGM_RSRC2:USER_SGPR: 15
; COMPUTE_PGM_RSRC2:TRAP_HANDLER: 0
; COMPUTE_PGM_RSRC2:TGID_X_EN: 1
; COMPUTE_PGM_RSRC2:TGID_Y_EN: 0
; COMPUTE_PGM_RSRC2:TGID_Z_EN: 0
; COMPUTE_PGM_RSRC2:TIDIG_COMP_CNT: 0
	.section	.text._Z43inclusive_scan_array_prefix_callback_kernelILj162ELj7ELN6hipcub18BlockScanAlgorithmE0EfEvPT2_S3_S2_,"axG",@progbits,_Z43inclusive_scan_array_prefix_callback_kernelILj162ELj7ELN6hipcub18BlockScanAlgorithmE0EfEvPT2_S3_S2_,comdat
	.protected	_Z43inclusive_scan_array_prefix_callback_kernelILj162ELj7ELN6hipcub18BlockScanAlgorithmE0EfEvPT2_S3_S2_ ; -- Begin function _Z43inclusive_scan_array_prefix_callback_kernelILj162ELj7ELN6hipcub18BlockScanAlgorithmE0EfEvPT2_S3_S2_
	.globl	_Z43inclusive_scan_array_prefix_callback_kernelILj162ELj7ELN6hipcub18BlockScanAlgorithmE0EfEvPT2_S3_S2_
	.p2align	8
	.type	_Z43inclusive_scan_array_prefix_callback_kernelILj162ELj7ELN6hipcub18BlockScanAlgorithmE0EfEvPT2_S3_S2_,@function
_Z43inclusive_scan_array_prefix_callback_kernelILj162ELj7ELN6hipcub18BlockScanAlgorithmE0EfEvPT2_S3_S2_: ; @_Z43inclusive_scan_array_prefix_callback_kernelILj162ELj7ELN6hipcub18BlockScanAlgorithmE0EfEvPT2_S3_S2_
; %bb.0:
	s_mov_b32 s8, s15
	s_load_b128 s[4:7], s[0:1], 0x0
	v_mad_u64_u32 v[1:2], null, 0xa2, s8, v[0:1]
	s_mov_b32 s2, exec_lo
	s_delay_alu instid0(VALU_DEP_1) | instskip(NEXT) | instid1(VALU_DEP_1)
	v_mul_lo_u32 v11, v1, 7
	v_dual_mov_b32 v12, 0 :: v_dual_add_nc_u32 v1, 1, v11
	s_delay_alu instid0(VALU_DEP_1) | instskip(SKIP_2) | instid1(VALU_DEP_3)
	v_dual_mov_b32 v2, v12 :: v_dual_add_nc_u32 v3, 2, v11
	v_lshlrev_b64 v[9:10], 2, v[11:12]
	v_dual_mov_b32 v4, v12 :: v_dual_add_nc_u32 v5, 3, v11
	v_lshlrev_b64 v[13:14], 2, v[1:2]
	v_dual_mov_b32 v6, v12 :: v_dual_add_nc_u32 v7, 4, v11
	s_waitcnt lgkmcnt(0)
	s_delay_alu instid0(VALU_DEP_4)
	v_add_co_u32 v1, vcc_lo, s4, v9
	v_lshlrev_b64 v[15:16], 2, v[3:4]
	v_add_co_ci_u32_e32 v2, vcc_lo, s5, v10, vcc_lo
	v_mov_b32_e32 v8, v12
	v_add_co_u32 v3, vcc_lo, s4, v13
	v_add_nc_u32_e32 v13, 5, v11
	v_lshlrev_b64 v[17:18], 2, v[5:6]
	v_add_co_ci_u32_e32 v4, vcc_lo, s5, v14, vcc_lo
	v_add_co_u32 v5, vcc_lo, s4, v15
	v_lshlrev_b64 v[19:20], 2, v[7:8]
	v_add_co_ci_u32_e32 v6, vcc_lo, s5, v16, vcc_lo
	s_clause 0x1
	global_load_b32 v16, v[1:2], off
	global_load_b32 v15, v[3:4], off
	v_dual_mov_b32 v14, v12 :: v_dual_add_nc_u32 v11, 6, v11
	v_add_co_u32 v7, vcc_lo, s4, v17
	v_add_co_ci_u32_e32 v8, vcc_lo, s5, v18, vcc_lo
	v_add_co_u32 v9, vcc_lo, s4, v19
	global_load_b32 v17, v[5:6], off
	v_lshlrev_b64 v[13:14], 2, v[13:14]
	v_add_co_ci_u32_e32 v10, vcc_lo, s5, v20, vcc_lo
	v_lshlrev_b64 v[20:21], 2, v[11:12]
	s_clause 0x1
	global_load_b32 v18, v[7:8], off
	global_load_b32 v19, v[9:10], off
	v_add_co_u32 v11, vcc_lo, s4, v13
	v_add_co_ci_u32_e32 v12, vcc_lo, s5, v14, vcc_lo
	v_add_co_u32 v13, vcc_lo, s4, v20
	v_add_co_ci_u32_e32 v14, vcc_lo, s5, v21, vcc_lo
	s_clause 0x1
	global_load_b32 v20, v[11:12], off
	global_load_b32 v21, v[13:14], off
	s_waitcnt vmcnt(5)
	v_add_f32_e32 v22, v16, v15
	s_waitcnt vmcnt(4)
	s_delay_alu instid0(VALU_DEP_1) | instskip(SKIP_1) | instid1(VALU_DEP_1)
	v_add_f32_e32 v22, v17, v22
	s_waitcnt vmcnt(3)
	v_add_f32_e32 v22, v18, v22
	s_waitcnt vmcnt(2)
	s_delay_alu instid0(VALU_DEP_1) | instskip(SKIP_1) | instid1(VALU_DEP_1)
	v_add_f32_e32 v22, v19, v22
	s_waitcnt vmcnt(1)
	v_add_f32_e32 v22, v20, v22
	s_waitcnt vmcnt(0)
	s_delay_alu instid0(VALU_DEP_1) | instskip(SKIP_1) | instid1(VALU_DEP_2)
	v_add_f32_e32 v23, v21, v22
	v_mbcnt_lo_u32_b32 v22, -1, 0
	v_mov_b32_dpp v24, v23 row_shr:1 row_mask:0xf bank_mask:0xf
	s_delay_alu instid0(VALU_DEP_1) | instskip(NEXT) | instid1(VALU_DEP_1)
	v_dual_add_f32 v24, v23, v24 :: v_dual_and_b32 v25, 15, v22
	v_cmp_eq_u32_e32 vcc_lo, 0, v25
	s_delay_alu instid0(VALU_DEP_2) | instskip(SKIP_1) | instid1(VALU_DEP_2)
	v_cndmask_b32_e32 v23, v24, v23, vcc_lo
	v_cmp_lt_u32_e32 vcc_lo, 1, v25
	v_mov_b32_dpp v24, v23 row_shr:2 row_mask:0xf bank_mask:0xf
	s_delay_alu instid0(VALU_DEP_1) | instskip(NEXT) | instid1(VALU_DEP_1)
	v_add_f32_e32 v24, v23, v24
	v_cndmask_b32_e32 v23, v23, v24, vcc_lo
	v_cmp_lt_u32_e32 vcc_lo, 3, v25
	s_delay_alu instid0(VALU_DEP_2) | instskip(NEXT) | instid1(VALU_DEP_1)
	v_mov_b32_dpp v24, v23 row_shr:4 row_mask:0xf bank_mask:0xf
	v_add_f32_e32 v24, v23, v24
	s_delay_alu instid0(VALU_DEP_1) | instskip(SKIP_2) | instid1(VALU_DEP_3)
	v_cndmask_b32_e32 v23, v23, v24, vcc_lo
	v_cmp_lt_u32_e32 vcc_lo, 7, v25
	v_and_b32_e32 v25, 0xe0, v0
	v_mov_b32_dpp v24, v23 row_shr:8 row_mask:0xf bank_mask:0xf
	s_delay_alu instid0(VALU_DEP_2) | instskip(NEXT) | instid1(VALU_DEP_1)
	v_min_u32_e32 v25, 0x82, v25
	v_dual_add_f32 v24, v23, v24 :: v_dual_add_nc_u32 v25, 31, v25
	s_delay_alu instid0(VALU_DEP_1) | instskip(SKIP_3) | instid1(VALU_DEP_1)
	v_cndmask_b32_e32 v23, v23, v24, vcc_lo
	ds_swizzle_b32 v24, v23 offset:swizzle(BROADCAST,32,15)
	s_waitcnt lgkmcnt(0)
	v_dual_add_f32 v27, v23, v24 :: v_dual_and_b32 v26, 16, v22
	v_cmp_eq_u32_e32 vcc_lo, 0, v26
	v_lshrrev_b32_e32 v24, 5, v0
	s_delay_alu instid0(VALU_DEP_3)
	v_cndmask_b32_e32 v23, v27, v23, vcc_lo
	v_cmpx_eq_u32_e64 v25, v0
	s_cbranch_execz .LBB221_2
; %bb.1:
	s_delay_alu instid0(VALU_DEP_3)
	v_lshlrev_b32_e32 v25, 2, v24
	ds_store_b32 v25, v23
.LBB221_2:
	s_or_b32 exec_lo, exec_lo, s2
	s_delay_alu instid0(SALU_CYCLE_1)
	s_mov_b32 s2, exec_lo
	s_waitcnt lgkmcnt(0)
	s_barrier
	buffer_gl0_inv
	v_cmpx_gt_u32_e32 6, v0
	s_cbranch_execz .LBB221_4
; %bb.3:
	v_and_b32_e32 v28, 7, v22
	s_delay_alu instid0(VALU_DEP_1) | instskip(SKIP_4) | instid1(VALU_DEP_1)
	v_cmp_eq_u32_e32 vcc_lo, 0, v28
	v_lshlrev_b32_e32 v25, 2, v0
	ds_load_b32 v26, v25
	s_waitcnt lgkmcnt(0)
	v_mov_b32_dpp v27, v26 row_shr:1 row_mask:0xf bank_mask:0xf
	v_add_f32_e32 v27, v26, v27
	s_delay_alu instid0(VALU_DEP_1) | instskip(SKIP_1) | instid1(VALU_DEP_2)
	v_cndmask_b32_e32 v26, v27, v26, vcc_lo
	v_cmp_lt_u32_e32 vcc_lo, 1, v28
	v_mov_b32_dpp v27, v26 row_shr:2 row_mask:0xf bank_mask:0xf
	s_delay_alu instid0(VALU_DEP_1) | instskip(NEXT) | instid1(VALU_DEP_1)
	v_add_f32_e32 v27, v26, v27
	v_cndmask_b32_e32 v26, v26, v27, vcc_lo
	v_cmp_lt_u32_e32 vcc_lo, 3, v28
	s_delay_alu instid0(VALU_DEP_2) | instskip(NEXT) | instid1(VALU_DEP_1)
	v_mov_b32_dpp v27, v26 row_shr:4 row_mask:0xf bank_mask:0xf
	v_add_f32_e32 v27, v26, v27
	s_delay_alu instid0(VALU_DEP_1)
	v_cndmask_b32_e32 v26, v26, v27, vcc_lo
	ds_store_b32 v25, v26
.LBB221_4:
	s_or_b32 exec_lo, exec_lo, s2
	v_cmp_gt_u32_e32 vcc_lo, 32, v0
	s_mov_b32 s3, exec_lo
	s_waitcnt lgkmcnt(0)
	s_barrier
	buffer_gl0_inv
                                        ; implicit-def: $vgpr25
	v_cmpx_lt_u32_e32 31, v0
	s_cbranch_execz .LBB221_6
; %bb.5:
	v_lshl_add_u32 v24, v24, 2, -4
	ds_load_b32 v25, v24
	s_waitcnt lgkmcnt(0)
	v_add_f32_e32 v23, v23, v25
.LBB221_6:
	s_or_b32 exec_lo, exec_lo, s3
	s_load_b32 s0, s[0:1], 0x10
	v_add_nc_u32_e32 v24, -1, v22
	s_delay_alu instid0(VALU_DEP_1) | instskip(NEXT) | instid1(VALU_DEP_1)
	v_cmp_gt_i32_e64 s2, 0, v24
	v_cndmask_b32_e64 v24, v24, v22, s2
	s_delay_alu instid0(VALU_DEP_1)
	v_lshlrev_b32_e32 v24, 2, v24
	ds_bpermute_b32 v26, v24, v23
	s_waitcnt lgkmcnt(0)
	v_mov_b32_e32 v23, s0
	s_and_saveexec_b32 s1, vcc_lo
	s_cbranch_execz .LBB221_10
; %bb.7:
	v_mov_b32_e32 v24, 0
	s_mov_b32 s2, exec_lo
	ds_load_b32 v23, v24 offset:20
	v_cmpx_eq_u32_e32 0, v0
	s_cbranch_execz .LBB221_9
; %bb.8:
	v_mov_b32_e32 v27, s0
	ds_store_b32 v24, v27 offset:20
.LBB221_9:
	s_or_b32 exec_lo, exec_lo, s2
	s_waitcnt lgkmcnt(0)
	v_add_f32_e32 v23, s0, v23
.LBB221_10:
	s_or_b32 exec_lo, exec_lo, s1
	v_mov_b32_e32 v24, 0
	s_barrier
	buffer_gl0_inv
	v_cmp_eq_u32_e32 vcc_lo, 0, v22
	ds_load_b32 v27, v24 offset:20
	v_cndmask_b32_e32 v22, v26, v25, vcc_lo
	v_cmp_eq_u32_e32 vcc_lo, 0, v0
	s_delay_alu instid0(VALU_DEP_2) | instskip(NEXT) | instid1(VALU_DEP_1)
	v_add_f32_e32 v22, v16, v22
	v_cndmask_b32_e32 v0, v22, v16, vcc_lo
	s_waitcnt lgkmcnt(0)
	s_delay_alu instid0(VALU_DEP_1) | instskip(NEXT) | instid1(VALU_DEP_1)
	v_add_f32_e32 v0, v0, v27
	v_add_f32_e32 v15, v15, v0
	s_delay_alu instid0(VALU_DEP_1) | instskip(NEXT) | instid1(VALU_DEP_1)
	v_add_f32_e32 v16, v17, v15
	v_add_f32_e32 v17, v18, v16
	;; [unrolled: 3-line block ×3, first 2 shown]
	s_delay_alu instid0(VALU_DEP_1)
	v_add_f32_e32 v20, v21, v19
	s_clause 0x6
	global_store_b32 v[1:2], v0, off
	global_store_b32 v[3:4], v15, off
	;; [unrolled: 1-line block ×7, first 2 shown]
	s_and_saveexec_b32 s0, vcc_lo
	s_cbranch_execz .LBB221_12
; %bb.11:
	s_mov_b32 s9, 0
	s_delay_alu instid0(SALU_CYCLE_1) | instskip(NEXT) | instid1(SALU_CYCLE_1)
	s_lshl_b64 s[0:1], s[8:9], 2
	s_add_u32 s0, s6, s0
	s_addc_u32 s1, s7, s1
	global_store_b32 v24, v23, s[0:1]
.LBB221_12:
	s_nop 0
	s_sendmsg sendmsg(MSG_DEALLOC_VGPRS)
	s_endpgm
	.section	.rodata,"a",@progbits
	.p2align	6, 0x0
	.amdhsa_kernel _Z43inclusive_scan_array_prefix_callback_kernelILj162ELj7ELN6hipcub18BlockScanAlgorithmE0EfEvPT2_S3_S2_
		.amdhsa_group_segment_fixed_size 24
		.amdhsa_private_segment_fixed_size 0
		.amdhsa_kernarg_size 20
		.amdhsa_user_sgpr_count 15
		.amdhsa_user_sgpr_dispatch_ptr 0
		.amdhsa_user_sgpr_queue_ptr 0
		.amdhsa_user_sgpr_kernarg_segment_ptr 1
		.amdhsa_user_sgpr_dispatch_id 0
		.amdhsa_user_sgpr_private_segment_size 0
		.amdhsa_wavefront_size32 1
		.amdhsa_uses_dynamic_stack 0
		.amdhsa_enable_private_segment 0
		.amdhsa_system_sgpr_workgroup_id_x 1
		.amdhsa_system_sgpr_workgroup_id_y 0
		.amdhsa_system_sgpr_workgroup_id_z 0
		.amdhsa_system_sgpr_workgroup_info 0
		.amdhsa_system_vgpr_workitem_id 0
		.amdhsa_next_free_vgpr 29
		.amdhsa_next_free_sgpr 16
		.amdhsa_reserve_vcc 1
		.amdhsa_float_round_mode_32 0
		.amdhsa_float_round_mode_16_64 0
		.amdhsa_float_denorm_mode_32 3
		.amdhsa_float_denorm_mode_16_64 3
		.amdhsa_dx10_clamp 1
		.amdhsa_ieee_mode 1
		.amdhsa_fp16_overflow 0
		.amdhsa_workgroup_processor_mode 1
		.amdhsa_memory_ordered 1
		.amdhsa_forward_progress 0
		.amdhsa_shared_vgpr_count 0
		.amdhsa_exception_fp_ieee_invalid_op 0
		.amdhsa_exception_fp_denorm_src 0
		.amdhsa_exception_fp_ieee_div_zero 0
		.amdhsa_exception_fp_ieee_overflow 0
		.amdhsa_exception_fp_ieee_underflow 0
		.amdhsa_exception_fp_ieee_inexact 0
		.amdhsa_exception_int_div_zero 0
	.end_amdhsa_kernel
	.section	.text._Z43inclusive_scan_array_prefix_callback_kernelILj162ELj7ELN6hipcub18BlockScanAlgorithmE0EfEvPT2_S3_S2_,"axG",@progbits,_Z43inclusive_scan_array_prefix_callback_kernelILj162ELj7ELN6hipcub18BlockScanAlgorithmE0EfEvPT2_S3_S2_,comdat
.Lfunc_end221:
	.size	_Z43inclusive_scan_array_prefix_callback_kernelILj162ELj7ELN6hipcub18BlockScanAlgorithmE0EfEvPT2_S3_S2_, .Lfunc_end221-_Z43inclusive_scan_array_prefix_callback_kernelILj162ELj7ELN6hipcub18BlockScanAlgorithmE0EfEvPT2_S3_S2_
                                        ; -- End function
	.section	.AMDGPU.csdata,"",@progbits
; Kernel info:
; codeLenInByte = 1100
; NumSgprs: 18
; NumVgprs: 29
; ScratchSize: 0
; MemoryBound: 0
; FloatMode: 240
; IeeeMode: 1
; LDSByteSize: 24 bytes/workgroup (compile time only)
; SGPRBlocks: 2
; VGPRBlocks: 3
; NumSGPRsForWavesPerEU: 18
; NumVGPRsForWavesPerEU: 29
; Occupancy: 15
; WaveLimiterHint : 0
; COMPUTE_PGM_RSRC2:SCRATCH_EN: 0
; COMPUTE_PGM_RSRC2:USER_SGPR: 15
; COMPUTE_PGM_RSRC2:TRAP_HANDLER: 0
; COMPUTE_PGM_RSRC2:TGID_X_EN: 1
; COMPUTE_PGM_RSRC2:TGID_Y_EN: 0
; COMPUTE_PGM_RSRC2:TGID_Z_EN: 0
; COMPUTE_PGM_RSRC2:TIDIG_COMP_CNT: 0
	.section	.text._Z43inclusive_scan_array_prefix_callback_kernelILj65ELj5ELN6hipcub18BlockScanAlgorithmE0EfEvPT2_S3_S2_,"axG",@progbits,_Z43inclusive_scan_array_prefix_callback_kernelILj65ELj5ELN6hipcub18BlockScanAlgorithmE0EfEvPT2_S3_S2_,comdat
	.protected	_Z43inclusive_scan_array_prefix_callback_kernelILj65ELj5ELN6hipcub18BlockScanAlgorithmE0EfEvPT2_S3_S2_ ; -- Begin function _Z43inclusive_scan_array_prefix_callback_kernelILj65ELj5ELN6hipcub18BlockScanAlgorithmE0EfEvPT2_S3_S2_
	.globl	_Z43inclusive_scan_array_prefix_callback_kernelILj65ELj5ELN6hipcub18BlockScanAlgorithmE0EfEvPT2_S3_S2_
	.p2align	8
	.type	_Z43inclusive_scan_array_prefix_callback_kernelILj65ELj5ELN6hipcub18BlockScanAlgorithmE0EfEvPT2_S3_S2_,@function
_Z43inclusive_scan_array_prefix_callback_kernelILj65ELj5ELN6hipcub18BlockScanAlgorithmE0EfEvPT2_S3_S2_: ; @_Z43inclusive_scan_array_prefix_callback_kernelILj65ELj5ELN6hipcub18BlockScanAlgorithmE0EfEvPT2_S3_S2_
; %bb.0:
	s_mov_b32 s8, s15
	s_load_b128 s[4:7], s[0:1], 0x0
	v_mad_u64_u32 v[1:2], null, 0x41, s8, v[0:1]
	s_mov_b32 s2, exec_lo
	s_delay_alu instid0(VALU_DEP_1) | instskip(NEXT) | instid1(VALU_DEP_1)
	v_lshl_add_u32 v1, v1, 2, v1
	v_dual_mov_b32 v2, 0 :: v_dual_add_nc_u32 v3, 1, v1
	s_delay_alu instid0(VALU_DEP_1) | instskip(SKIP_3) | instid1(VALU_DEP_4)
	v_dual_mov_b32 v4, v2 :: v_dual_add_nc_u32 v5, 2, v1
	v_lshlrev_b64 v[9:10], 2, v[1:2]
	v_dual_mov_b32 v6, v2 :: v_dual_add_nc_u32 v7, 3, v1
	v_dual_mov_b32 v8, v2 :: v_dual_add_nc_u32 v1, 4, v1
	v_lshlrev_b64 v[3:4], 2, v[3:4]
	s_delay_alu instid0(VALU_DEP_3) | instskip(NEXT) | instid1(VALU_DEP_3)
	v_lshlrev_b64 v[5:6], 2, v[5:6]
	v_lshlrev_b64 v[7:8], 2, v[7:8]
	s_delay_alu instid0(VALU_DEP_4)
	v_lshlrev_b64 v[14:15], 2, v[1:2]
	s_waitcnt lgkmcnt(0)
	v_add_co_u32 v1, vcc_lo, s4, v9
	v_add_co_ci_u32_e32 v2, vcc_lo, s5, v10, vcc_lo
	v_add_co_u32 v3, vcc_lo, s4, v3
	v_add_co_ci_u32_e32 v4, vcc_lo, s5, v4, vcc_lo
	;; [unrolled: 2-line block ×3, first 2 shown]
	s_clause 0x1
	global_load_b32 v12, v[1:2], off
	global_load_b32 v11, v[3:4], off
	v_add_co_u32 v7, vcc_lo, s4, v7
	v_add_co_ci_u32_e32 v8, vcc_lo, s5, v8, vcc_lo
	global_load_b32 v13, v[5:6], off
	v_add_co_u32 v9, vcc_lo, s4, v14
	v_add_co_ci_u32_e32 v10, vcc_lo, s5, v15, vcc_lo
	s_clause 0x1
	global_load_b32 v14, v[7:8], off
	global_load_b32 v15, v[9:10], off
	s_waitcnt vmcnt(3)
	v_add_f32_e32 v16, v12, v11
	s_waitcnt vmcnt(2)
	s_delay_alu instid0(VALU_DEP_1) | instskip(SKIP_1) | instid1(VALU_DEP_1)
	v_add_f32_e32 v16, v13, v16
	s_waitcnt vmcnt(1)
	v_add_f32_e32 v16, v14, v16
	s_waitcnt vmcnt(0)
	s_delay_alu instid0(VALU_DEP_1) | instskip(SKIP_1) | instid1(VALU_DEP_2)
	v_add_f32_e32 v17, v15, v16
	v_mbcnt_lo_u32_b32 v16, -1, 0
	v_mov_b32_dpp v18, v17 row_shr:1 row_mask:0xf bank_mask:0xf
	s_delay_alu instid0(VALU_DEP_2) | instskip(SKIP_1) | instid1(VALU_DEP_3)
	v_and_b32_e32 v19, 15, v16
	v_and_b32_e32 v20, 16, v16
	v_add_f32_e32 v18, v17, v18
	s_delay_alu instid0(VALU_DEP_3) | instskip(NEXT) | instid1(VALU_DEP_2)
	v_cmp_eq_u32_e32 vcc_lo, 0, v19
	v_cndmask_b32_e32 v17, v18, v17, vcc_lo
	v_cmp_lt_u32_e32 vcc_lo, 1, v19
	s_delay_alu instid0(VALU_DEP_2) | instskip(NEXT) | instid1(VALU_DEP_1)
	v_mov_b32_dpp v18, v17 row_shr:2 row_mask:0xf bank_mask:0xf
	v_add_f32_e32 v18, v17, v18
	s_delay_alu instid0(VALU_DEP_1) | instskip(SKIP_1) | instid1(VALU_DEP_2)
	v_cndmask_b32_e32 v17, v17, v18, vcc_lo
	v_cmp_lt_u32_e32 vcc_lo, 3, v19
	v_mov_b32_dpp v18, v17 row_shr:4 row_mask:0xf bank_mask:0xf
	s_delay_alu instid0(VALU_DEP_1) | instskip(NEXT) | instid1(VALU_DEP_1)
	v_add_f32_e32 v18, v17, v18
	v_cndmask_b32_e32 v17, v17, v18, vcc_lo
	v_cmp_lt_u32_e32 vcc_lo, 7, v19
	v_and_b32_e32 v19, 0x60, v0
	s_delay_alu instid0(VALU_DEP_3) | instskip(NEXT) | instid1(VALU_DEP_2)
	v_mov_b32_dpp v18, v17 row_shr:8 row_mask:0xf bank_mask:0xf
	v_min_u32_e32 v19, 33, v19
	s_delay_alu instid0(VALU_DEP_1) | instskip(NEXT) | instid1(VALU_DEP_1)
	v_dual_add_f32 v18, v17, v18 :: v_dual_add_nc_u32 v19, 31, v19
	v_cndmask_b32_e32 v17, v17, v18, vcc_lo
	v_cmp_eq_u32_e32 vcc_lo, 0, v20
	ds_swizzle_b32 v18, v17 offset:swizzle(BROADCAST,32,15)
	s_waitcnt lgkmcnt(0)
	v_add_f32_e32 v21, v17, v18
	v_lshrrev_b32_e32 v18, 5, v0
	s_delay_alu instid0(VALU_DEP_2)
	v_cndmask_b32_e32 v17, v21, v17, vcc_lo
	v_cmpx_eq_u32_e64 v19, v0
	s_cbranch_execz .LBB222_2
; %bb.1:
	s_delay_alu instid0(VALU_DEP_3)
	v_lshlrev_b32_e32 v19, 2, v18
	ds_store_b32 v19, v17
.LBB222_2:
	s_or_b32 exec_lo, exec_lo, s2
	s_delay_alu instid0(SALU_CYCLE_1)
	s_mov_b32 s2, exec_lo
	s_waitcnt lgkmcnt(0)
	s_barrier
	buffer_gl0_inv
	v_cmpx_gt_u32_e32 3, v0
	s_cbranch_execz .LBB222_4
; %bb.3:
	v_lshlrev_b32_e32 v19, 2, v0
	ds_load_b32 v20, v19
	s_waitcnt lgkmcnt(0)
	v_mov_b32_dpp v21, v20 row_shr:1 row_mask:0xf bank_mask:0xf
	s_delay_alu instid0(VALU_DEP_1) | instskip(NEXT) | instid1(VALU_DEP_1)
	v_dual_add_f32 v21, v20, v21 :: v_dual_and_b32 v22, 3, v16
	v_cmp_eq_u32_e32 vcc_lo, 0, v22
	s_delay_alu instid0(VALU_DEP_2) | instskip(SKIP_1) | instid1(VALU_DEP_2)
	v_cndmask_b32_e32 v20, v21, v20, vcc_lo
	v_cmp_lt_u32_e32 vcc_lo, 1, v22
	v_mov_b32_dpp v21, v20 row_shr:2 row_mask:0xf bank_mask:0xf
	s_delay_alu instid0(VALU_DEP_1) | instskip(NEXT) | instid1(VALU_DEP_1)
	v_add_f32_e32 v21, v20, v21
	v_cndmask_b32_e32 v20, v20, v21, vcc_lo
	ds_store_b32 v19, v20
.LBB222_4:
	s_or_b32 exec_lo, exec_lo, s2
	v_cmp_gt_u32_e32 vcc_lo, 32, v0
	s_mov_b32 s3, exec_lo
	s_waitcnt lgkmcnt(0)
	s_barrier
	buffer_gl0_inv
                                        ; implicit-def: $vgpr19
	v_cmpx_lt_u32_e32 31, v0
	s_cbranch_execz .LBB222_6
; %bb.5:
	v_lshl_add_u32 v18, v18, 2, -4
	ds_load_b32 v19, v18
	s_waitcnt lgkmcnt(0)
	v_add_f32_e32 v17, v17, v19
.LBB222_6:
	s_or_b32 exec_lo, exec_lo, s3
	s_load_b32 s0, s[0:1], 0x10
	v_add_nc_u32_e32 v18, -1, v16
	s_delay_alu instid0(VALU_DEP_1) | instskip(NEXT) | instid1(VALU_DEP_1)
	v_cmp_gt_i32_e64 s2, 0, v18
	v_cndmask_b32_e64 v18, v18, v16, s2
	s_delay_alu instid0(VALU_DEP_1)
	v_lshlrev_b32_e32 v18, 2, v18
	ds_bpermute_b32 v18, v18, v17
	s_waitcnt lgkmcnt(0)
	v_mov_b32_e32 v17, s0
	s_and_saveexec_b32 s1, vcc_lo
	s_cbranch_execz .LBB222_10
; %bb.7:
	v_mov_b32_e32 v20, 0
	s_mov_b32 s2, exec_lo
	ds_load_b32 v17, v20 offset:8
	v_cmpx_eq_u32_e32 0, v0
	s_cbranch_execz .LBB222_9
; %bb.8:
	v_mov_b32_e32 v21, s0
	ds_store_b32 v20, v21 offset:8
.LBB222_9:
	s_or_b32 exec_lo, exec_lo, s2
	s_waitcnt lgkmcnt(0)
	v_add_f32_e32 v17, s0, v17
.LBB222_10:
	s_or_b32 exec_lo, exec_lo, s1
	v_mov_b32_e32 v20, 0
	s_barrier
	buffer_gl0_inv
	v_cmp_eq_u32_e32 vcc_lo, 0, v16
	ds_load_b32 v21, v20 offset:8
	v_cndmask_b32_e32 v16, v18, v19, vcc_lo
	v_cmp_eq_u32_e32 vcc_lo, 0, v0
	s_delay_alu instid0(VALU_DEP_2) | instskip(NEXT) | instid1(VALU_DEP_1)
	v_add_f32_e32 v16, v12, v16
	v_cndmask_b32_e32 v0, v16, v12, vcc_lo
	s_waitcnt lgkmcnt(0)
	s_delay_alu instid0(VALU_DEP_1) | instskip(NEXT) | instid1(VALU_DEP_1)
	v_add_f32_e32 v0, v0, v21
	v_add_f32_e32 v11, v11, v0
	s_delay_alu instid0(VALU_DEP_1) | instskip(NEXT) | instid1(VALU_DEP_1)
	v_add_f32_e32 v12, v13, v11
	v_add_f32_e32 v13, v14, v12
	s_delay_alu instid0(VALU_DEP_1)
	v_add_f32_e32 v14, v15, v13
	s_clause 0x4
	global_store_b32 v[1:2], v0, off
	global_store_b32 v[3:4], v11, off
	;; [unrolled: 1-line block ×5, first 2 shown]
	s_and_saveexec_b32 s0, vcc_lo
	s_cbranch_execz .LBB222_12
; %bb.11:
	s_mov_b32 s9, 0
	s_delay_alu instid0(SALU_CYCLE_1) | instskip(NEXT) | instid1(SALU_CYCLE_1)
	s_lshl_b64 s[0:1], s[8:9], 2
	s_add_u32 s0, s6, s0
	s_addc_u32 s1, s7, s1
	global_store_b32 v20, v17, s[0:1]
.LBB222_12:
	s_nop 0
	s_sendmsg sendmsg(MSG_DEALLOC_VGPRS)
	s_endpgm
	.section	.rodata,"a",@progbits
	.p2align	6, 0x0
	.amdhsa_kernel _Z43inclusive_scan_array_prefix_callback_kernelILj65ELj5ELN6hipcub18BlockScanAlgorithmE0EfEvPT2_S3_S2_
		.amdhsa_group_segment_fixed_size 12
		.amdhsa_private_segment_fixed_size 0
		.amdhsa_kernarg_size 20
		.amdhsa_user_sgpr_count 15
		.amdhsa_user_sgpr_dispatch_ptr 0
		.amdhsa_user_sgpr_queue_ptr 0
		.amdhsa_user_sgpr_kernarg_segment_ptr 1
		.amdhsa_user_sgpr_dispatch_id 0
		.amdhsa_user_sgpr_private_segment_size 0
		.amdhsa_wavefront_size32 1
		.amdhsa_uses_dynamic_stack 0
		.amdhsa_enable_private_segment 0
		.amdhsa_system_sgpr_workgroup_id_x 1
		.amdhsa_system_sgpr_workgroup_id_y 0
		.amdhsa_system_sgpr_workgroup_id_z 0
		.amdhsa_system_sgpr_workgroup_info 0
		.amdhsa_system_vgpr_workitem_id 0
		.amdhsa_next_free_vgpr 23
		.amdhsa_next_free_sgpr 16
		.amdhsa_reserve_vcc 1
		.amdhsa_float_round_mode_32 0
		.amdhsa_float_round_mode_16_64 0
		.amdhsa_float_denorm_mode_32 3
		.amdhsa_float_denorm_mode_16_64 3
		.amdhsa_dx10_clamp 1
		.amdhsa_ieee_mode 1
		.amdhsa_fp16_overflow 0
		.amdhsa_workgroup_processor_mode 1
		.amdhsa_memory_ordered 1
		.amdhsa_forward_progress 0
		.amdhsa_shared_vgpr_count 0
		.amdhsa_exception_fp_ieee_invalid_op 0
		.amdhsa_exception_fp_denorm_src 0
		.amdhsa_exception_fp_ieee_div_zero 0
		.amdhsa_exception_fp_ieee_overflow 0
		.amdhsa_exception_fp_ieee_underflow 0
		.amdhsa_exception_fp_ieee_inexact 0
		.amdhsa_exception_int_div_zero 0
	.end_amdhsa_kernel
	.section	.text._Z43inclusive_scan_array_prefix_callback_kernelILj65ELj5ELN6hipcub18BlockScanAlgorithmE0EfEvPT2_S3_S2_,"axG",@progbits,_Z43inclusive_scan_array_prefix_callback_kernelILj65ELj5ELN6hipcub18BlockScanAlgorithmE0EfEvPT2_S3_S2_,comdat
.Lfunc_end222:
	.size	_Z43inclusive_scan_array_prefix_callback_kernelILj65ELj5ELN6hipcub18BlockScanAlgorithmE0EfEvPT2_S3_S2_, .Lfunc_end222-_Z43inclusive_scan_array_prefix_callback_kernelILj65ELj5ELN6hipcub18BlockScanAlgorithmE0EfEvPT2_S3_S2_
                                        ; -- End function
	.section	.AMDGPU.csdata,"",@progbits
; Kernel info:
; codeLenInByte = 948
; NumSgprs: 18
; NumVgprs: 23
; ScratchSize: 0
; MemoryBound: 0
; FloatMode: 240
; IeeeMode: 1
; LDSByteSize: 12 bytes/workgroup (compile time only)
; SGPRBlocks: 2
; VGPRBlocks: 2
; NumSGPRsForWavesPerEU: 18
; NumVGPRsForWavesPerEU: 23
; Occupancy: 16
; WaveLimiterHint : 0
; COMPUTE_PGM_RSRC2:SCRATCH_EN: 0
; COMPUTE_PGM_RSRC2:USER_SGPR: 15
; COMPUTE_PGM_RSRC2:TRAP_HANDLER: 0
; COMPUTE_PGM_RSRC2:TGID_X_EN: 1
; COMPUTE_PGM_RSRC2:TGID_Y_EN: 0
; COMPUTE_PGM_RSRC2:TGID_Z_EN: 0
; COMPUTE_PGM_RSRC2:TIDIG_COMP_CNT: 0
	.section	.text._Z43inclusive_scan_array_prefix_callback_kernelILj37ELj2ELN6hipcub18BlockScanAlgorithmE0EfEvPT2_S3_S2_,"axG",@progbits,_Z43inclusive_scan_array_prefix_callback_kernelILj37ELj2ELN6hipcub18BlockScanAlgorithmE0EfEvPT2_S3_S2_,comdat
	.protected	_Z43inclusive_scan_array_prefix_callback_kernelILj37ELj2ELN6hipcub18BlockScanAlgorithmE0EfEvPT2_S3_S2_ ; -- Begin function _Z43inclusive_scan_array_prefix_callback_kernelILj37ELj2ELN6hipcub18BlockScanAlgorithmE0EfEvPT2_S3_S2_
	.globl	_Z43inclusive_scan_array_prefix_callback_kernelILj37ELj2ELN6hipcub18BlockScanAlgorithmE0EfEvPT2_S3_S2_
	.p2align	8
	.type	_Z43inclusive_scan_array_prefix_callback_kernelILj37ELj2ELN6hipcub18BlockScanAlgorithmE0EfEvPT2_S3_S2_,@function
_Z43inclusive_scan_array_prefix_callback_kernelILj37ELj2ELN6hipcub18BlockScanAlgorithmE0EfEvPT2_S3_S2_: ; @_Z43inclusive_scan_array_prefix_callback_kernelILj37ELj2ELN6hipcub18BlockScanAlgorithmE0EfEvPT2_S3_S2_
; %bb.0:
	s_load_b128 s[4:7], s[0:1], 0x0
	s_mul_i32 s2, s15, 37
	v_mov_b32_e32 v2, 0
	v_add_lshl_u32 v1, s2, v0, 1
	v_mbcnt_lo_u32_b32 v5, -1, 0
	s_mov_b32 s8, s15
	s_mov_b32 s2, exec_lo
	s_delay_alu instid0(VALU_DEP_2) | instskip(NEXT) | instid1(VALU_DEP_2)
	v_lshlrev_b64 v[1:2], 2, v[1:2]
	v_and_b32_e32 v8, 15, v5
	v_and_b32_e32 v9, 16, v5
	s_waitcnt lgkmcnt(0)
	s_delay_alu instid0(VALU_DEP_3) | instskip(NEXT) | instid1(VALU_DEP_4)
	v_add_co_u32 v1, vcc_lo, s4, v1
	v_add_co_ci_u32_e32 v2, vcc_lo, s5, v2, vcc_lo
	v_cmp_eq_u32_e32 vcc_lo, 0, v8
	global_load_b64 v[3:4], v[1:2], off
	s_waitcnt vmcnt(0)
	v_add_f32_e32 v6, v3, v4
	s_delay_alu instid0(VALU_DEP_1) | instskip(NEXT) | instid1(VALU_DEP_1)
	v_mov_b32_dpp v7, v6 row_shr:1 row_mask:0xf bank_mask:0xf
	v_add_f32_e32 v7, v6, v7
	s_delay_alu instid0(VALU_DEP_1) | instskip(NEXT) | instid1(VALU_DEP_1)
	v_cndmask_b32_e32 v6, v7, v6, vcc_lo
	v_mov_b32_dpp v7, v6 row_shr:2 row_mask:0xf bank_mask:0xf
	s_delay_alu instid0(VALU_DEP_1) | instskip(SKIP_1) | instid1(VALU_DEP_2)
	v_add_f32_e32 v7, v6, v7
	v_cmp_lt_u32_e32 vcc_lo, 1, v8
	v_cndmask_b32_e32 v6, v6, v7, vcc_lo
	v_cmp_lt_u32_e32 vcc_lo, 3, v8
	s_delay_alu instid0(VALU_DEP_2) | instskip(NEXT) | instid1(VALU_DEP_1)
	v_mov_b32_dpp v7, v6 row_shr:4 row_mask:0xf bank_mask:0xf
	v_add_f32_e32 v7, v6, v7
	s_delay_alu instid0(VALU_DEP_1) | instskip(SKIP_2) | instid1(VALU_DEP_3)
	v_cndmask_b32_e32 v6, v6, v7, vcc_lo
	v_cmp_lt_u32_e32 vcc_lo, 7, v8
	v_and_b32_e32 v8, 32, v0
	v_mov_b32_dpp v7, v6 row_shr:8 row_mask:0xf bank_mask:0xf
	s_delay_alu instid0(VALU_DEP_2) | instskip(NEXT) | instid1(VALU_DEP_1)
	v_min_u32_e32 v8, 5, v8
	v_dual_add_f32 v7, v6, v7 :: v_dual_add_nc_u32 v10, 31, v8
	v_lshrrev_b32_e32 v8, 5, v0
	s_delay_alu instid0(VALU_DEP_2) | instskip(SKIP_4) | instid1(VALU_DEP_1)
	v_cndmask_b32_e32 v6, v6, v7, vcc_lo
	v_cmp_eq_u32_e32 vcc_lo, 0, v9
	ds_swizzle_b32 v7, v6 offset:swizzle(BROADCAST,32,15)
	s_waitcnt lgkmcnt(0)
	v_add_f32_e32 v7, v6, v7
	v_cndmask_b32_e32 v6, v7, v6, vcc_lo
	v_cmpx_eq_u32_e64 v10, v0
	s_cbranch_execz .LBB223_2
; %bb.1:
	v_lshlrev_b32_e32 v7, 2, v8
	ds_store_b32 v7, v6
.LBB223_2:
	s_or_b32 exec_lo, exec_lo, s2
	s_delay_alu instid0(SALU_CYCLE_1)
	s_mov_b32 s2, exec_lo
	s_waitcnt lgkmcnt(0)
	s_barrier
	buffer_gl0_inv
	v_cmpx_gt_u32_e32 2, v0
	s_cbranch_execz .LBB223_4
; %bb.3:
	v_lshlrev_b32_e32 v7, 2, v0
	v_and_b32_e32 v11, 1, v5
	ds_load_b32 v9, v7
	v_cmp_eq_u32_e32 vcc_lo, 0, v11
	s_waitcnt lgkmcnt(0)
	v_mov_b32_dpp v10, v9 row_shr:1 row_mask:0xf bank_mask:0xf
	s_delay_alu instid0(VALU_DEP_1) | instskip(NEXT) | instid1(VALU_DEP_1)
	v_add_f32_e32 v10, v9, v10
	v_cndmask_b32_e32 v9, v10, v9, vcc_lo
	ds_store_b32 v7, v9
.LBB223_4:
	s_or_b32 exec_lo, exec_lo, s2
	v_cmp_gt_u32_e32 vcc_lo, 32, v0
	s_mov_b32 s3, exec_lo
	s_waitcnt lgkmcnt(0)
	s_barrier
	buffer_gl0_inv
                                        ; implicit-def: $vgpr7
	v_cmpx_lt_u32_e32 31, v0
	s_cbranch_execz .LBB223_6
; %bb.5:
	v_lshl_add_u32 v7, v8, 2, -4
	ds_load_b32 v7, v7
	s_waitcnt lgkmcnt(0)
	v_add_f32_e32 v6, v6, v7
.LBB223_6:
	s_or_b32 exec_lo, exec_lo, s3
	v_add_nc_u32_e32 v8, -1, v5
	s_load_b32 s0, s[0:1], 0x10
	s_delay_alu instid0(VALU_DEP_1) | instskip(NEXT) | instid1(VALU_DEP_1)
	v_cmp_gt_i32_e64 s2, 0, v8
	v_cndmask_b32_e64 v8, v8, v5, s2
	s_delay_alu instid0(VALU_DEP_1)
	v_lshlrev_b32_e32 v8, 2, v8
	ds_bpermute_b32 v8, v8, v6
	s_waitcnt lgkmcnt(0)
	v_mov_b32_e32 v6, s0
	s_and_saveexec_b32 s1, vcc_lo
	s_cbranch_execz .LBB223_10
; %bb.7:
	v_mov_b32_e32 v9, 0
	s_mov_b32 s2, exec_lo
	ds_load_b32 v6, v9 offset:4
	v_cmpx_eq_u32_e32 0, v0
	s_cbranch_execz .LBB223_9
; %bb.8:
	v_mov_b32_e32 v10, s0
	ds_store_b32 v9, v10 offset:4
.LBB223_9:
	s_or_b32 exec_lo, exec_lo, s2
	s_waitcnt lgkmcnt(0)
	v_add_f32_e32 v6, s0, v6
.LBB223_10:
	s_or_b32 exec_lo, exec_lo, s1
	v_cmp_eq_u32_e32 vcc_lo, 0, v5
	s_barrier
	buffer_gl0_inv
	v_cndmask_b32_e32 v5, v8, v7, vcc_lo
	v_cmp_eq_u32_e32 vcc_lo, 0, v0
	s_delay_alu instid0(VALU_DEP_2) | instskip(NEXT) | instid1(VALU_DEP_1)
	v_add_f32_e32 v5, v3, v5
	v_dual_mov_b32 v9, 0 :: v_dual_cndmask_b32 v0, v5, v3
	ds_load_b32 v10, v9 offset:4
	s_waitcnt lgkmcnt(0)
	v_add_f32_e32 v3, v0, v10
	s_delay_alu instid0(VALU_DEP_1)
	v_add_f32_e32 v4, v4, v3
	global_store_b64 v[1:2], v[3:4], off
	s_and_saveexec_b32 s0, vcc_lo
	s_cbranch_execz .LBB223_12
; %bb.11:
	s_mov_b32 s9, 0
	s_delay_alu instid0(SALU_CYCLE_1) | instskip(NEXT) | instid1(SALU_CYCLE_1)
	s_lshl_b64 s[0:1], s[8:9], 2
	s_add_u32 s0, s6, s0
	s_addc_u32 s1, s7, s1
	global_store_b32 v9, v6, s[0:1]
.LBB223_12:
	s_nop 0
	s_sendmsg sendmsg(MSG_DEALLOC_VGPRS)
	s_endpgm
	.section	.rodata,"a",@progbits
	.p2align	6, 0x0
	.amdhsa_kernel _Z43inclusive_scan_array_prefix_callback_kernelILj37ELj2ELN6hipcub18BlockScanAlgorithmE0EfEvPT2_S3_S2_
		.amdhsa_group_segment_fixed_size 8
		.amdhsa_private_segment_fixed_size 0
		.amdhsa_kernarg_size 20
		.amdhsa_user_sgpr_count 15
		.amdhsa_user_sgpr_dispatch_ptr 0
		.amdhsa_user_sgpr_queue_ptr 0
		.amdhsa_user_sgpr_kernarg_segment_ptr 1
		.amdhsa_user_sgpr_dispatch_id 0
		.amdhsa_user_sgpr_private_segment_size 0
		.amdhsa_wavefront_size32 1
		.amdhsa_uses_dynamic_stack 0
		.amdhsa_enable_private_segment 0
		.amdhsa_system_sgpr_workgroup_id_x 1
		.amdhsa_system_sgpr_workgroup_id_y 0
		.amdhsa_system_sgpr_workgroup_id_z 0
		.amdhsa_system_sgpr_workgroup_info 0
		.amdhsa_system_vgpr_workitem_id 0
		.amdhsa_next_free_vgpr 12
		.amdhsa_next_free_sgpr 16
		.amdhsa_reserve_vcc 1
		.amdhsa_float_round_mode_32 0
		.amdhsa_float_round_mode_16_64 0
		.amdhsa_float_denorm_mode_32 3
		.amdhsa_float_denorm_mode_16_64 3
		.amdhsa_dx10_clamp 1
		.amdhsa_ieee_mode 1
		.amdhsa_fp16_overflow 0
		.amdhsa_workgroup_processor_mode 1
		.amdhsa_memory_ordered 1
		.amdhsa_forward_progress 0
		.amdhsa_shared_vgpr_count 0
		.amdhsa_exception_fp_ieee_invalid_op 0
		.amdhsa_exception_fp_denorm_src 0
		.amdhsa_exception_fp_ieee_div_zero 0
		.amdhsa_exception_fp_ieee_overflow 0
		.amdhsa_exception_fp_ieee_underflow 0
		.amdhsa_exception_fp_ieee_inexact 0
		.amdhsa_exception_int_div_zero 0
	.end_amdhsa_kernel
	.section	.text._Z43inclusive_scan_array_prefix_callback_kernelILj37ELj2ELN6hipcub18BlockScanAlgorithmE0EfEvPT2_S3_S2_,"axG",@progbits,_Z43inclusive_scan_array_prefix_callback_kernelILj37ELj2ELN6hipcub18BlockScanAlgorithmE0EfEvPT2_S3_S2_,comdat
.Lfunc_end223:
	.size	_Z43inclusive_scan_array_prefix_callback_kernelILj37ELj2ELN6hipcub18BlockScanAlgorithmE0EfEvPT2_S3_S2_, .Lfunc_end223-_Z43inclusive_scan_array_prefix_callback_kernelILj37ELj2ELN6hipcub18BlockScanAlgorithmE0EfEvPT2_S3_S2_
                                        ; -- End function
	.section	.AMDGPU.csdata,"",@progbits
; Kernel info:
; codeLenInByte = 656
; NumSgprs: 18
; NumVgprs: 12
; ScratchSize: 0
; MemoryBound: 0
; FloatMode: 240
; IeeeMode: 1
; LDSByteSize: 8 bytes/workgroup (compile time only)
; SGPRBlocks: 2
; VGPRBlocks: 1
; NumSGPRsForWavesPerEU: 18
; NumVGPRsForWavesPerEU: 12
; Occupancy: 16
; WaveLimiterHint : 0
; COMPUTE_PGM_RSRC2:SCRATCH_EN: 0
; COMPUTE_PGM_RSRC2:USER_SGPR: 15
; COMPUTE_PGM_RSRC2:TRAP_HANDLER: 0
; COMPUTE_PGM_RSRC2:TGID_X_EN: 1
; COMPUTE_PGM_RSRC2:TGID_Y_EN: 0
; COMPUTE_PGM_RSRC2:TGID_Z_EN: 0
; COMPUTE_PGM_RSRC2:TIDIG_COMP_CNT: 0
	.section	.text._Z43inclusive_scan_array_prefix_callback_kernelILj512ELj4ELN6hipcub18BlockScanAlgorithmE0EiEvPT2_S3_S2_,"axG",@progbits,_Z43inclusive_scan_array_prefix_callback_kernelILj512ELj4ELN6hipcub18BlockScanAlgorithmE0EiEvPT2_S3_S2_,comdat
	.protected	_Z43inclusive_scan_array_prefix_callback_kernelILj512ELj4ELN6hipcub18BlockScanAlgorithmE0EiEvPT2_S3_S2_ ; -- Begin function _Z43inclusive_scan_array_prefix_callback_kernelILj512ELj4ELN6hipcub18BlockScanAlgorithmE0EiEvPT2_S3_S2_
	.globl	_Z43inclusive_scan_array_prefix_callback_kernelILj512ELj4ELN6hipcub18BlockScanAlgorithmE0EiEvPT2_S3_S2_
	.p2align	8
	.type	_Z43inclusive_scan_array_prefix_callback_kernelILj512ELj4ELN6hipcub18BlockScanAlgorithmE0EiEvPT2_S3_S2_,@function
_Z43inclusive_scan_array_prefix_callback_kernelILj512ELj4ELN6hipcub18BlockScanAlgorithmE0EiEvPT2_S3_S2_: ; @_Z43inclusive_scan_array_prefix_callback_kernelILj512ELj4ELN6hipcub18BlockScanAlgorithmE0EiEvPT2_S3_S2_
; %bb.0:
	s_load_b128 s[4:7], s[0:1], 0x0
	v_lshlrev_b32_e32 v8, 2, v0
	s_mov_b32 s8, s15
	v_mov_b32_e32 v2, 0
	v_mbcnt_lo_u32_b32 v7, -1, 0
	v_or_b32_e32 v12, 31, v0
	v_lshl_or_b32 v1, s8, 11, v8
	s_mov_b32 s9, exec_lo
	s_delay_alu instid0(VALU_DEP_3) | instskip(NEXT) | instid1(VALU_DEP_2)
	v_and_b32_e32 v10, 15, v7
	v_lshlrev_b64 v[1:2], 2, v[1:2]
	s_delay_alu instid0(VALU_DEP_2) | instskip(SKIP_2) | instid1(VALU_DEP_3)
	v_cmp_lt_u32_e64 s2, 1, v10
	v_cmp_lt_u32_e64 s3, 3, v10
	s_waitcnt lgkmcnt(0)
	v_add_co_u32 v5, vcc_lo, s4, v1
	s_delay_alu instid0(VALU_DEP_4)
	v_add_co_ci_u32_e32 v6, vcc_lo, s5, v2, vcc_lo
	v_cmp_eq_u32_e32 vcc_lo, 0, v10
	v_cmp_lt_u32_e64 s4, 7, v10
	global_load_b128 v[1:4], v[5:6], off
	s_waitcnt vmcnt(0)
	v_add_nc_u32_e32 v9, v2, v1
	s_delay_alu instid0(VALU_DEP_1) | instskip(NEXT) | instid1(VALU_DEP_1)
	v_add3_u32 v9, v9, v3, v4
	v_mov_b32_dpp v11, v9 row_shr:1 row_mask:0xf bank_mask:0xf
	s_delay_alu instid0(VALU_DEP_1) | instskip(NEXT) | instid1(VALU_DEP_1)
	v_cndmask_b32_e64 v11, v11, 0, vcc_lo
	v_add_nc_u32_e32 v9, v11, v9
	s_delay_alu instid0(VALU_DEP_1) | instskip(NEXT) | instid1(VALU_DEP_1)
	v_mov_b32_dpp v11, v9 row_shr:2 row_mask:0xf bank_mask:0xf
	v_cndmask_b32_e64 v11, 0, v11, s2
	s_delay_alu instid0(VALU_DEP_1) | instskip(NEXT) | instid1(VALU_DEP_1)
	v_add_nc_u32_e32 v9, v9, v11
	v_mov_b32_dpp v11, v9 row_shr:4 row_mask:0xf bank_mask:0xf
	s_delay_alu instid0(VALU_DEP_1) | instskip(NEXT) | instid1(VALU_DEP_1)
	v_cndmask_b32_e64 v11, 0, v11, s3
	v_add_nc_u32_e32 v9, v9, v11
	s_delay_alu instid0(VALU_DEP_1) | instskip(NEXT) | instid1(VALU_DEP_1)
	v_mov_b32_dpp v11, v9 row_shr:8 row_mask:0xf bank_mask:0xf
	v_cndmask_b32_e64 v10, 0, v11, s4
	v_bfe_i32 v11, v7, 4, 1
	s_delay_alu instid0(VALU_DEP_2) | instskip(SKIP_4) | instid1(VALU_DEP_2)
	v_add_nc_u32_e32 v9, v9, v10
	ds_swizzle_b32 v10, v9 offset:swizzle(BROADCAST,32,15)
	s_waitcnt lgkmcnt(0)
	v_and_b32_e32 v11, v11, v10
	v_lshrrev_b32_e32 v10, 5, v0
	v_add_nc_u32_e32 v9, v9, v11
	v_cmpx_eq_u32_e64 v12, v0
	s_cbranch_execz .LBB224_2
; %bb.1:
	s_delay_alu instid0(VALU_DEP_3)
	v_lshlrev_b32_e32 v11, 2, v10
	ds_store_b32 v11, v9
.LBB224_2:
	s_or_b32 exec_lo, exec_lo, s9
	s_delay_alu instid0(SALU_CYCLE_1)
	s_mov_b32 s9, exec_lo
	s_waitcnt lgkmcnt(0)
	s_barrier
	buffer_gl0_inv
	v_cmpx_gt_u32_e32 16, v0
	s_cbranch_execz .LBB224_4
; %bb.3:
	ds_load_b32 v11, v8
	s_waitcnt lgkmcnt(0)
	v_mov_b32_dpp v12, v11 row_shr:1 row_mask:0xf bank_mask:0xf
	s_delay_alu instid0(VALU_DEP_1) | instskip(NEXT) | instid1(VALU_DEP_1)
	v_cndmask_b32_e64 v12, v12, 0, vcc_lo
	v_add_nc_u32_e32 v11, v12, v11
	s_delay_alu instid0(VALU_DEP_1) | instskip(NEXT) | instid1(VALU_DEP_1)
	v_mov_b32_dpp v12, v11 row_shr:2 row_mask:0xf bank_mask:0xf
	v_cndmask_b32_e64 v12, 0, v12, s2
	s_delay_alu instid0(VALU_DEP_1) | instskip(NEXT) | instid1(VALU_DEP_1)
	v_add_nc_u32_e32 v11, v11, v12
	v_mov_b32_dpp v12, v11 row_shr:4 row_mask:0xf bank_mask:0xf
	s_delay_alu instid0(VALU_DEP_1) | instskip(NEXT) | instid1(VALU_DEP_1)
	v_cndmask_b32_e64 v12, 0, v12, s3
	v_add_nc_u32_e32 v11, v11, v12
	s_delay_alu instid0(VALU_DEP_1) | instskip(NEXT) | instid1(VALU_DEP_1)
	v_mov_b32_dpp v12, v11 row_shr:8 row_mask:0xf bank_mask:0xf
	v_cndmask_b32_e64 v12, 0, v12, s4
	s_delay_alu instid0(VALU_DEP_1)
	v_add_nc_u32_e32 v11, v11, v12
	ds_store_b32 v8, v11
.LBB224_4:
	s_or_b32 exec_lo, exec_lo, s9
	v_cmp_gt_u32_e32 vcc_lo, 32, v0
	s_mov_b32 s3, exec_lo
	s_waitcnt lgkmcnt(0)
	s_barrier
	buffer_gl0_inv
                                        ; implicit-def: $vgpr8
	v_cmpx_lt_u32_e32 31, v0
	s_cbranch_execz .LBB224_6
; %bb.5:
	v_lshl_add_u32 v8, v10, 2, -4
	ds_load_b32 v8, v8
	s_waitcnt lgkmcnt(0)
	v_add_nc_u32_e32 v9, v8, v9
.LBB224_6:
	s_or_b32 exec_lo, exec_lo, s3
	s_load_b32 s0, s[0:1], 0x10
	v_add_nc_u32_e32 v10, -1, v7
	s_delay_alu instid0(VALU_DEP_1) | instskip(NEXT) | instid1(VALU_DEP_1)
	v_cmp_gt_i32_e64 s2, 0, v10
	v_cndmask_b32_e64 v10, v10, v7, s2
	s_delay_alu instid0(VALU_DEP_1)
	v_lshlrev_b32_e32 v10, 2, v10
	ds_bpermute_b32 v10, v10, v9
	s_waitcnt lgkmcnt(0)
	v_mov_b32_e32 v9, s0
	s_and_saveexec_b32 s1, vcc_lo
	s_cbranch_execz .LBB224_10
; %bb.7:
	v_mov_b32_e32 v11, 0
	s_mov_b32 s2, exec_lo
	ds_load_b32 v9, v11 offset:60
	v_cmpx_eq_u32_e32 0, v0
	s_cbranch_execz .LBB224_9
; %bb.8:
	v_mov_b32_e32 v12, s0
	ds_store_b32 v11, v12 offset:60
.LBB224_9:
	s_or_b32 exec_lo, exec_lo, s2
	s_waitcnt lgkmcnt(0)
	v_add_nc_u32_e32 v9, s0, v9
.LBB224_10:
	s_or_b32 exec_lo, exec_lo, s1
	v_mov_b32_e32 v11, 0
	s_barrier
	buffer_gl0_inv
	v_cmp_eq_u32_e32 vcc_lo, 0, v7
	ds_load_b32 v12, v11 offset:60
	v_cndmask_b32_e32 v7, v10, v8, vcc_lo
	v_cmp_eq_u32_e32 vcc_lo, 0, v0
	s_delay_alu instid0(VALU_DEP_2) | instskip(SKIP_1) | instid1(VALU_DEP_1)
	v_cndmask_b32_e64 v0, v7, 0, vcc_lo
	s_waitcnt lgkmcnt(0)
	v_add3_u32 v0, v0, v1, v12
	s_delay_alu instid0(VALU_DEP_1) | instskip(NEXT) | instid1(VALU_DEP_1)
	v_add_nc_u32_e32 v1, v0, v2
	v_add_nc_u32_e32 v2, v1, v3
	s_delay_alu instid0(VALU_DEP_1)
	v_add_nc_u32_e32 v3, v2, v4
	global_store_b128 v[5:6], v[0:3], off
	s_and_saveexec_b32 s0, vcc_lo
	s_cbranch_execz .LBB224_12
; %bb.11:
	s_mov_b32 s9, 0
	s_delay_alu instid0(SALU_CYCLE_1) | instskip(NEXT) | instid1(SALU_CYCLE_1)
	s_lshl_b64 s[0:1], s[8:9], 2
	s_add_u32 s0, s6, s0
	s_addc_u32 s1, s7, s1
	global_store_b32 v11, v9, s[0:1]
.LBB224_12:
	s_nop 0
	s_sendmsg sendmsg(MSG_DEALLOC_VGPRS)
	s_endpgm
	.section	.rodata,"a",@progbits
	.p2align	6, 0x0
	.amdhsa_kernel _Z43inclusive_scan_array_prefix_callback_kernelILj512ELj4ELN6hipcub18BlockScanAlgorithmE0EiEvPT2_S3_S2_
		.amdhsa_group_segment_fixed_size 64
		.amdhsa_private_segment_fixed_size 0
		.amdhsa_kernarg_size 20
		.amdhsa_user_sgpr_count 15
		.amdhsa_user_sgpr_dispatch_ptr 0
		.amdhsa_user_sgpr_queue_ptr 0
		.amdhsa_user_sgpr_kernarg_segment_ptr 1
		.amdhsa_user_sgpr_dispatch_id 0
		.amdhsa_user_sgpr_private_segment_size 0
		.amdhsa_wavefront_size32 1
		.amdhsa_uses_dynamic_stack 0
		.amdhsa_enable_private_segment 0
		.amdhsa_system_sgpr_workgroup_id_x 1
		.amdhsa_system_sgpr_workgroup_id_y 0
		.amdhsa_system_sgpr_workgroup_id_z 0
		.amdhsa_system_sgpr_workgroup_info 0
		.amdhsa_system_vgpr_workitem_id 0
		.amdhsa_next_free_vgpr 13
		.amdhsa_next_free_sgpr 16
		.amdhsa_reserve_vcc 1
		.amdhsa_float_round_mode_32 0
		.amdhsa_float_round_mode_16_64 0
		.amdhsa_float_denorm_mode_32 3
		.amdhsa_float_denorm_mode_16_64 3
		.amdhsa_dx10_clamp 1
		.amdhsa_ieee_mode 1
		.amdhsa_fp16_overflow 0
		.amdhsa_workgroup_processor_mode 1
		.amdhsa_memory_ordered 1
		.amdhsa_forward_progress 0
		.amdhsa_shared_vgpr_count 0
		.amdhsa_exception_fp_ieee_invalid_op 0
		.amdhsa_exception_fp_denorm_src 0
		.amdhsa_exception_fp_ieee_div_zero 0
		.amdhsa_exception_fp_ieee_overflow 0
		.amdhsa_exception_fp_ieee_underflow 0
		.amdhsa_exception_fp_ieee_inexact 0
		.amdhsa_exception_int_div_zero 0
	.end_amdhsa_kernel
	.section	.text._Z43inclusive_scan_array_prefix_callback_kernelILj512ELj4ELN6hipcub18BlockScanAlgorithmE0EiEvPT2_S3_S2_,"axG",@progbits,_Z43inclusive_scan_array_prefix_callback_kernelILj512ELj4ELN6hipcub18BlockScanAlgorithmE0EiEvPT2_S3_S2_,comdat
.Lfunc_end224:
	.size	_Z43inclusive_scan_array_prefix_callback_kernelILj512ELj4ELN6hipcub18BlockScanAlgorithmE0EiEvPT2_S3_S2_, .Lfunc_end224-_Z43inclusive_scan_array_prefix_callback_kernelILj512ELj4ELN6hipcub18BlockScanAlgorithmE0EiEvPT2_S3_S2_
                                        ; -- End function
	.section	.AMDGPU.csdata,"",@progbits
; Kernel info:
; codeLenInByte = 780
; NumSgprs: 18
; NumVgprs: 13
; ScratchSize: 0
; MemoryBound: 0
; FloatMode: 240
; IeeeMode: 1
; LDSByteSize: 64 bytes/workgroup (compile time only)
; SGPRBlocks: 2
; VGPRBlocks: 1
; NumSGPRsForWavesPerEU: 18
; NumVGPRsForWavesPerEU: 13
; Occupancy: 16
; WaveLimiterHint : 0
; COMPUTE_PGM_RSRC2:SCRATCH_EN: 0
; COMPUTE_PGM_RSRC2:USER_SGPR: 15
; COMPUTE_PGM_RSRC2:TRAP_HANDLER: 0
; COMPUTE_PGM_RSRC2:TGID_X_EN: 1
; COMPUTE_PGM_RSRC2:TGID_Y_EN: 0
; COMPUTE_PGM_RSRC2:TGID_Z_EN: 0
; COMPUTE_PGM_RSRC2:TIDIG_COMP_CNT: 0
	.section	.text._Z43inclusive_scan_array_prefix_callback_kernelILj256ELj3ELN6hipcub18BlockScanAlgorithmE0EjEvPT2_S3_S2_,"axG",@progbits,_Z43inclusive_scan_array_prefix_callback_kernelILj256ELj3ELN6hipcub18BlockScanAlgorithmE0EjEvPT2_S3_S2_,comdat
	.protected	_Z43inclusive_scan_array_prefix_callback_kernelILj256ELj3ELN6hipcub18BlockScanAlgorithmE0EjEvPT2_S3_S2_ ; -- Begin function _Z43inclusive_scan_array_prefix_callback_kernelILj256ELj3ELN6hipcub18BlockScanAlgorithmE0EjEvPT2_S3_S2_
	.globl	_Z43inclusive_scan_array_prefix_callback_kernelILj256ELj3ELN6hipcub18BlockScanAlgorithmE0EjEvPT2_S3_S2_
	.p2align	8
	.type	_Z43inclusive_scan_array_prefix_callback_kernelILj256ELj3ELN6hipcub18BlockScanAlgorithmE0EjEvPT2_S3_S2_,@function
_Z43inclusive_scan_array_prefix_callback_kernelILj256ELj3ELN6hipcub18BlockScanAlgorithmE0EjEvPT2_S3_S2_: ; @_Z43inclusive_scan_array_prefix_callback_kernelILj256ELj3ELN6hipcub18BlockScanAlgorithmE0EjEvPT2_S3_S2_
; %bb.0:
	s_mov_b32 s8, s15
	s_load_b128 s[4:7], s[0:1], 0x0
	v_lshl_or_b32 v1, s8, 8, v0
	v_mbcnt_lo_u32_b32 v10, -1, 0
	v_or_b32_e32 v14, 31, v0
	s_mov_b32 s2, exec_lo
	s_delay_alu instid0(VALU_DEP_3) | instskip(NEXT) | instid1(VALU_DEP_1)
	v_lshl_add_u32 v1, v1, 1, v1
	v_dual_mov_b32 v2, 0 :: v_dual_add_nc_u32 v3, 1, v1
	s_delay_alu instid0(VALU_DEP_1) | instskip(SKIP_2) | instid1(VALU_DEP_3)
	v_mov_b32_e32 v4, v2
	v_lshlrev_b64 v[5:6], 2, v[1:2]
	v_add_nc_u32_e32 v1, 2, v1
	v_lshlrev_b64 v[3:4], 2, v[3:4]
	s_delay_alu instid0(VALU_DEP_2) | instskip(SKIP_1) | instid1(VALU_DEP_4)
	v_lshlrev_b64 v[7:8], 2, v[1:2]
	s_waitcnt lgkmcnt(0)
	v_add_co_u32 v1, vcc_lo, s4, v5
	v_add_co_ci_u32_e32 v2, vcc_lo, s5, v6, vcc_lo
	s_delay_alu instid0(VALU_DEP_4)
	v_add_co_u32 v3, vcc_lo, s4, v3
	v_add_co_ci_u32_e32 v4, vcc_lo, s5, v4, vcc_lo
	v_add_co_u32 v5, vcc_lo, s4, v7
	v_add_co_ci_u32_e32 v6, vcc_lo, s5, v8, vcc_lo
	s_clause 0x2
	global_load_b32 v7, v[1:2], off
	global_load_b32 v8, v[3:4], off
	;; [unrolled: 1-line block ×3, first 2 shown]
	s_waitcnt vmcnt(0)
	v_add3_u32 v11, v8, v7, v9
	s_delay_alu instid0(VALU_DEP_1) | instskip(SKIP_1) | instid1(VALU_DEP_1)
	v_mov_b32_dpp v13, v11 row_shr:1 row_mask:0xf bank_mask:0xf
	v_and_b32_e32 v12, 15, v10
	v_cmp_ne_u32_e32 vcc_lo, 0, v12
	s_delay_alu instid0(VALU_DEP_3) | instskip(SKIP_1) | instid1(VALU_DEP_2)
	v_cndmask_b32_e32 v13, 0, v13, vcc_lo
	v_cmp_lt_u32_e32 vcc_lo, 1, v12
	v_add_nc_u32_e32 v11, v13, v11
	s_delay_alu instid0(VALU_DEP_1) | instskip(NEXT) | instid1(VALU_DEP_1)
	v_mov_b32_dpp v13, v11 row_shr:2 row_mask:0xf bank_mask:0xf
	v_cndmask_b32_e32 v13, 0, v13, vcc_lo
	v_cmp_lt_u32_e32 vcc_lo, 3, v12
	s_delay_alu instid0(VALU_DEP_2) | instskip(NEXT) | instid1(VALU_DEP_1)
	v_add_nc_u32_e32 v11, v11, v13
	v_mov_b32_dpp v13, v11 row_shr:4 row_mask:0xf bank_mask:0xf
	s_delay_alu instid0(VALU_DEP_1) | instskip(SKIP_1) | instid1(VALU_DEP_2)
	v_cndmask_b32_e32 v13, 0, v13, vcc_lo
	v_cmp_lt_u32_e32 vcc_lo, 7, v12
	v_add_nc_u32_e32 v11, v11, v13
	s_delay_alu instid0(VALU_DEP_1) | instskip(NEXT) | instid1(VALU_DEP_1)
	v_mov_b32_dpp v13, v11 row_shr:8 row_mask:0xf bank_mask:0xf
	v_cndmask_b32_e32 v12, 0, v13, vcc_lo
	v_bfe_i32 v13, v10, 4, 1
	s_delay_alu instid0(VALU_DEP_2) | instskip(SKIP_4) | instid1(VALU_DEP_2)
	v_add_nc_u32_e32 v11, v11, v12
	ds_swizzle_b32 v12, v11 offset:swizzle(BROADCAST,32,15)
	s_waitcnt lgkmcnt(0)
	v_and_b32_e32 v13, v13, v12
	v_lshrrev_b32_e32 v12, 5, v0
	v_add_nc_u32_e32 v11, v11, v13
	v_cmpx_eq_u32_e64 v14, v0
	s_cbranch_execz .LBB225_2
; %bb.1:
	s_delay_alu instid0(VALU_DEP_3)
	v_lshlrev_b32_e32 v13, 2, v12
	ds_store_b32 v13, v11
.LBB225_2:
	s_or_b32 exec_lo, exec_lo, s2
	s_delay_alu instid0(SALU_CYCLE_1)
	s_mov_b32 s2, exec_lo
	s_waitcnt lgkmcnt(0)
	s_barrier
	buffer_gl0_inv
	v_cmpx_gt_u32_e32 8, v0
	s_cbranch_execz .LBB225_4
; %bb.3:
	v_lshlrev_b32_e32 v13, 2, v0
	ds_load_b32 v14, v13
	s_waitcnt lgkmcnt(0)
	v_mov_b32_dpp v16, v14 row_shr:1 row_mask:0xf bank_mask:0xf
	v_and_b32_e32 v15, 7, v10
	s_delay_alu instid0(VALU_DEP_1) | instskip(NEXT) | instid1(VALU_DEP_3)
	v_cmp_ne_u32_e32 vcc_lo, 0, v15
	v_cndmask_b32_e32 v16, 0, v16, vcc_lo
	v_cmp_lt_u32_e32 vcc_lo, 1, v15
	s_delay_alu instid0(VALU_DEP_2) | instskip(NEXT) | instid1(VALU_DEP_1)
	v_add_nc_u32_e32 v14, v16, v14
	v_mov_b32_dpp v16, v14 row_shr:2 row_mask:0xf bank_mask:0xf
	s_delay_alu instid0(VALU_DEP_1) | instskip(SKIP_1) | instid1(VALU_DEP_2)
	v_cndmask_b32_e32 v16, 0, v16, vcc_lo
	v_cmp_lt_u32_e32 vcc_lo, 3, v15
	v_add_nc_u32_e32 v14, v14, v16
	s_delay_alu instid0(VALU_DEP_1) | instskip(NEXT) | instid1(VALU_DEP_1)
	v_mov_b32_dpp v16, v14 row_shr:4 row_mask:0xf bank_mask:0xf
	v_cndmask_b32_e32 v15, 0, v16, vcc_lo
	s_delay_alu instid0(VALU_DEP_1)
	v_add_nc_u32_e32 v14, v14, v15
	ds_store_b32 v13, v14
.LBB225_4:
	s_or_b32 exec_lo, exec_lo, s2
	v_cmp_gt_u32_e32 vcc_lo, 32, v0
	s_mov_b32 s3, exec_lo
	s_waitcnt lgkmcnt(0)
	s_barrier
	buffer_gl0_inv
                                        ; implicit-def: $vgpr13
	v_cmpx_lt_u32_e32 31, v0
	s_cbranch_execz .LBB225_6
; %bb.5:
	v_lshl_add_u32 v12, v12, 2, -4
	ds_load_b32 v13, v12
	s_waitcnt lgkmcnt(0)
	v_add_nc_u32_e32 v11, v13, v11
.LBB225_6:
	s_or_b32 exec_lo, exec_lo, s3
	s_load_b32 s0, s[0:1], 0x10
	v_add_nc_u32_e32 v12, -1, v10
	s_delay_alu instid0(VALU_DEP_1) | instskip(NEXT) | instid1(VALU_DEP_1)
	v_cmp_gt_i32_e64 s2, 0, v12
	v_cndmask_b32_e64 v12, v12, v10, s2
	s_delay_alu instid0(VALU_DEP_1)
	v_lshlrev_b32_e32 v12, 2, v12
	ds_bpermute_b32 v12, v12, v11
	s_waitcnt lgkmcnt(0)
	v_mov_b32_e32 v11, s0
	s_and_saveexec_b32 s1, vcc_lo
	s_cbranch_execz .LBB225_10
; %bb.7:
	v_mov_b32_e32 v14, 0
	s_mov_b32 s2, exec_lo
	ds_load_b32 v11, v14 offset:28
	v_cmpx_eq_u32_e32 0, v0
	s_cbranch_execz .LBB225_9
; %bb.8:
	v_mov_b32_e32 v15, s0
	ds_store_b32 v14, v15 offset:28
.LBB225_9:
	s_or_b32 exec_lo, exec_lo, s2
	s_waitcnt lgkmcnt(0)
	v_add_nc_u32_e32 v11, s0, v11
.LBB225_10:
	s_or_b32 exec_lo, exec_lo, s1
	v_mov_b32_e32 v14, 0
	s_barrier
	buffer_gl0_inv
	v_cmp_eq_u32_e32 vcc_lo, 0, v10
	ds_load_b32 v15, v14 offset:28
	v_cndmask_b32_e32 v10, v12, v13, vcc_lo
	v_cmp_eq_u32_e32 vcc_lo, 0, v0
	s_delay_alu instid0(VALU_DEP_2) | instskip(SKIP_1) | instid1(VALU_DEP_1)
	v_cndmask_b32_e64 v0, v10, 0, vcc_lo
	s_waitcnt lgkmcnt(0)
	v_add3_u32 v0, v0, v7, v15
	s_delay_alu instid0(VALU_DEP_1) | instskip(NEXT) | instid1(VALU_DEP_1)
	v_add_nc_u32_e32 v7, v0, v8
	v_add_nc_u32_e32 v8, v7, v9
	s_clause 0x2
	global_store_b32 v[1:2], v0, off
	global_store_b32 v[3:4], v7, off
	;; [unrolled: 1-line block ×3, first 2 shown]
	s_and_saveexec_b32 s0, vcc_lo
	s_cbranch_execz .LBB225_12
; %bb.11:
	s_mov_b32 s9, 0
	s_delay_alu instid0(SALU_CYCLE_1) | instskip(NEXT) | instid1(SALU_CYCLE_1)
	s_lshl_b64 s[0:1], s[8:9], 2
	s_add_u32 s0, s6, s0
	s_addc_u32 s1, s7, s1
	global_store_b32 v14, v11, s[0:1]
.LBB225_12:
	s_nop 0
	s_sendmsg sendmsg(MSG_DEALLOC_VGPRS)
	s_endpgm
	.section	.rodata,"a",@progbits
	.p2align	6, 0x0
	.amdhsa_kernel _Z43inclusive_scan_array_prefix_callback_kernelILj256ELj3ELN6hipcub18BlockScanAlgorithmE0EjEvPT2_S3_S2_
		.amdhsa_group_segment_fixed_size 32
		.amdhsa_private_segment_fixed_size 0
		.amdhsa_kernarg_size 20
		.amdhsa_user_sgpr_count 15
		.amdhsa_user_sgpr_dispatch_ptr 0
		.amdhsa_user_sgpr_queue_ptr 0
		.amdhsa_user_sgpr_kernarg_segment_ptr 1
		.amdhsa_user_sgpr_dispatch_id 0
		.amdhsa_user_sgpr_private_segment_size 0
		.amdhsa_wavefront_size32 1
		.amdhsa_uses_dynamic_stack 0
		.amdhsa_enable_private_segment 0
		.amdhsa_system_sgpr_workgroup_id_x 1
		.amdhsa_system_sgpr_workgroup_id_y 0
		.amdhsa_system_sgpr_workgroup_id_z 0
		.amdhsa_system_sgpr_workgroup_info 0
		.amdhsa_system_vgpr_workitem_id 0
		.amdhsa_next_free_vgpr 17
		.amdhsa_next_free_sgpr 16
		.amdhsa_reserve_vcc 1
		.amdhsa_float_round_mode_32 0
		.amdhsa_float_round_mode_16_64 0
		.amdhsa_float_denorm_mode_32 3
		.amdhsa_float_denorm_mode_16_64 3
		.amdhsa_dx10_clamp 1
		.amdhsa_ieee_mode 1
		.amdhsa_fp16_overflow 0
		.amdhsa_workgroup_processor_mode 1
		.amdhsa_memory_ordered 1
		.amdhsa_forward_progress 0
		.amdhsa_shared_vgpr_count 0
		.amdhsa_exception_fp_ieee_invalid_op 0
		.amdhsa_exception_fp_denorm_src 0
		.amdhsa_exception_fp_ieee_div_zero 0
		.amdhsa_exception_fp_ieee_overflow 0
		.amdhsa_exception_fp_ieee_underflow 0
		.amdhsa_exception_fp_ieee_inexact 0
		.amdhsa_exception_int_div_zero 0
	.end_amdhsa_kernel
	.section	.text._Z43inclusive_scan_array_prefix_callback_kernelILj256ELj3ELN6hipcub18BlockScanAlgorithmE0EjEvPT2_S3_S2_,"axG",@progbits,_Z43inclusive_scan_array_prefix_callback_kernelILj256ELj3ELN6hipcub18BlockScanAlgorithmE0EjEvPT2_S3_S2_,comdat
.Lfunc_end225:
	.size	_Z43inclusive_scan_array_prefix_callback_kernelILj256ELj3ELN6hipcub18BlockScanAlgorithmE0EjEvPT2_S3_S2_, .Lfunc_end225-_Z43inclusive_scan_array_prefix_callback_kernelILj256ELj3ELN6hipcub18BlockScanAlgorithmE0EjEvPT2_S3_S2_
                                        ; -- End function
	.section	.AMDGPU.csdata,"",@progbits
; Kernel info:
; codeLenInByte = 824
; NumSgprs: 18
; NumVgprs: 17
; ScratchSize: 0
; MemoryBound: 0
; FloatMode: 240
; IeeeMode: 1
; LDSByteSize: 32 bytes/workgroup (compile time only)
; SGPRBlocks: 2
; VGPRBlocks: 2
; NumSGPRsForWavesPerEU: 18
; NumVGPRsForWavesPerEU: 17
; Occupancy: 16
; WaveLimiterHint : 0
; COMPUTE_PGM_RSRC2:SCRATCH_EN: 0
; COMPUTE_PGM_RSRC2:USER_SGPR: 15
; COMPUTE_PGM_RSRC2:TRAP_HANDLER: 0
; COMPUTE_PGM_RSRC2:TGID_X_EN: 1
; COMPUTE_PGM_RSRC2:TGID_Y_EN: 0
; COMPUTE_PGM_RSRC2:TGID_Z_EN: 0
; COMPUTE_PGM_RSRC2:TIDIG_COMP_CNT: 0
	.section	.text._Z43inclusive_scan_array_prefix_callback_kernelILj32ELj2ELN6hipcub18BlockScanAlgorithmE0EfEvPT2_S3_S2_,"axG",@progbits,_Z43inclusive_scan_array_prefix_callback_kernelILj32ELj2ELN6hipcub18BlockScanAlgorithmE0EfEvPT2_S3_S2_,comdat
	.protected	_Z43inclusive_scan_array_prefix_callback_kernelILj32ELj2ELN6hipcub18BlockScanAlgorithmE0EfEvPT2_S3_S2_ ; -- Begin function _Z43inclusive_scan_array_prefix_callback_kernelILj32ELj2ELN6hipcub18BlockScanAlgorithmE0EfEvPT2_S3_S2_
	.globl	_Z43inclusive_scan_array_prefix_callback_kernelILj32ELj2ELN6hipcub18BlockScanAlgorithmE0EfEvPT2_S3_S2_
	.p2align	8
	.type	_Z43inclusive_scan_array_prefix_callback_kernelILj32ELj2ELN6hipcub18BlockScanAlgorithmE0EfEvPT2_S3_S2_,@function
_Z43inclusive_scan_array_prefix_callback_kernelILj32ELj2ELN6hipcub18BlockScanAlgorithmE0EfEvPT2_S3_S2_: ; @_Z43inclusive_scan_array_prefix_callback_kernelILj32ELj2ELN6hipcub18BlockScanAlgorithmE0EfEvPT2_S3_S2_
; %bb.0:
	s_load_b128 s[4:7], s[0:1], 0x0
	v_lshlrev_b32_e32 v1, 1, v0
	s_mov_b32 s2, s15
	v_mov_b32_e32 v5, 0
	v_mbcnt_lo_u32_b32 v6, -1, 0
	s_mov_b32 s3, exec_lo
	v_lshl_or_b32 v4, s2, 6, v1
	s_delay_alu instid0(VALU_DEP_2) | instskip(NEXT) | instid1(VALU_DEP_2)
	v_and_b32_e32 v9, 15, v6
	v_lshlrev_b64 v[1:2], 2, v[4:5]
	s_waitcnt lgkmcnt(0)
	s_delay_alu instid0(VALU_DEP_1) | instskip(NEXT) | instid1(VALU_DEP_2)
	v_add_co_u32 v1, vcc_lo, s4, v1
	v_add_co_ci_u32_e32 v2, vcc_lo, s5, v2, vcc_lo
	v_cmp_eq_u32_e32 vcc_lo, 0, v9
	global_load_b64 v[3:4], v[1:2], off
	s_waitcnt vmcnt(0)
	v_add_f32_e32 v7, v3, v4
	s_delay_alu instid0(VALU_DEP_1) | instskip(NEXT) | instid1(VALU_DEP_1)
	v_mov_b32_dpp v8, v7 row_shr:1 row_mask:0xf bank_mask:0xf
	v_add_f32_e32 v8, v7, v8
	s_delay_alu instid0(VALU_DEP_1) | instskip(NEXT) | instid1(VALU_DEP_1)
	v_cndmask_b32_e32 v7, v8, v7, vcc_lo
	v_mov_b32_dpp v8, v7 row_shr:2 row_mask:0xf bank_mask:0xf
	s_delay_alu instid0(VALU_DEP_1) | instskip(SKIP_1) | instid1(VALU_DEP_2)
	v_add_f32_e32 v8, v7, v8
	v_cmp_lt_u32_e32 vcc_lo, 1, v9
	v_cndmask_b32_e32 v7, v7, v8, vcc_lo
	v_cmp_lt_u32_e32 vcc_lo, 3, v9
	s_delay_alu instid0(VALU_DEP_2) | instskip(NEXT) | instid1(VALU_DEP_1)
	v_mov_b32_dpp v8, v7 row_shr:4 row_mask:0xf bank_mask:0xf
	v_add_f32_e32 v8, v7, v8
	s_delay_alu instid0(VALU_DEP_1) | instskip(SKIP_2) | instid1(VALU_DEP_3)
	v_cndmask_b32_e32 v7, v7, v8, vcc_lo
	v_cmp_lt_u32_e32 vcc_lo, 7, v9
	v_and_b32_e32 v9, 16, v6
	v_mov_b32_dpp v8, v7 row_shr:8 row_mask:0xf bank_mask:0xf
	s_delay_alu instid0(VALU_DEP_1) | instskip(NEXT) | instid1(VALU_DEP_1)
	v_add_f32_e32 v8, v7, v8
	v_cndmask_b32_e32 v7, v7, v8, vcc_lo
	s_delay_alu instid0(VALU_DEP_4) | instskip(SKIP_3) | instid1(VALU_DEP_1)
	v_cmp_eq_u32_e32 vcc_lo, 0, v9
	ds_swizzle_b32 v8, v7 offset:swizzle(BROADCAST,32,15)
	s_waitcnt lgkmcnt(0)
	v_add_f32_e32 v8, v7, v8
	v_cndmask_b32_e32 v7, v8, v7, vcc_lo
	v_cmpx_eq_u32_e32 31, v0
	s_cbranch_execz .LBB226_2
; %bb.1:
	ds_store_b32 v5, v7
.LBB226_2:
	s_or_b32 exec_lo, exec_lo, s3
	v_add_nc_u32_e32 v5, -1, v6
	s_load_b32 s0, s[0:1], 0x10
	s_mov_b32 s1, exec_lo
	s_waitcnt vmcnt(0) lgkmcnt(0)
	s_waitcnt_vscnt null, 0x0
	; wave barrier
	s_waitcnt lgkmcnt(0)
	buffer_gl0_inv
	v_cmp_gt_i32_e32 vcc_lo, 0, v5
	v_cndmask_b32_e32 v5, v5, v6, vcc_lo
	s_delay_alu instid0(VALU_DEP_1)
	v_lshlrev_b32_e32 v5, 2, v5
	ds_bpermute_b32 v6, v5, v7
	v_mov_b32_e32 v5, s0
	v_cmpx_gt_u32_e32 32, v0
	s_cbranch_execz .LBB226_6
; %bb.3:
	v_mov_b32_e32 v7, 0
	s_mov_b32 s3, exec_lo
	ds_load_b32 v5, v7
	v_cmpx_eq_u32_e32 0, v0
	s_cbranch_execz .LBB226_5
; %bb.4:
	v_mov_b32_e32 v8, s0
	ds_store_b32 v7, v8
.LBB226_5:
	s_or_b32 exec_lo, exec_lo, s3
	s_waitcnt lgkmcnt(0)
	v_add_f32_e32 v5, s0, v5
.LBB226_6:
	s_or_b32 exec_lo, exec_lo, s1
	s_waitcnt lgkmcnt(0)
	v_dual_mov_b32 v7, 0 :: v_dual_add_f32 v6, v3, v6
	s_waitcnt vmcnt(0) lgkmcnt(0)
	s_waitcnt_vscnt null, 0x0
	; wave barrier
	buffer_gl0_inv
	v_cmp_eq_u32_e32 vcc_lo, 0, v0
	ds_load_b32 v8, v7
	s_mov_b32 s3, 0
	v_cndmask_b32_e32 v0, v6, v3, vcc_lo
	s_waitcnt lgkmcnt(0)
	s_delay_alu instid0(VALU_DEP_1) | instskip(NEXT) | instid1(VALU_DEP_1)
	v_add_f32_e32 v3, v0, v8
	v_add_f32_e32 v4, v4, v3
	global_store_b64 v[1:2], v[3:4], off
	s_and_saveexec_b32 s0, vcc_lo
	s_cbranch_execz .LBB226_8
; %bb.7:
	s_lshl_b64 s[0:1], s[2:3], 2
	s_delay_alu instid0(SALU_CYCLE_1)
	s_add_u32 s0, s6, s0
	s_addc_u32 s1, s7, s1
	global_store_b32 v7, v5, s[0:1]
.LBB226_8:
	s_nop 0
	s_sendmsg sendmsg(MSG_DEALLOC_VGPRS)
	s_endpgm
	.section	.rodata,"a",@progbits
	.p2align	6, 0x0
	.amdhsa_kernel _Z43inclusive_scan_array_prefix_callback_kernelILj32ELj2ELN6hipcub18BlockScanAlgorithmE0EfEvPT2_S3_S2_
		.amdhsa_group_segment_fixed_size 4
		.amdhsa_private_segment_fixed_size 0
		.amdhsa_kernarg_size 20
		.amdhsa_user_sgpr_count 15
		.amdhsa_user_sgpr_dispatch_ptr 0
		.amdhsa_user_sgpr_queue_ptr 0
		.amdhsa_user_sgpr_kernarg_segment_ptr 1
		.amdhsa_user_sgpr_dispatch_id 0
		.amdhsa_user_sgpr_private_segment_size 0
		.amdhsa_wavefront_size32 1
		.amdhsa_uses_dynamic_stack 0
		.amdhsa_enable_private_segment 0
		.amdhsa_system_sgpr_workgroup_id_x 1
		.amdhsa_system_sgpr_workgroup_id_y 0
		.amdhsa_system_sgpr_workgroup_id_z 0
		.amdhsa_system_sgpr_workgroup_info 0
		.amdhsa_system_vgpr_workitem_id 0
		.amdhsa_next_free_vgpr 10
		.amdhsa_next_free_sgpr 16
		.amdhsa_reserve_vcc 1
		.amdhsa_float_round_mode_32 0
		.amdhsa_float_round_mode_16_64 0
		.amdhsa_float_denorm_mode_32 3
		.amdhsa_float_denorm_mode_16_64 3
		.amdhsa_dx10_clamp 1
		.amdhsa_ieee_mode 1
		.amdhsa_fp16_overflow 0
		.amdhsa_workgroup_processor_mode 1
		.amdhsa_memory_ordered 1
		.amdhsa_forward_progress 0
		.amdhsa_shared_vgpr_count 0
		.amdhsa_exception_fp_ieee_invalid_op 0
		.amdhsa_exception_fp_denorm_src 0
		.amdhsa_exception_fp_ieee_div_zero 0
		.amdhsa_exception_fp_ieee_overflow 0
		.amdhsa_exception_fp_ieee_underflow 0
		.amdhsa_exception_fp_ieee_inexact 0
		.amdhsa_exception_int_div_zero 0
	.end_amdhsa_kernel
	.section	.text._Z43inclusive_scan_array_prefix_callback_kernelILj32ELj2ELN6hipcub18BlockScanAlgorithmE0EfEvPT2_S3_S2_,"axG",@progbits,_Z43inclusive_scan_array_prefix_callback_kernelILj32ELj2ELN6hipcub18BlockScanAlgorithmE0EfEvPT2_S3_S2_,comdat
.Lfunc_end226:
	.size	_Z43inclusive_scan_array_prefix_callback_kernelILj32ELj2ELN6hipcub18BlockScanAlgorithmE0EfEvPT2_S3_S2_, .Lfunc_end226-_Z43inclusive_scan_array_prefix_callback_kernelILj32ELj2ELN6hipcub18BlockScanAlgorithmE0EfEvPT2_S3_S2_
                                        ; -- End function
	.section	.AMDGPU.csdata,"",@progbits
; Kernel info:
; codeLenInByte = 488
; NumSgprs: 18
; NumVgprs: 10
; ScratchSize: 0
; MemoryBound: 0
; FloatMode: 240
; IeeeMode: 1
; LDSByteSize: 4 bytes/workgroup (compile time only)
; SGPRBlocks: 2
; VGPRBlocks: 1
; NumSGPRsForWavesPerEU: 18
; NumVGPRsForWavesPerEU: 10
; Occupancy: 16
; WaveLimiterHint : 0
; COMPUTE_PGM_RSRC2:SCRATCH_EN: 0
; COMPUTE_PGM_RSRC2:USER_SGPR: 15
; COMPUTE_PGM_RSRC2:TRAP_HANDLER: 0
; COMPUTE_PGM_RSRC2:TGID_X_EN: 1
; COMPUTE_PGM_RSRC2:TGID_Y_EN: 0
; COMPUTE_PGM_RSRC2:TGID_Z_EN: 0
; COMPUTE_PGM_RSRC2:TIDIG_COMP_CNT: 0
	.section	.text._Z43inclusive_scan_array_prefix_callback_kernelILj6ELj32ELN6hipcub18BlockScanAlgorithmE0EfEvPT2_S3_S2_,"axG",@progbits,_Z43inclusive_scan_array_prefix_callback_kernelILj6ELj32ELN6hipcub18BlockScanAlgorithmE0EfEvPT2_S3_S2_,comdat
	.protected	_Z43inclusive_scan_array_prefix_callback_kernelILj6ELj32ELN6hipcub18BlockScanAlgorithmE0EfEvPT2_S3_S2_ ; -- Begin function _Z43inclusive_scan_array_prefix_callback_kernelILj6ELj32ELN6hipcub18BlockScanAlgorithmE0EfEvPT2_S3_S2_
	.globl	_Z43inclusive_scan_array_prefix_callback_kernelILj6ELj32ELN6hipcub18BlockScanAlgorithmE0EfEvPT2_S3_S2_
	.p2align	8
	.type	_Z43inclusive_scan_array_prefix_callback_kernelILj6ELj32ELN6hipcub18BlockScanAlgorithmE0EfEvPT2_S3_S2_,@function
_Z43inclusive_scan_array_prefix_callback_kernelILj6ELj32ELN6hipcub18BlockScanAlgorithmE0EfEvPT2_S3_S2_: ; @_Z43inclusive_scan_array_prefix_callback_kernelILj6ELj32ELN6hipcub18BlockScanAlgorithmE0EfEvPT2_S3_S2_
; %bb.0:
	s_load_b128 s[4:7], s[0:1], 0x0
	s_mul_i32 s3, s15, 6
	v_mov_b32_e32 v35, 0
	v_add_lshl_u32 v34, s3, v0, 5
	s_mov_b32 s2, s15
	s_mov_b32 s3, exec_lo
	s_delay_alu instid0(VALU_DEP_1) | instskip(SKIP_1) | instid1(VALU_DEP_1)
	v_lshlrev_b64 v[1:2], 2, v[34:35]
	s_waitcnt lgkmcnt(0)
	v_add_co_u32 v33, vcc_lo, s4, v1
	s_delay_alu instid0(VALU_DEP_2)
	v_add_co_ci_u32_e32 v34, vcc_lo, s5, v2, vcc_lo
	s_clause 0x7
	global_load_b128 v[29:32], v[33:34], off
	global_load_b128 v[25:28], v[33:34], off offset:16
	global_load_b128 v[21:24], v[33:34], off offset:32
	;; [unrolled: 1-line block ×7, first 2 shown]
	s_waitcnt vmcnt(7)
	v_add_f32_e32 v36, v29, v30
	s_delay_alu instid0(VALU_DEP_1) | instskip(NEXT) | instid1(VALU_DEP_1)
	v_add_f32_e32 v36, v36, v31
	v_add_f32_e32 v36, v36, v32
	s_waitcnt vmcnt(6)
	s_delay_alu instid0(VALU_DEP_1) | instskip(NEXT) | instid1(VALU_DEP_1)
	v_add_f32_e32 v36, v36, v25
	v_add_f32_e32 v36, v36, v26
	s_delay_alu instid0(VALU_DEP_1) | instskip(NEXT) | instid1(VALU_DEP_1)
	v_add_f32_e32 v36, v36, v27
	v_add_f32_e32 v36, v36, v28
	s_waitcnt vmcnt(5)
	s_delay_alu instid0(VALU_DEP_1) | instskip(NEXT) | instid1(VALU_DEP_1)
	v_add_f32_e32 v36, v36, v21
	v_add_f32_e32 v36, v36, v22
	s_delay_alu instid0(VALU_DEP_1) | instskip(NEXT) | instid1(VALU_DEP_1)
	v_add_f32_e32 v36, v36, v23
	v_add_f32_e32 v36, v36, v24
	s_waitcnt vmcnt(4)
	s_delay_alu instid0(VALU_DEP_1) | instskip(NEXT) | instid1(VALU_DEP_1)
	v_add_f32_e32 v36, v36, v13
	v_add_f32_e32 v36, v36, v14
	s_delay_alu instid0(VALU_DEP_1) | instskip(NEXT) | instid1(VALU_DEP_1)
	v_add_f32_e32 v36, v36, v15
	v_add_f32_e32 v36, v36, v16
	s_waitcnt vmcnt(3)
	s_delay_alu instid0(VALU_DEP_1) | instskip(NEXT) | instid1(VALU_DEP_1)
	v_add_f32_e32 v36, v36, v17
	v_add_f32_e32 v36, v36, v18
	s_delay_alu instid0(VALU_DEP_1) | instskip(NEXT) | instid1(VALU_DEP_1)
	v_add_f32_e32 v36, v36, v19
	v_add_f32_e32 v36, v36, v20
	s_waitcnt vmcnt(2)
	s_delay_alu instid0(VALU_DEP_1) | instskip(NEXT) | instid1(VALU_DEP_1)
	v_add_f32_e32 v36, v36, v9
	v_add_f32_e32 v36, v36, v10
	s_delay_alu instid0(VALU_DEP_1) | instskip(NEXT) | instid1(VALU_DEP_1)
	v_add_f32_e32 v36, v36, v11
	v_add_f32_e32 v36, v36, v12
	s_waitcnt vmcnt(1)
	s_delay_alu instid0(VALU_DEP_1) | instskip(NEXT) | instid1(VALU_DEP_1)
	v_add_f32_e32 v36, v36, v5
	v_add_f32_e32 v36, v36, v6
	s_delay_alu instid0(VALU_DEP_1) | instskip(NEXT) | instid1(VALU_DEP_1)
	v_add_f32_e32 v36, v36, v7
	v_add_f32_e32 v36, v36, v8
	s_waitcnt vmcnt(0)
	s_delay_alu instid0(VALU_DEP_1) | instskip(NEXT) | instid1(VALU_DEP_1)
	v_add_f32_e32 v36, v36, v1
	v_add_f32_e32 v36, v36, v2
	s_delay_alu instid0(VALU_DEP_1) | instskip(NEXT) | instid1(VALU_DEP_1)
	v_add_f32_e32 v36, v36, v3
	v_add_f32_e32 v37, v36, v4
	v_mbcnt_lo_u32_b32 v36, -1, 0
	s_delay_alu instid0(VALU_DEP_2) | instskip(NEXT) | instid1(VALU_DEP_1)
	v_mov_b32_dpp v38, v37 row_shr:1 row_mask:0xf bank_mask:0xf
	v_dual_add_f32 v38, v37, v38 :: v_dual_and_b32 v39, 7, v36
	s_delay_alu instid0(VALU_DEP_1) | instskip(NEXT) | instid1(VALU_DEP_2)
	v_cmp_eq_u32_e32 vcc_lo, 0, v39
	v_cndmask_b32_e32 v37, v38, v37, vcc_lo
	v_cmp_lt_u32_e32 vcc_lo, 1, v39
	s_delay_alu instid0(VALU_DEP_2) | instskip(NEXT) | instid1(VALU_DEP_1)
	v_mov_b32_dpp v38, v37 row_shr:2 row_mask:0xf bank_mask:0xf
	v_add_f32_e32 v38, v37, v38
	s_delay_alu instid0(VALU_DEP_1) | instskip(SKIP_1) | instid1(VALU_DEP_2)
	v_cndmask_b32_e32 v37, v37, v38, vcc_lo
	v_cmp_lt_u32_e32 vcc_lo, 3, v39
	v_mov_b32_dpp v38, v37 row_shr:4 row_mask:0xf bank_mask:0xf
	s_delay_alu instid0(VALU_DEP_1) | instskip(NEXT) | instid1(VALU_DEP_1)
	v_add_f32_e32 v38, v37, v38
	v_cndmask_b32_e32 v37, v37, v38, vcc_lo
	v_cmpx_eq_u32_e32 5, v0
	s_cbranch_execz .LBB227_2
; %bb.1:
	ds_store_b32 v35, v37
.LBB227_2:
	s_or_b32 exec_lo, exec_lo, s3
	v_add_nc_u32_e32 v35, -1, v36
	s_load_b32 s0, s[0:1], 0x10
	v_and_b32_e32 v38, 24, v36
	s_mov_b32 s1, exec_lo
	s_waitcnt vmcnt(0) lgkmcnt(0)
	s_waitcnt_vscnt null, 0x0
	; wave barrier
	s_waitcnt lgkmcnt(0)
	buffer_gl0_inv
	v_cmp_lt_i32_e32 vcc_lo, v35, v38
	v_cndmask_b32_e32 v35, v35, v36, vcc_lo
	s_delay_alu instid0(VALU_DEP_1)
	v_lshlrev_b32_e32 v35, 2, v35
	ds_bpermute_b32 v37, v35, v37
	v_mov_b32_e32 v35, s0
	v_cmpx_gt_u32_e32 32, v0
	s_cbranch_execz .LBB227_6
; %bb.3:
	v_mov_b32_e32 v36, 0
	s_mov_b32 s3, exec_lo
	ds_load_b32 v35, v36
	v_cmpx_eq_u32_e32 0, v0
	s_cbranch_execz .LBB227_5
; %bb.4:
	v_mov_b32_e32 v38, s0
	ds_store_b32 v36, v38
.LBB227_5:
	s_or_b32 exec_lo, exec_lo, s3
	s_waitcnt lgkmcnt(0)
	v_add_f32_e32 v35, s0, v35
.LBB227_6:
	s_or_b32 exec_lo, exec_lo, s1
	s_waitcnt lgkmcnt(0)
	v_dual_mov_b32 v36, 0 :: v_dual_add_f32 v37, v29, v37
	s_waitcnt vmcnt(0) lgkmcnt(0)
	s_waitcnt_vscnt null, 0x0
	; wave barrier
	buffer_gl0_inv
	v_cmp_eq_u32_e32 vcc_lo, 0, v0
	ds_load_b32 v38, v36
	s_mov_b32 s3, 0
	v_cndmask_b32_e32 v0, v37, v29, vcc_lo
	s_waitcnt lgkmcnt(0)
	s_delay_alu instid0(VALU_DEP_1) | instskip(NEXT) | instid1(VALU_DEP_1)
	v_add_f32_e32 v29, v38, v0
	v_add_f32_e32 v30, v30, v29
	s_delay_alu instid0(VALU_DEP_1) | instskip(NEXT) | instid1(VALU_DEP_1)
	v_add_f32_e32 v31, v30, v31
	v_add_f32_e32 v32, v31, v32
	;; [unrolled: 3-line block ×15, first 2 shown]
	s_clause 0x1
	global_store_b128 v[33:34], v[29:32], off
	global_store_b128 v[33:34], v[25:28], off offset:16
	v_add_f32_e32 v2, v1, v3
	s_delay_alu instid0(VALU_DEP_1)
	v_add_f32_e32 v3, v2, v4
	s_clause 0x5
	global_store_b128 v[33:34], v[21:24], off offset:32
	global_store_b128 v[33:34], v[13:16], off offset:48
	;; [unrolled: 1-line block ×6, first 2 shown]
	s_and_saveexec_b32 s0, vcc_lo
	s_cbranch_execz .LBB227_8
; %bb.7:
	s_lshl_b64 s[0:1], s[2:3], 2
	s_delay_alu instid0(SALU_CYCLE_1)
	s_add_u32 s0, s6, s0
	s_addc_u32 s1, s7, s1
	global_store_b32 v36, v35, s[0:1]
.LBB227_8:
	s_nop 0
	s_sendmsg sendmsg(MSG_DEALLOC_VGPRS)
	s_endpgm
	.section	.rodata,"a",@progbits
	.p2align	6, 0x0
	.amdhsa_kernel _Z43inclusive_scan_array_prefix_callback_kernelILj6ELj32ELN6hipcub18BlockScanAlgorithmE0EfEvPT2_S3_S2_
		.amdhsa_group_segment_fixed_size 4
		.amdhsa_private_segment_fixed_size 0
		.amdhsa_kernarg_size 20
		.amdhsa_user_sgpr_count 15
		.amdhsa_user_sgpr_dispatch_ptr 0
		.amdhsa_user_sgpr_queue_ptr 0
		.amdhsa_user_sgpr_kernarg_segment_ptr 1
		.amdhsa_user_sgpr_dispatch_id 0
		.amdhsa_user_sgpr_private_segment_size 0
		.amdhsa_wavefront_size32 1
		.amdhsa_uses_dynamic_stack 0
		.amdhsa_enable_private_segment 0
		.amdhsa_system_sgpr_workgroup_id_x 1
		.amdhsa_system_sgpr_workgroup_id_y 0
		.amdhsa_system_sgpr_workgroup_id_z 0
		.amdhsa_system_sgpr_workgroup_info 0
		.amdhsa_system_vgpr_workitem_id 0
		.amdhsa_next_free_vgpr 40
		.amdhsa_next_free_sgpr 16
		.amdhsa_reserve_vcc 1
		.amdhsa_float_round_mode_32 0
		.amdhsa_float_round_mode_16_64 0
		.amdhsa_float_denorm_mode_32 3
		.amdhsa_float_denorm_mode_16_64 3
		.amdhsa_dx10_clamp 1
		.amdhsa_ieee_mode 1
		.amdhsa_fp16_overflow 0
		.amdhsa_workgroup_processor_mode 1
		.amdhsa_memory_ordered 1
		.amdhsa_forward_progress 0
		.amdhsa_shared_vgpr_count 0
		.amdhsa_exception_fp_ieee_invalid_op 0
		.amdhsa_exception_fp_denorm_src 0
		.amdhsa_exception_fp_ieee_div_zero 0
		.amdhsa_exception_fp_ieee_overflow 0
		.amdhsa_exception_fp_ieee_underflow 0
		.amdhsa_exception_fp_ieee_inexact 0
		.amdhsa_exception_int_div_zero 0
	.end_amdhsa_kernel
	.section	.text._Z43inclusive_scan_array_prefix_callback_kernelILj6ELj32ELN6hipcub18BlockScanAlgorithmE0EfEvPT2_S3_S2_,"axG",@progbits,_Z43inclusive_scan_array_prefix_callback_kernelILj6ELj32ELN6hipcub18BlockScanAlgorithmE0EfEvPT2_S3_S2_,comdat
.Lfunc_end227:
	.size	_Z43inclusive_scan_array_prefix_callback_kernelILj6ELj32ELN6hipcub18BlockScanAlgorithmE0EfEvPT2_S3_S2_, .Lfunc_end227-_Z43inclusive_scan_array_prefix_callback_kernelILj6ELj32ELN6hipcub18BlockScanAlgorithmE0EfEvPT2_S3_S2_
                                        ; -- End function
	.section	.AMDGPU.csdata,"",@progbits
; Kernel info:
; codeLenInByte = 948
; NumSgprs: 18
; NumVgprs: 40
; ScratchSize: 0
; MemoryBound: 0
; FloatMode: 240
; IeeeMode: 1
; LDSByteSize: 4 bytes/workgroup (compile time only)
; SGPRBlocks: 2
; VGPRBlocks: 4
; NumSGPRsForWavesPerEU: 18
; NumVGPRsForWavesPerEU: 40
; Occupancy: 16
; WaveLimiterHint : 0
; COMPUTE_PGM_RSRC2:SCRATCH_EN: 0
; COMPUTE_PGM_RSRC2:USER_SGPR: 15
; COMPUTE_PGM_RSRC2:TRAP_HANDLER: 0
; COMPUTE_PGM_RSRC2:TGID_X_EN: 1
; COMPUTE_PGM_RSRC2:TGID_Y_EN: 0
; COMPUTE_PGM_RSRC2:TGID_Z_EN: 0
; COMPUTE_PGM_RSRC2:TIDIG_COMP_CNT: 0
	.section	.text._Z27exclusive_scan_array_kernelILj16ELj5ELN6hipcub18BlockScanAlgorithmE1E12hip_bfloat16EvPT2_S3_,"axG",@progbits,_Z27exclusive_scan_array_kernelILj16ELj5ELN6hipcub18BlockScanAlgorithmE1E12hip_bfloat16EvPT2_S3_,comdat
	.protected	_Z27exclusive_scan_array_kernelILj16ELj5ELN6hipcub18BlockScanAlgorithmE1E12hip_bfloat16EvPT2_S3_ ; -- Begin function _Z27exclusive_scan_array_kernelILj16ELj5ELN6hipcub18BlockScanAlgorithmE1E12hip_bfloat16EvPT2_S3_
	.globl	_Z27exclusive_scan_array_kernelILj16ELj5ELN6hipcub18BlockScanAlgorithmE1E12hip_bfloat16EvPT2_S3_
	.p2align	8
	.type	_Z27exclusive_scan_array_kernelILj16ELj5ELN6hipcub18BlockScanAlgorithmE1E12hip_bfloat16EvPT2_S3_,@function
_Z27exclusive_scan_array_kernelILj16ELj5ELN6hipcub18BlockScanAlgorithmE1E12hip_bfloat16EvPT2_S3_: ; @_Z27exclusive_scan_array_kernelILj16ELj5ELN6hipcub18BlockScanAlgorithmE1E12hip_bfloat16EvPT2_S3_
; %bb.0:
	s_load_b64 s[2:3], s[0:1], 0x0
	v_lshl_or_b32 v1, s15, 4, v0
	s_delay_alu instid0(VALU_DEP_1) | instskip(NEXT) | instid1(VALU_DEP_1)
	v_lshl_add_u32 v8, v1, 2, v1
	v_dual_mov_b32 v9, 0 :: v_dual_add_nc_u32 v10, 2, v8
	s_delay_alu instid0(VALU_DEP_1) | instskip(SKIP_3) | instid1(VALU_DEP_4)
	v_dual_mov_b32 v2, v9 :: v_dual_add_nc_u32 v1, 1, v8
	v_dual_mov_b32 v4, v9 :: v_dual_add_nc_u32 v3, 3, v8
	v_lshlrev_b64 v[5:6], 1, v[8:9]
	v_add_nc_u32_e32 v8, 4, v8
	v_lshlrev_b64 v[11:12], 1, v[1:2]
	s_delay_alu instid0(VALU_DEP_4) | instskip(NEXT) | instid1(VALU_DEP_3)
	v_lshlrev_b64 v[1:2], 1, v[3:4]
	v_lshlrev_b64 v[7:8], 1, v[8:9]
	s_waitcnt lgkmcnt(0)
	v_add_co_u32 v3, vcc_lo, s2, v5
	v_add_co_ci_u32_e32 v4, vcc_lo, s3, v6, vcc_lo
	s_delay_alu instid0(VALU_DEP_4)
	v_add_co_u32 v1, vcc_lo, s2, v1
	v_add_co_ci_u32_e32 v2, vcc_lo, s3, v2, vcc_lo
	v_add_co_u32 v5, vcc_lo, s2, v7
	v_add_co_ci_u32_e32 v6, vcc_lo, s3, v8, vcc_lo
	v_add_co_u32 v7, vcc_lo, s2, v11
	v_mov_b32_e32 v11, v9
	v_add_co_ci_u32_e32 v8, vcc_lo, s3, v12, vcc_lo
	s_clause 0x3
	global_load_u16 v13, v[1:2], off
	global_load_u16 v15, v[5:6], off
	;; [unrolled: 1-line block ×4, first 2 shown]
	v_lshlrev_b64 v[9:10], 1, v[10:11]
	s_delay_alu instid0(VALU_DEP_1) | instskip(NEXT) | instid1(VALU_DEP_2)
	v_add_co_u32 v9, vcc_lo, s2, v9
	v_add_co_ci_u32_e32 v10, vcc_lo, s3, v10, vcc_lo
	global_load_u16 v12, v[9:10], off
	s_waitcnt vmcnt(2)
	v_lshlrev_b32_e32 v14, 16, v14
	s_waitcnt vmcnt(1)
	v_lshlrev_b32_e32 v11, 16, v16
	s_delay_alu instid0(VALU_DEP_1) | instskip(NEXT) | instid1(VALU_DEP_1)
	v_add_f32_e32 v16, v14, v11
	v_and_b32_e32 v17, 0x7f800000, v16
	s_delay_alu instid0(VALU_DEP_1) | instskip(SKIP_1) | instid1(SALU_CYCLE_1)
	v_cmp_ne_u32_e32 vcc_lo, 0x7f800000, v17
                                        ; implicit-def: $vgpr17
	s_and_saveexec_b32 s2, vcc_lo
	s_xor_b32 s2, exec_lo, s2
; %bb.1:
	v_bfe_u32 v17, v16, 16, 1
	s_delay_alu instid0(VALU_DEP_1)
	v_add3_u32 v17, v16, v17, 0x7fff
                                        ; implicit-def: $vgpr16
; %bb.2:
	s_and_not1_saveexec_b32 s2, s2
; %bb.3:
	v_and_b32_e32 v17, 0xffff, v16
	v_or_b32_e32 v18, 0x10000, v16
	s_delay_alu instid0(VALU_DEP_2) | instskip(NEXT) | instid1(VALU_DEP_2)
	v_cmp_eq_u32_e32 vcc_lo, 0, v17
	v_cndmask_b32_e32 v17, v18, v16, vcc_lo
; %bb.4:
	s_or_b32 exec_lo, exec_lo, s2
	s_delay_alu instid0(VALU_DEP_1) | instskip(SKIP_2) | instid1(VALU_DEP_1)
	v_and_b32_e32 v16, 0xffff0000, v17
	s_waitcnt vmcnt(0)
	v_lshlrev_b32_e32 v12, 16, v12
	v_add_f32_e32 v16, v16, v12
	s_delay_alu instid0(VALU_DEP_1) | instskip(NEXT) | instid1(VALU_DEP_1)
	v_and_b32_e32 v17, 0x7f800000, v16
	v_cmp_ne_u32_e32 vcc_lo, 0x7f800000, v17
                                        ; implicit-def: $vgpr17
	s_and_saveexec_b32 s2, vcc_lo
	s_delay_alu instid0(SALU_CYCLE_1)
	s_xor_b32 s2, exec_lo, s2
; %bb.5:
	v_bfe_u32 v17, v16, 16, 1
	s_delay_alu instid0(VALU_DEP_1)
	v_add3_u32 v17, v16, v17, 0x7fff
                                        ; implicit-def: $vgpr16
; %bb.6:
	s_and_not1_saveexec_b32 s2, s2
; %bb.7:
	v_and_b32_e32 v17, 0xffff, v16
	v_or_b32_e32 v18, 0x10000, v16
	s_delay_alu instid0(VALU_DEP_2) | instskip(NEXT) | instid1(VALU_DEP_2)
	v_cmp_eq_u32_e32 vcc_lo, 0, v17
	v_cndmask_b32_e32 v17, v18, v16, vcc_lo
; %bb.8:
	s_or_b32 exec_lo, exec_lo, s2
	s_delay_alu instid0(VALU_DEP_1) | instskip(SKIP_1) | instid1(VALU_DEP_1)
	v_and_b32_e32 v16, 0xffff0000, v17
	v_lshlrev_b32_e32 v13, 16, v13
	v_add_f32_e32 v16, v16, v13
	s_delay_alu instid0(VALU_DEP_1) | instskip(NEXT) | instid1(VALU_DEP_1)
	v_and_b32_e32 v17, 0x7f800000, v16
	v_cmp_ne_u32_e32 vcc_lo, 0x7f800000, v17
                                        ; implicit-def: $vgpr17
	s_and_saveexec_b32 s2, vcc_lo
	s_delay_alu instid0(SALU_CYCLE_1)
	s_xor_b32 s2, exec_lo, s2
; %bb.9:
	v_bfe_u32 v17, v16, 16, 1
	s_delay_alu instid0(VALU_DEP_1)
	v_add3_u32 v17, v16, v17, 0x7fff
                                        ; implicit-def: $vgpr16
; %bb.10:
	s_and_not1_saveexec_b32 s2, s2
; %bb.11:
	v_and_b32_e32 v17, 0xffff, v16
	v_or_b32_e32 v18, 0x10000, v16
	s_delay_alu instid0(VALU_DEP_2) | instskip(NEXT) | instid1(VALU_DEP_2)
	v_cmp_eq_u32_e32 vcc_lo, 0, v17
	v_cndmask_b32_e32 v17, v18, v16, vcc_lo
; %bb.12:
	s_or_b32 exec_lo, exec_lo, s2
	s_delay_alu instid0(VALU_DEP_1) | instskip(SKIP_1) | instid1(VALU_DEP_1)
	v_and_b32_e32 v16, 0xffff0000, v17
	v_lshlrev_b32_e32 v15, 16, v15
	v_add_f32_e32 v15, v16, v15
	s_delay_alu instid0(VALU_DEP_1) | instskip(NEXT) | instid1(VALU_DEP_1)
	v_and_b32_e32 v16, 0x7f800000, v15
	v_cmp_ne_u32_e32 vcc_lo, 0x7f800000, v16
                                        ; implicit-def: $vgpr16
	s_and_saveexec_b32 s2, vcc_lo
	s_delay_alu instid0(SALU_CYCLE_1)
	s_xor_b32 s2, exec_lo, s2
; %bb.13:
	v_bfe_u32 v16, v15, 16, 1
	s_delay_alu instid0(VALU_DEP_1)
	v_add3_u32 v16, v15, v16, 0x7fff
                                        ; implicit-def: $vgpr15
; %bb.14:
	s_and_not1_saveexec_b32 s2, s2
; %bb.15:
	v_and_b32_e32 v16, 0xffff, v15
	v_or_b32_e32 v17, 0x10000, v15
	s_delay_alu instid0(VALU_DEP_2) | instskip(NEXT) | instid1(VALU_DEP_2)
	v_cmp_eq_u32_e32 vcc_lo, 0, v16
	v_cndmask_b32_e32 v16, v17, v15, vcc_lo
; %bb.16:
	s_or_b32 exec_lo, exec_lo, s2
	s_delay_alu instid0(VALU_DEP_1) | instskip(SKIP_2) | instid1(VALU_DEP_2)
	v_lshrrev_b32_e32 v18, 16, v16
	v_and_b32_e32 v17, 0xffff0000, v16
	s_mov_b32 s2, exec_lo
                                        ; implicit-def: $vgpr19
	v_mov_b32_dpp v15, v18 row_shr:1 row_mask:0xf bank_mask:0xf
	s_delay_alu instid0(VALU_DEP_1) | instskip(NEXT) | instid1(VALU_DEP_1)
	v_lshlrev_b32_e32 v15, 16, v15
	v_add_f32_e32 v15, v17, v15
	s_delay_alu instid0(VALU_DEP_1) | instskip(NEXT) | instid1(VALU_DEP_1)
	v_and_b32_e32 v16, 0x7f800000, v15
	v_cmpx_ne_u32_e32 0x7f800000, v16
	s_xor_b32 s2, exec_lo, s2
; %bb.17:
	v_bfe_u32 v16, v15, 16, 1
	s_delay_alu instid0(VALU_DEP_1)
	v_add3_u32 v19, v15, v16, 0x7fff
                                        ; implicit-def: $vgpr15
; %bb.18:
	s_and_not1_saveexec_b32 s2, s2
; %bb.19:
	v_and_b32_e32 v16, 0xffff, v15
	v_or_b32_e32 v19, 0x10000, v15
	s_delay_alu instid0(VALU_DEP_2) | instskip(NEXT) | instid1(VALU_DEP_2)
	v_cmp_eq_u32_e32 vcc_lo, 0, v16
	v_cndmask_b32_e32 v19, v19, v15, vcc_lo
; %bb.20:
	s_or_b32 exec_lo, exec_lo, s2
	v_mbcnt_lo_u32_b32 v15, -1, 0
	s_delay_alu instid0(VALU_DEP_2) | instskip(SKIP_1) | instid1(VALU_DEP_3)
	v_lshrrev_b32_e32 v20, 16, v19
	v_and_b32_e32 v19, 0xffff0000, v19
	v_and_b32_e32 v16, 15, v15
	s_delay_alu instid0(VALU_DEP_1) | instskip(NEXT) | instid1(VALU_DEP_3)
	v_cmp_eq_u32_e32 vcc_lo, 0, v16
	v_dual_cndmask_b32 v17, v19, v17 :: v_dual_cndmask_b32 v18, v20, v18
	s_delay_alu instid0(VALU_DEP_1) | instskip(NEXT) | instid1(VALU_DEP_1)
	v_mov_b32_dpp v20, v18 row_shr:2 row_mask:0xf bank_mask:0xf
	v_lshlrev_b32_e32 v19, 16, v20
	s_delay_alu instid0(VALU_DEP_1) | instskip(NEXT) | instid1(VALU_DEP_1)
	v_add_f32_e32 v20, v17, v19
	v_and_b32_e32 v19, 0x7f800000, v20
	s_delay_alu instid0(VALU_DEP_1) | instskip(SKIP_1) | instid1(SALU_CYCLE_1)
	v_cmp_ne_u32_e32 vcc_lo, 0x7f800000, v19
                                        ; implicit-def: $vgpr19
	s_and_saveexec_b32 s2, vcc_lo
	s_xor_b32 s2, exec_lo, s2
; %bb.21:
	v_bfe_u32 v19, v20, 16, 1
	s_delay_alu instid0(VALU_DEP_1)
	v_add3_u32 v19, v20, v19, 0x7fff
                                        ; implicit-def: $vgpr20
; %bb.22:
	s_and_not1_saveexec_b32 s2, s2
; %bb.23:
	v_and_b32_e32 v19, 0xffff, v20
	v_or_b32_e32 v21, 0x10000, v20
	s_delay_alu instid0(VALU_DEP_2) | instskip(NEXT) | instid1(VALU_DEP_2)
	v_cmp_eq_u32_e32 vcc_lo, 0, v19
	v_cndmask_b32_e32 v19, v21, v20, vcc_lo
; %bb.24:
	s_or_b32 exec_lo, exec_lo, s2
	s_delay_alu instid0(VALU_DEP_1) | instskip(SKIP_1) | instid1(VALU_DEP_2)
	v_lshrrev_b32_e32 v20, 16, v19
	v_cmp_lt_u32_e32 vcc_lo, 1, v16
	v_dual_cndmask_b32 v18, v18, v20 :: v_dual_and_b32 v19, 0xffff0000, v19
	s_delay_alu instid0(VALU_DEP_1) | instskip(NEXT) | instid1(VALU_DEP_2)
	v_cndmask_b32_e32 v17, v17, v19, vcc_lo
	v_mov_b32_dpp v20, v18 row_shr:4 row_mask:0xf bank_mask:0xf
	s_delay_alu instid0(VALU_DEP_1) | instskip(NEXT) | instid1(VALU_DEP_1)
	v_lshlrev_b32_e32 v19, 16, v20
	v_add_f32_e32 v20, v17, v19
	s_delay_alu instid0(VALU_DEP_1) | instskip(NEXT) | instid1(VALU_DEP_1)
	v_and_b32_e32 v19, 0x7f800000, v20
	v_cmp_ne_u32_e32 vcc_lo, 0x7f800000, v19
                                        ; implicit-def: $vgpr19
	s_and_saveexec_b32 s2, vcc_lo
	s_delay_alu instid0(SALU_CYCLE_1)
	s_xor_b32 s2, exec_lo, s2
; %bb.25:
	v_bfe_u32 v19, v20, 16, 1
	s_delay_alu instid0(VALU_DEP_1)
	v_add3_u32 v19, v20, v19, 0x7fff
                                        ; implicit-def: $vgpr20
; %bb.26:
	s_and_not1_saveexec_b32 s2, s2
; %bb.27:
	v_and_b32_e32 v19, 0xffff, v20
	v_or_b32_e32 v21, 0x10000, v20
	s_delay_alu instid0(VALU_DEP_2) | instskip(NEXT) | instid1(VALU_DEP_2)
	v_cmp_eq_u32_e32 vcc_lo, 0, v19
	v_cndmask_b32_e32 v19, v21, v20, vcc_lo
; %bb.28:
	s_or_b32 exec_lo, exec_lo, s2
	s_delay_alu instid0(VALU_DEP_1) | instskip(SKIP_1) | instid1(VALU_DEP_2)
	v_lshrrev_b32_e32 v20, 16, v19
	v_cmp_lt_u32_e32 vcc_lo, 3, v16
	v_dual_cndmask_b32 v18, v18, v20 :: v_dual_and_b32 v19, 0xffff0000, v19
	s_delay_alu instid0(VALU_DEP_1) | instskip(NEXT) | instid1(VALU_DEP_2)
	v_cndmask_b32_e32 v17, v17, v19, vcc_lo
	v_mov_b32_dpp v20, v18 row_shr:8 row_mask:0xf bank_mask:0xf
	s_delay_alu instid0(VALU_DEP_1) | instskip(NEXT) | instid1(VALU_DEP_1)
	v_lshlrev_b32_e32 v19, 16, v20
	v_add_f32_e32 v17, v17, v19
	s_delay_alu instid0(VALU_DEP_1) | instskip(NEXT) | instid1(VALU_DEP_1)
	v_and_b32_e32 v19, 0x7f800000, v17
	v_cmp_ne_u32_e32 vcc_lo, 0x7f800000, v19
                                        ; implicit-def: $vgpr19
	s_and_saveexec_b32 s2, vcc_lo
	s_delay_alu instid0(SALU_CYCLE_1)
	s_xor_b32 s2, exec_lo, s2
; %bb.29:
	v_bfe_u32 v19, v17, 16, 1
	s_delay_alu instid0(VALU_DEP_1)
	v_add3_u32 v19, v17, v19, 0x7fff
                                        ; implicit-def: $vgpr17
; %bb.30:
	s_and_not1_saveexec_b32 s2, s2
; %bb.31:
	v_and_b32_e32 v19, 0xffff, v17
	v_or_b32_e32 v20, 0x10000, v17
	s_delay_alu instid0(VALU_DEP_2) | instskip(NEXT) | instid1(VALU_DEP_2)
	v_cmp_eq_u32_e32 vcc_lo, 0, v19
	v_cndmask_b32_e32 v19, v20, v17, vcc_lo
; %bb.32:
	s_or_b32 exec_lo, exec_lo, s2
	s_delay_alu instid0(VALU_DEP_1) | instskip(SKIP_2) | instid1(VALU_DEP_2)
	v_lshrrev_b32_e32 v17, 16, v19
	v_cmp_lt_u32_e32 vcc_lo, 7, v16
	s_mov_b32 s2, exec_lo
	v_cndmask_b32_e32 v16, v18, v17, vcc_lo
	v_cmpx_eq_u32_e32 15, v0
	s_cbranch_execz .LBB228_34
; %bb.33:
	v_mov_b32_e32 v17, 0
	ds_store_b16 v17, v16
.LBB228_34:
	s_or_b32 exec_lo, exec_lo, s2
	s_load_b32 s1, s[0:1], 0x8
	v_lshlrev_b32_e32 v16, 16, v16
	s_waitcnt vmcnt(0) lgkmcnt(0)
	s_waitcnt_vscnt null, 0x0
	; wave barrier
	s_waitcnt lgkmcnt(0)
	buffer_gl0_inv
	s_lshl_b32 s0, s1, 16
	s_delay_alu instid0(SALU_CYCLE_1) | instskip(NEXT) | instid1(VALU_DEP_1)
	v_add_f32_e32 v16, s0, v16
	v_and_b32_e32 v17, 0x7f800000, v16
	s_delay_alu instid0(VALU_DEP_1) | instskip(SKIP_1) | instid1(SALU_CYCLE_1)
	v_cmp_ne_u32_e32 vcc_lo, 0x7f800000, v17
                                        ; implicit-def: $vgpr17
	s_and_saveexec_b32 s0, vcc_lo
	s_xor_b32 s0, exec_lo, s0
; %bb.35:
	v_bfe_u32 v17, v16, 16, 1
	s_delay_alu instid0(VALU_DEP_1)
	v_add3_u32 v17, v16, v17, 0x7fff
                                        ; implicit-def: $vgpr16
; %bb.36:
	s_and_not1_saveexec_b32 s0, s0
; %bb.37:
	v_and_b32_e32 v17, 0xffff, v16
	v_or_b32_e32 v18, 0x10000, v16
	s_delay_alu instid0(VALU_DEP_2) | instskip(NEXT) | instid1(VALU_DEP_2)
	v_cmp_eq_u32_e32 vcc_lo, 0, v17
	v_cndmask_b32_e32 v17, v18, v16, vcc_lo
; %bb.38:
	s_or_b32 exec_lo, exec_lo, s0
	v_add_nc_u32_e32 v16, -1, v15
	v_and_b32_e32 v18, 16, v15
	s_delay_alu instid0(VALU_DEP_3) | instskip(SKIP_1) | instid1(VALU_DEP_3)
	v_lshrrev_b32_e32 v17, 16, v17
	v_cmp_eq_u32_e64 s0, 0, v0
	v_cmp_lt_i32_e32 vcc_lo, v16, v18
	v_cndmask_b32_e32 v16, v16, v15, vcc_lo
	v_cmp_eq_u32_e32 vcc_lo, 0, v15
	s_delay_alu instid0(VALU_DEP_2) | instskip(SKIP_4) | instid1(VALU_DEP_1)
	v_lshlrev_b32_e32 v16, 2, v16
	s_or_b32 s0, s0, vcc_lo
	ds_bpermute_b32 v16, v16, v17
	s_waitcnt lgkmcnt(0)
	v_cndmask_b32_e64 v0, v16, s1, s0
	v_lshlrev_b32_e32 v15, 16, v0
	s_delay_alu instid0(VALU_DEP_1) | instskip(NEXT) | instid1(VALU_DEP_1)
	v_add_f32_e32 v15, v14, v15
	v_and_b32_e32 v14, 0x7f800000, v15
	s_delay_alu instid0(VALU_DEP_1) | instskip(SKIP_1) | instid1(SALU_CYCLE_1)
	v_cmp_ne_u32_e32 vcc_lo, 0x7f800000, v14
                                        ; implicit-def: $vgpr14
	s_and_saveexec_b32 s0, vcc_lo
	s_xor_b32 s0, exec_lo, s0
; %bb.39:
	v_bfe_u32 v14, v15, 16, 1
	s_delay_alu instid0(VALU_DEP_1)
	v_add3_u32 v14, v15, v14, 0x7fff
                                        ; implicit-def: $vgpr15
; %bb.40:
	s_and_not1_saveexec_b32 s0, s0
; %bb.41:
	v_and_b32_e32 v14, 0xffff, v15
	v_or_b32_e32 v16, 0x10000, v15
	s_delay_alu instid0(VALU_DEP_2) | instskip(NEXT) | instid1(VALU_DEP_2)
	v_cmp_eq_u32_e32 vcc_lo, 0, v14
	v_cndmask_b32_e32 v14, v16, v15, vcc_lo
; %bb.42:
	s_or_b32 exec_lo, exec_lo, s0
	s_delay_alu instid0(VALU_DEP_1) | instskip(NEXT) | instid1(VALU_DEP_1)
	v_and_b32_e32 v15, 0xffff0000, v14
	v_add_f32_e32 v15, v15, v11
	s_delay_alu instid0(VALU_DEP_1) | instskip(NEXT) | instid1(VALU_DEP_1)
	v_and_b32_e32 v11, 0x7f800000, v15
	v_cmp_ne_u32_e32 vcc_lo, 0x7f800000, v11
                                        ; implicit-def: $vgpr11
	s_and_saveexec_b32 s0, vcc_lo
	s_delay_alu instid0(SALU_CYCLE_1)
	s_xor_b32 s0, exec_lo, s0
; %bb.43:
	v_bfe_u32 v11, v15, 16, 1
	s_delay_alu instid0(VALU_DEP_1)
	v_add3_u32 v11, v15, v11, 0x7fff
                                        ; implicit-def: $vgpr15
; %bb.44:
	s_and_not1_saveexec_b32 s0, s0
; %bb.45:
	v_and_b32_e32 v11, 0xffff, v15
	v_or_b32_e32 v16, 0x10000, v15
	s_delay_alu instid0(VALU_DEP_2) | instskip(NEXT) | instid1(VALU_DEP_2)
	v_cmp_eq_u32_e32 vcc_lo, 0, v11
	v_cndmask_b32_e32 v11, v16, v15, vcc_lo
; %bb.46:
	s_or_b32 exec_lo, exec_lo, s0
	s_delay_alu instid0(VALU_DEP_1) | instskip(NEXT) | instid1(VALU_DEP_1)
	v_and_b32_e32 v15, 0xffff0000, v11
	v_add_f32_e32 v15, v15, v12
	s_delay_alu instid0(VALU_DEP_1) | instskip(NEXT) | instid1(VALU_DEP_1)
	v_and_b32_e32 v12, 0x7f800000, v15
	v_cmp_ne_u32_e32 vcc_lo, 0x7f800000, v12
                                        ; implicit-def: $vgpr12
	s_and_saveexec_b32 s0, vcc_lo
	s_delay_alu instid0(SALU_CYCLE_1)
	s_xor_b32 s0, exec_lo, s0
; %bb.47:
	v_bfe_u32 v12, v15, 16, 1
	s_delay_alu instid0(VALU_DEP_1)
	v_add3_u32 v12, v15, v12, 0x7fff
                                        ; implicit-def: $vgpr15
; %bb.48:
	s_and_not1_saveexec_b32 s0, s0
; %bb.49:
	v_and_b32_e32 v12, 0xffff, v15
	v_or_b32_e32 v16, 0x10000, v15
	s_delay_alu instid0(VALU_DEP_2) | instskip(NEXT) | instid1(VALU_DEP_2)
	v_cmp_eq_u32_e32 vcc_lo, 0, v12
	v_cndmask_b32_e32 v12, v16, v15, vcc_lo
; %bb.50:
	s_or_b32 exec_lo, exec_lo, s0
	s_delay_alu instid0(VALU_DEP_1) | instskip(NEXT) | instid1(VALU_DEP_1)
	v_and_b32_e32 v15, 0xffff0000, v12
	v_add_f32_e32 v15, v15, v13
	s_delay_alu instid0(VALU_DEP_1) | instskip(NEXT) | instid1(VALU_DEP_1)
	v_and_b32_e32 v13, 0x7f800000, v15
	v_cmp_ne_u32_e32 vcc_lo, 0x7f800000, v13
                                        ; implicit-def: $vgpr13
	s_and_saveexec_b32 s0, vcc_lo
	s_delay_alu instid0(SALU_CYCLE_1)
	s_xor_b32 s0, exec_lo, s0
; %bb.51:
	v_bfe_u32 v13, v15, 16, 1
	s_delay_alu instid0(VALU_DEP_1)
	v_add3_u32 v13, v15, v13, 0x7fff
                                        ; implicit-def: $vgpr15
; %bb.52:
	s_and_not1_saveexec_b32 s0, s0
; %bb.53:
	v_and_b32_e32 v13, 0xffff, v15
	v_or_b32_e32 v16, 0x10000, v15
	s_delay_alu instid0(VALU_DEP_2) | instskip(NEXT) | instid1(VALU_DEP_2)
	v_cmp_eq_u32_e32 vcc_lo, 0, v13
	v_cndmask_b32_e32 v13, v16, v15, vcc_lo
; %bb.54:
	s_or_b32 exec_lo, exec_lo, s0
	s_clause 0x4
	global_store_b16 v[3:4], v0, off
	global_store_d16_hi_b16 v[7:8], v14, off
	global_store_d16_hi_b16 v[9:10], v11, off
	;; [unrolled: 1-line block ×4, first 2 shown]
	s_nop 0
	s_sendmsg sendmsg(MSG_DEALLOC_VGPRS)
	s_endpgm
	.section	.rodata,"a",@progbits
	.p2align	6, 0x0
	.amdhsa_kernel _Z27exclusive_scan_array_kernelILj16ELj5ELN6hipcub18BlockScanAlgorithmE1E12hip_bfloat16EvPT2_S3_
		.amdhsa_group_segment_fixed_size 2
		.amdhsa_private_segment_fixed_size 0
		.amdhsa_kernarg_size 12
		.amdhsa_user_sgpr_count 15
		.amdhsa_user_sgpr_dispatch_ptr 0
		.amdhsa_user_sgpr_queue_ptr 0
		.amdhsa_user_sgpr_kernarg_segment_ptr 1
		.amdhsa_user_sgpr_dispatch_id 0
		.amdhsa_user_sgpr_private_segment_size 0
		.amdhsa_wavefront_size32 1
		.amdhsa_uses_dynamic_stack 0
		.amdhsa_enable_private_segment 0
		.amdhsa_system_sgpr_workgroup_id_x 1
		.amdhsa_system_sgpr_workgroup_id_y 0
		.amdhsa_system_sgpr_workgroup_id_z 0
		.amdhsa_system_sgpr_workgroup_info 0
		.amdhsa_system_vgpr_workitem_id 0
		.amdhsa_next_free_vgpr 22
		.amdhsa_next_free_sgpr 16
		.amdhsa_reserve_vcc 1
		.amdhsa_float_round_mode_32 0
		.amdhsa_float_round_mode_16_64 0
		.amdhsa_float_denorm_mode_32 3
		.amdhsa_float_denorm_mode_16_64 3
		.amdhsa_dx10_clamp 1
		.amdhsa_ieee_mode 1
		.amdhsa_fp16_overflow 0
		.amdhsa_workgroup_processor_mode 1
		.amdhsa_memory_ordered 1
		.amdhsa_forward_progress 0
		.amdhsa_shared_vgpr_count 0
		.amdhsa_exception_fp_ieee_invalid_op 0
		.amdhsa_exception_fp_denorm_src 0
		.amdhsa_exception_fp_ieee_div_zero 0
		.amdhsa_exception_fp_ieee_overflow 0
		.amdhsa_exception_fp_ieee_underflow 0
		.amdhsa_exception_fp_ieee_inexact 0
		.amdhsa_exception_int_div_zero 0
	.end_amdhsa_kernel
	.section	.text._Z27exclusive_scan_array_kernelILj16ELj5ELN6hipcub18BlockScanAlgorithmE1E12hip_bfloat16EvPT2_S3_,"axG",@progbits,_Z27exclusive_scan_array_kernelILj16ELj5ELN6hipcub18BlockScanAlgorithmE1E12hip_bfloat16EvPT2_S3_,comdat
.Lfunc_end228:
	.size	_Z27exclusive_scan_array_kernelILj16ELj5ELN6hipcub18BlockScanAlgorithmE1E12hip_bfloat16EvPT2_S3_, .Lfunc_end228-_Z27exclusive_scan_array_kernelILj16ELj5ELN6hipcub18BlockScanAlgorithmE1E12hip_bfloat16EvPT2_S3_
                                        ; -- End function
	.section	.AMDGPU.csdata,"",@progbits
; Kernel info:
; codeLenInByte = 1968
; NumSgprs: 18
; NumVgprs: 22
; ScratchSize: 0
; MemoryBound: 0
; FloatMode: 240
; IeeeMode: 1
; LDSByteSize: 2 bytes/workgroup (compile time only)
; SGPRBlocks: 2
; VGPRBlocks: 2
; NumSGPRsForWavesPerEU: 18
; NumVGPRsForWavesPerEU: 22
; Occupancy: 16
; WaveLimiterHint : 0
; COMPUTE_PGM_RSRC2:SCRATCH_EN: 0
; COMPUTE_PGM_RSRC2:USER_SGPR: 15
; COMPUTE_PGM_RSRC2:TRAP_HANDLER: 0
; COMPUTE_PGM_RSRC2:TGID_X_EN: 1
; COMPUTE_PGM_RSRC2:TGID_Y_EN: 0
; COMPUTE_PGM_RSRC2:TGID_Z_EN: 0
; COMPUTE_PGM_RSRC2:TIDIG_COMP_CNT: 0
	.section	.text._Z27exclusive_scan_array_kernelILj65ELj5ELN6hipcub18BlockScanAlgorithmE1E6__halfEvPT2_S3_,"axG",@progbits,_Z27exclusive_scan_array_kernelILj65ELj5ELN6hipcub18BlockScanAlgorithmE1E6__halfEvPT2_S3_,comdat
	.protected	_Z27exclusive_scan_array_kernelILj65ELj5ELN6hipcub18BlockScanAlgorithmE1E6__halfEvPT2_S3_ ; -- Begin function _Z27exclusive_scan_array_kernelILj65ELj5ELN6hipcub18BlockScanAlgorithmE1E6__halfEvPT2_S3_
	.globl	_Z27exclusive_scan_array_kernelILj65ELj5ELN6hipcub18BlockScanAlgorithmE1E6__halfEvPT2_S3_
	.p2align	8
	.type	_Z27exclusive_scan_array_kernelILj65ELj5ELN6hipcub18BlockScanAlgorithmE1E6__halfEvPT2_S3_,@function
_Z27exclusive_scan_array_kernelILj65ELj5ELN6hipcub18BlockScanAlgorithmE1E6__halfEvPT2_S3_: ; @_Z27exclusive_scan_array_kernelILj65ELj5ELN6hipcub18BlockScanAlgorithmE1E6__halfEvPT2_S3_
; %bb.0:
	v_mad_u64_u32 v[1:2], null, 0x41, s15, v[0:1]
	s_clause 0x1
	s_load_b64 s[2:3], s[0:1], 0x0
	s_load_b32 s0, s[0:1], 0x8
	s_mov_b32 s1, exec_lo
	s_delay_alu instid0(VALU_DEP_1) | instskip(NEXT) | instid1(VALU_DEP_1)
	v_lshl_add_u32 v1, v1, 2, v1
	v_dual_mov_b32 v2, 0 :: v_dual_add_nc_u32 v3, 1, v1
	s_delay_alu instid0(VALU_DEP_1) | instskip(SKIP_3) | instid1(VALU_DEP_4)
	v_dual_mov_b32 v4, v2 :: v_dual_add_nc_u32 v5, 2, v1
	v_lshlrev_b64 v[9:10], 1, v[1:2]
	v_dual_mov_b32 v6, v2 :: v_dual_add_nc_u32 v7, 3, v1
	v_dual_mov_b32 v8, v2 :: v_dual_add_nc_u32 v1, 4, v1
	v_lshlrev_b64 v[3:4], 1, v[3:4]
	s_delay_alu instid0(VALU_DEP_3) | instskip(NEXT) | instid1(VALU_DEP_3)
	v_lshlrev_b64 v[5:6], 1, v[5:6]
	v_lshlrev_b64 v[7:8], 1, v[7:8]
	s_delay_alu instid0(VALU_DEP_4)
	v_lshlrev_b64 v[14:15], 1, v[1:2]
	s_waitcnt lgkmcnt(0)
	v_add_co_u32 v1, vcc_lo, s2, v9
	v_add_co_ci_u32_e32 v2, vcc_lo, s3, v10, vcc_lo
	v_add_co_u32 v3, vcc_lo, s2, v3
	v_add_co_ci_u32_e32 v4, vcc_lo, s3, v4, vcc_lo
	;; [unrolled: 2-line block ×3, first 2 shown]
	s_clause 0x1
	global_load_u16 v11, v[1:2], off
	global_load_u16 v12, v[3:4], off
	v_add_co_u32 v7, vcc_lo, s2, v7
	v_add_co_ci_u32_e32 v8, vcc_lo, s3, v8, vcc_lo
	global_load_u16 v13, v[5:6], off
	v_add_co_u32 v9, vcc_lo, s2, v14
	v_add_co_ci_u32_e32 v10, vcc_lo, s3, v15, vcc_lo
	s_clause 0x1
	global_load_u16 v14, v[7:8], off
	global_load_u16 v16, v[9:10], off
	s_waitcnt vmcnt(3)
	v_add_f16_e32 v15, v11, v12
	s_waitcnt vmcnt(2)
	s_delay_alu instid0(VALU_DEP_1) | instskip(SKIP_1) | instid1(VALU_DEP_1)
	v_add_f16_e32 v15, v15, v13
	s_waitcnt vmcnt(1)
	v_add_f16_e32 v17, v15, v14
	v_lshlrev_b32_e32 v15, 1, v0
	s_waitcnt vmcnt(0)
	s_delay_alu instid0(VALU_DEP_2)
	v_add_f16_e32 v16, v17, v16
	ds_store_b16 v15, v16
	s_waitcnt lgkmcnt(0)
	s_barrier
	buffer_gl0_inv
	v_cmpx_gt_u32_e32 32, v0
	s_cbranch_execz .LBB229_2
; %bb.1:
	v_mul_u32_u24_e32 v17, 3, v0
	v_mbcnt_lo_u32_b32 v23, -1, 0
	s_delay_alu instid0(VALU_DEP_1) | instskip(NEXT) | instid1(VALU_DEP_3)
	v_add_nc_u32_e32 v25, -1, v23
	v_lshlrev_b32_e32 v17, 1, v17
	ds_load_u16 v18, v17
	ds_load_u16 v19, v17 offset:2
	ds_load_u16 v20, v17 offset:4
	s_waitcnt lgkmcnt(1)
	v_add_f16_e32 v21, v18, v19
	s_waitcnt lgkmcnt(0)
	s_delay_alu instid0(VALU_DEP_1) | instskip(NEXT) | instid1(VALU_DEP_1)
	v_add_f16_e32 v21, v21, v20
	v_and_b32_e32 v22, 0xffff, v21
	s_delay_alu instid0(VALU_DEP_1) | instskip(NEXT) | instid1(VALU_DEP_1)
	v_mov_b32_dpp v22, v22 row_shr:1 row_mask:0xf bank_mask:0xf
	v_add_f16_e32 v22, v21, v22
	v_and_b32_e32 v24, 15, v23
	s_delay_alu instid0(VALU_DEP_1) | instskip(NEXT) | instid1(VALU_DEP_3)
	v_cmp_eq_u32_e32 vcc_lo, 0, v24
	v_cndmask_b32_e32 v21, v22, v21, vcc_lo
	v_cmp_lt_u32_e32 vcc_lo, 1, v24
	s_delay_alu instid0(VALU_DEP_2) | instskip(NEXT) | instid1(VALU_DEP_1)
	v_and_b32_e32 v22, 0xffff, v21
	v_mov_b32_dpp v22, v22 row_shr:2 row_mask:0xf bank_mask:0xf
	s_delay_alu instid0(VALU_DEP_1) | instskip(NEXT) | instid1(VALU_DEP_1)
	v_add_f16_e32 v22, v21, v22
	v_cndmask_b32_e32 v21, v21, v22, vcc_lo
	v_cmp_lt_u32_e32 vcc_lo, 3, v24
	s_delay_alu instid0(VALU_DEP_2) | instskip(NEXT) | instid1(VALU_DEP_1)
	v_and_b32_e32 v22, 0xffff, v21
	v_mov_b32_dpp v22, v22 row_shr:4 row_mask:0xf bank_mask:0xf
	s_delay_alu instid0(VALU_DEP_1) | instskip(NEXT) | instid1(VALU_DEP_1)
	v_add_f16_e32 v22, v21, v22
	v_cndmask_b32_e32 v21, v21, v22, vcc_lo
	v_cmp_lt_u32_e32 vcc_lo, 7, v24
	v_and_b32_e32 v24, 16, v23
	s_delay_alu instid0(VALU_DEP_3) | instskip(NEXT) | instid1(VALU_DEP_1)
	v_and_b32_e32 v22, 0xffff, v21
	v_mov_b32_dpp v22, v22 row_shr:8 row_mask:0xf bank_mask:0xf
	s_delay_alu instid0(VALU_DEP_1) | instskip(NEXT) | instid1(VALU_DEP_1)
	v_add_f16_e32 v22, v21, v22
	v_cndmask_b32_e32 v21, v21, v22, vcc_lo
	v_cmp_eq_u32_e32 vcc_lo, 0, v24
	s_delay_alu instid0(VALU_DEP_2) | instskip(SKIP_3) | instid1(VALU_DEP_1)
	v_and_b32_e32 v22, 0xffff, v21
	ds_swizzle_b32 v22, v22 offset:swizzle(BROADCAST,32,15)
	s_waitcnt lgkmcnt(0)
	v_add_f16_e32 v22, v21, v22
	v_cndmask_b32_e32 v21, v22, v21, vcc_lo
	v_cmp_gt_i32_e32 vcc_lo, 0, v25
	v_cndmask_b32_e32 v22, v25, v23, vcc_lo
	v_cmp_eq_u32_e32 vcc_lo, 0, v0
	s_delay_alu instid0(VALU_DEP_2) | instskip(SKIP_4) | instid1(VALU_DEP_1)
	v_lshlrev_b32_e32 v22, 2, v22
	v_and_b32_e32 v21, 0xffff, v21
	ds_bpermute_b32 v21, v22, v21
	s_waitcnt lgkmcnt(0)
	v_add_f16_e32 v18, v18, v21
	v_cndmask_b32_e32 v16, v18, v16, vcc_lo
	s_delay_alu instid0(VALU_DEP_1) | instskip(NEXT) | instid1(VALU_DEP_1)
	v_add_f16_e32 v18, v19, v16
	v_add_f16_e32 v19, v20, v18
	ds_store_b16 v17, v16
	ds_store_b16 v17, v18 offset:2
	ds_store_b16 v17, v19 offset:4
.LBB229_2:
	s_or_b32 exec_lo, exec_lo, s1
	v_cmp_ne_u32_e32 vcc_lo, 0, v0
	v_mov_b32_e32 v0, s0
	s_waitcnt lgkmcnt(0)
	s_barrier
	buffer_gl0_inv
	s_and_saveexec_b32 s1, vcc_lo
	s_cbranch_execz .LBB229_4
; %bb.3:
	v_add_nc_u32_e32 v0, -2, v15
	ds_load_u16 v0, v0
	s_waitcnt lgkmcnt(0)
	v_add_f16_e32 v0, s0, v0
.LBB229_4:
	s_or_b32 exec_lo, exec_lo, s1
	s_delay_alu instid0(VALU_DEP_1) | instskip(NEXT) | instid1(VALU_DEP_1)
	v_add_f16_e32 v11, v11, v0
	v_add_f16_e32 v12, v11, v12
	s_delay_alu instid0(VALU_DEP_1) | instskip(NEXT) | instid1(VALU_DEP_1)
	v_add_f16_e32 v13, v12, v13
	v_add_f16_e32 v14, v13, v14
	s_clause 0x4
	global_store_b16 v[1:2], v0, off
	global_store_b16 v[3:4], v11, off
	;; [unrolled: 1-line block ×5, first 2 shown]
	s_nop 0
	s_sendmsg sendmsg(MSG_DEALLOC_VGPRS)
	s_endpgm
	.section	.rodata,"a",@progbits
	.p2align	6, 0x0
	.amdhsa_kernel _Z27exclusive_scan_array_kernelILj65ELj5ELN6hipcub18BlockScanAlgorithmE1E6__halfEvPT2_S3_
		.amdhsa_group_segment_fixed_size 192
		.amdhsa_private_segment_fixed_size 0
		.amdhsa_kernarg_size 12
		.amdhsa_user_sgpr_count 15
		.amdhsa_user_sgpr_dispatch_ptr 0
		.amdhsa_user_sgpr_queue_ptr 0
		.amdhsa_user_sgpr_kernarg_segment_ptr 1
		.amdhsa_user_sgpr_dispatch_id 0
		.amdhsa_user_sgpr_private_segment_size 0
		.amdhsa_wavefront_size32 1
		.amdhsa_uses_dynamic_stack 0
		.amdhsa_enable_private_segment 0
		.amdhsa_system_sgpr_workgroup_id_x 1
		.amdhsa_system_sgpr_workgroup_id_y 0
		.amdhsa_system_sgpr_workgroup_id_z 0
		.amdhsa_system_sgpr_workgroup_info 0
		.amdhsa_system_vgpr_workitem_id 0
		.amdhsa_next_free_vgpr 26
		.amdhsa_next_free_sgpr 16
		.amdhsa_reserve_vcc 1
		.amdhsa_float_round_mode_32 0
		.amdhsa_float_round_mode_16_64 0
		.amdhsa_float_denorm_mode_32 3
		.amdhsa_float_denorm_mode_16_64 3
		.amdhsa_dx10_clamp 1
		.amdhsa_ieee_mode 1
		.amdhsa_fp16_overflow 0
		.amdhsa_workgroup_processor_mode 1
		.amdhsa_memory_ordered 1
		.amdhsa_forward_progress 0
		.amdhsa_shared_vgpr_count 0
		.amdhsa_exception_fp_ieee_invalid_op 0
		.amdhsa_exception_fp_denorm_src 0
		.amdhsa_exception_fp_ieee_div_zero 0
		.amdhsa_exception_fp_ieee_overflow 0
		.amdhsa_exception_fp_ieee_underflow 0
		.amdhsa_exception_fp_ieee_inexact 0
		.amdhsa_exception_int_div_zero 0
	.end_amdhsa_kernel
	.section	.text._Z27exclusive_scan_array_kernelILj65ELj5ELN6hipcub18BlockScanAlgorithmE1E6__halfEvPT2_S3_,"axG",@progbits,_Z27exclusive_scan_array_kernelILj65ELj5ELN6hipcub18BlockScanAlgorithmE1E6__halfEvPT2_S3_,comdat
.Lfunc_end229:
	.size	_Z27exclusive_scan_array_kernelILj65ELj5ELN6hipcub18BlockScanAlgorithmE1E6__halfEvPT2_S3_, .Lfunc_end229-_Z27exclusive_scan_array_kernelILj65ELj5ELN6hipcub18BlockScanAlgorithmE1E6__halfEvPT2_S3_
                                        ; -- End function
	.section	.AMDGPU.csdata,"",@progbits
; Kernel info:
; codeLenInByte = 800
; NumSgprs: 18
; NumVgprs: 26
; ScratchSize: 0
; MemoryBound: 0
; FloatMode: 240
; IeeeMode: 1
; LDSByteSize: 192 bytes/workgroup (compile time only)
; SGPRBlocks: 2
; VGPRBlocks: 3
; NumSGPRsForWavesPerEU: 18
; NumVGPRsForWavesPerEU: 26
; Occupancy: 16
; WaveLimiterHint : 0
; COMPUTE_PGM_RSRC2:SCRATCH_EN: 0
; COMPUTE_PGM_RSRC2:USER_SGPR: 15
; COMPUTE_PGM_RSRC2:TRAP_HANDLER: 0
; COMPUTE_PGM_RSRC2:TGID_X_EN: 1
; COMPUTE_PGM_RSRC2:TGID_Y_EN: 0
; COMPUTE_PGM_RSRC2:TGID_Z_EN: 0
; COMPUTE_PGM_RSRC2:TIDIG_COMP_CNT: 0
	.section	.text._Z27exclusive_scan_array_kernelILj255ELj15ELN6hipcub18BlockScanAlgorithmE1EfEvPT2_S2_,"axG",@progbits,_Z27exclusive_scan_array_kernelILj255ELj15ELN6hipcub18BlockScanAlgorithmE1EfEvPT2_S2_,comdat
	.protected	_Z27exclusive_scan_array_kernelILj255ELj15ELN6hipcub18BlockScanAlgorithmE1EfEvPT2_S2_ ; -- Begin function _Z27exclusive_scan_array_kernelILj255ELj15ELN6hipcub18BlockScanAlgorithmE1EfEvPT2_S2_
	.globl	_Z27exclusive_scan_array_kernelILj255ELj15ELN6hipcub18BlockScanAlgorithmE1EfEvPT2_S2_
	.p2align	8
	.type	_Z27exclusive_scan_array_kernelILj255ELj15ELN6hipcub18BlockScanAlgorithmE1EfEvPT2_S2_,@function
_Z27exclusive_scan_array_kernelILj255ELj15ELN6hipcub18BlockScanAlgorithmE1EfEvPT2_S2_: ; @_Z27exclusive_scan_array_kernelILj255ELj15ELN6hipcub18BlockScanAlgorithmE1EfEvPT2_S2_
; %bb.0:
	v_mad_u64_u32 v[1:2], null, 0xff, s15, v[0:1]
	s_load_b64 s[2:3], s[0:1], 0x0
	v_lshrrev_b32_e32 v47, 5, v0
	s_delay_alu instid0(VALU_DEP_1) | instskip(NEXT) | instid1(VALU_DEP_3)
	v_add_lshl_u32 v47, v47, v0, 2
	v_mul_lo_u32 v27, v1, 15
	s_delay_alu instid0(VALU_DEP_1) | instskip(NEXT) | instid1(VALU_DEP_1)
	v_dual_mov_b32 v28, 0 :: v_dual_add_nc_u32 v1, 1, v27
	v_dual_mov_b32 v2, v28 :: v_dual_add_nc_u32 v3, 2, v27
	v_lshlrev_b64 v[9:10], 2, v[27:28]
	v_dual_mov_b32 v4, v28 :: v_dual_add_nc_u32 v5, 3, v27
	s_delay_alu instid0(VALU_DEP_3) | instskip(SKIP_1) | instid1(VALU_DEP_3)
	v_lshlrev_b64 v[11:12], 2, v[1:2]
	v_dual_mov_b32 v6, v28 :: v_dual_add_nc_u32 v7, 4, v27
	v_lshlrev_b64 v[13:14], 2, v[3:4]
	s_waitcnt lgkmcnt(0)
	v_add_co_u32 v1, vcc_lo, s2, v9
	v_mov_b32_e32 v8, v28
	v_add_co_ci_u32_e32 v2, vcc_lo, s3, v10, vcc_lo
	v_lshlrev_b64 v[15:16], 2, v[5:6]
	v_add_co_u32 v3, vcc_lo, s2, v11
	v_add_nc_u32_e32 v11, 5, v27
	v_add_co_ci_u32_e32 v4, vcc_lo, s3, v12, vcc_lo
	v_lshlrev_b64 v[17:18], 2, v[7:8]
	v_add_co_u32 v5, vcc_lo, s2, v13
	v_add_co_ci_u32_e32 v6, vcc_lo, s3, v14, vcc_lo
	v_add_co_u32 v7, vcc_lo, s2, v15
	v_add_co_ci_u32_e32 v8, vcc_lo, s3, v16, vcc_lo
	v_add_co_u32 v9, vcc_lo, s2, v17
	v_dual_mov_b32 v12, v28 :: v_dual_add_nc_u32 v13, 6, v27
	v_add_co_ci_u32_e32 v10, vcc_lo, s3, v18, vcc_lo
	s_clause 0x4
	global_load_b32 v31, v[1:2], off
	global_load_b32 v32, v[3:4], off
	global_load_b32 v33, v[5:6], off
	global_load_b32 v34, v[7:8], off
	global_load_b32 v35, v[9:10], off
	v_dual_mov_b32 v14, v28 :: v_dual_add_nc_u32 v15, 7, v27
	v_lshlrev_b64 v[11:12], 2, v[11:12]
	v_dual_mov_b32 v16, v28 :: v_dual_add_nc_u32 v17, 8, v27
	s_delay_alu instid0(VALU_DEP_3) | instskip(SKIP_1) | instid1(VALU_DEP_4)
	v_lshlrev_b64 v[13:14], 2, v[13:14]
	v_dual_mov_b32 v18, v28 :: v_dual_add_nc_u32 v19, 9, v27
	v_add_co_u32 v11, vcc_lo, s2, v11
	s_delay_alu instid0(VALU_DEP_4)
	v_lshlrev_b64 v[15:16], 2, v[15:16]
	v_add_co_ci_u32_e32 v12, vcc_lo, s3, v12, vcc_lo
	v_add_co_u32 v13, vcc_lo, s2, v13
	v_add_co_ci_u32_e32 v14, vcc_lo, s3, v14, vcc_lo
	v_dual_mov_b32 v20, v28 :: v_dual_add_nc_u32 v21, 10, v27
	v_add_co_u32 v15, vcc_lo, s2, v15
	global_load_b32 v36, v[11:12], off
	v_lshlrev_b64 v[17:18], 2, v[17:18]
	v_add_co_ci_u32_e32 v16, vcc_lo, s3, v16, vcc_lo
	v_lshlrev_b64 v[19:20], 2, v[19:20]
	s_clause 0x1
	global_load_b32 v37, v[13:14], off
	global_load_b32 v38, v[15:16], off
	v_add_co_u32 v17, vcc_lo, s2, v17
	v_dual_mov_b32 v22, v28 :: v_dual_add_nc_u32 v23, 11, v27
	v_add_co_ci_u32_e32 v18, vcc_lo, s3, v18, vcc_lo
	v_add_co_u32 v19, vcc_lo, s2, v19
	v_dual_mov_b32 v24, v28 :: v_dual_add_nc_u32 v25, 12, v27
	v_add_co_ci_u32_e32 v20, vcc_lo, s3, v20, vcc_lo
	v_lshlrev_b64 v[21:22], 2, v[21:22]
	v_dual_mov_b32 v26, v28 :: v_dual_add_nc_u32 v29, 13, v27
	s_clause 0x1
	global_load_b32 v39, v[17:18], off
	global_load_b32 v40, v[19:20], off
	v_lshlrev_b64 v[23:24], 2, v[23:24]
	v_dual_mov_b32 v30, v28 :: v_dual_add_nc_u32 v27, 14, v27
	v_add_co_u32 v21, vcc_lo, s2, v21
	v_lshlrev_b64 v[25:26], 2, v[25:26]
	v_add_co_ci_u32_e32 v22, vcc_lo, s3, v22, vcc_lo
	v_add_co_u32 v23, vcc_lo, s2, v23
	v_add_co_ci_u32_e32 v24, vcc_lo, s3, v24, vcc_lo
	s_delay_alu instid0(VALU_DEP_4)
	v_add_co_u32 v25, vcc_lo, s2, v25
	global_load_b32 v41, v[21:22], off
	v_lshlrev_b64 v[29:30], 2, v[29:30]
	v_add_co_ci_u32_e32 v26, vcc_lo, s3, v26, vcc_lo
	v_lshlrev_b64 v[45:46], 2, v[27:28]
	s_clause 0x1
	global_load_b32 v43, v[23:24], off
	global_load_b32 v44, v[25:26], off
	v_add_co_u32 v27, vcc_lo, s2, v29
	v_add_co_ci_u32_e32 v28, vcc_lo, s3, v30, vcc_lo
	v_add_co_u32 v29, vcc_lo, s2, v45
	v_add_co_ci_u32_e32 v30, vcc_lo, s3, v46, vcc_lo
	s_clause 0x1
	global_load_b32 v42, v[27:28], off
	global_load_b32 v45, v[29:30], off
	s_mov_b32 s2, exec_lo
	s_waitcnt vmcnt(13)
	v_add_f32_e32 v46, v31, v32
	s_waitcnt vmcnt(12)
	s_delay_alu instid0(VALU_DEP_1) | instskip(SKIP_1) | instid1(VALU_DEP_1)
	v_add_f32_e32 v46, v33, v46
	s_waitcnt vmcnt(11)
	v_add_f32_e32 v46, v34, v46
	s_waitcnt vmcnt(10)
	s_delay_alu instid0(VALU_DEP_1) | instskip(SKIP_1) | instid1(VALU_DEP_1)
	v_add_f32_e32 v46, v35, v46
	;; [unrolled: 5-line block ×6, first 2 shown]
	s_waitcnt vmcnt(1)
	v_add_f32_e32 v46, v42, v46
	s_waitcnt vmcnt(0)
	s_delay_alu instid0(VALU_DEP_1)
	v_add_f32_e32 v45, v45, v46
	ds_store_b32 v47, v45
	s_waitcnt lgkmcnt(0)
	s_barrier
	buffer_gl0_inv
	v_cmpx_gt_u32_e32 32, v0
	s_cbranch_execz .LBB230_2
; %bb.1:
	v_and_b32_e32 v46, 0xfc, v0
	v_mbcnt_lo_u32_b32 v56, -1, 0
	s_delay_alu instid0(VALU_DEP_2)
	v_lshl_or_b32 v54, v0, 5, v46
	ds_load_2addr_b32 v[46:47], v54 offset1:1
	ds_load_2addr_b32 v[48:49], v54 offset0:2 offset1:3
	ds_load_2addr_b32 v[50:51], v54 offset0:4 offset1:5
	;; [unrolled: 1-line block ×3, first 2 shown]
	v_and_b32_e32 v59, 16, v56
	v_and_b32_e32 v58, 15, v56
	s_delay_alu instid0(VALU_DEP_1) | instskip(SKIP_3) | instid1(VALU_DEP_1)
	v_cmp_eq_u32_e32 vcc_lo, 0, v58
	s_waitcnt lgkmcnt(3)
	v_add_f32_e32 v55, v46, v47
	s_waitcnt lgkmcnt(2)
	v_add_f32_e32 v55, v55, v48
	s_delay_alu instid0(VALU_DEP_1) | instskip(SKIP_1) | instid1(VALU_DEP_1)
	v_add_f32_e32 v55, v55, v49
	s_waitcnt lgkmcnt(1)
	v_add_f32_e32 v55, v55, v50
	s_delay_alu instid0(VALU_DEP_1) | instskip(SKIP_1) | instid1(VALU_DEP_1)
	v_add_f32_e32 v55, v55, v51
	s_waitcnt lgkmcnt(0)
	v_add_f32_e32 v55, v55, v52
	s_delay_alu instid0(VALU_DEP_1) | instskip(NEXT) | instid1(VALU_DEP_1)
	v_add_f32_e32 v55, v55, v53
	v_mov_b32_dpp v57, v55 row_shr:1 row_mask:0xf bank_mask:0xf
	s_delay_alu instid0(VALU_DEP_1) | instskip(NEXT) | instid1(VALU_DEP_1)
	v_add_f32_e32 v57, v55, v57
	v_cndmask_b32_e32 v55, v57, v55, vcc_lo
	v_cmp_lt_u32_e32 vcc_lo, 1, v58
	s_delay_alu instid0(VALU_DEP_2) | instskip(NEXT) | instid1(VALU_DEP_1)
	v_mov_b32_dpp v57, v55 row_shr:2 row_mask:0xf bank_mask:0xf
	v_add_f32_e32 v57, v55, v57
	s_delay_alu instid0(VALU_DEP_1) | instskip(SKIP_1) | instid1(VALU_DEP_2)
	v_cndmask_b32_e32 v55, v55, v57, vcc_lo
	v_cmp_lt_u32_e32 vcc_lo, 3, v58
	v_mov_b32_dpp v57, v55 row_shr:4 row_mask:0xf bank_mask:0xf
	s_delay_alu instid0(VALU_DEP_1) | instskip(NEXT) | instid1(VALU_DEP_1)
	v_add_f32_e32 v57, v55, v57
	v_cndmask_b32_e32 v55, v55, v57, vcc_lo
	v_cmp_lt_u32_e32 vcc_lo, 7, v58
	v_add_nc_u32_e32 v58, -1, v56
	s_delay_alu instid0(VALU_DEP_3) | instskip(NEXT) | instid1(VALU_DEP_1)
	v_mov_b32_dpp v57, v55 row_shr:8 row_mask:0xf bank_mask:0xf
	v_add_f32_e32 v57, v55, v57
	s_delay_alu instid0(VALU_DEP_1) | instskip(NEXT) | instid1(VALU_DEP_4)
	v_cndmask_b32_e32 v55, v55, v57, vcc_lo
	v_cmp_gt_i32_e32 vcc_lo, 0, v58
	ds_swizzle_b32 v57, v55 offset:swizzle(BROADCAST,32,15)
	v_cndmask_b32_e32 v56, v58, v56, vcc_lo
	v_cmp_eq_u32_e32 vcc_lo, 0, v59
	s_waitcnt lgkmcnt(0)
	s_delay_alu instid0(VALU_DEP_2) | instskip(NEXT) | instid1(VALU_DEP_1)
	v_dual_add_f32 v57, v55, v57 :: v_dual_lshlrev_b32 v56, 2, v56
	v_cndmask_b32_e32 v55, v57, v55, vcc_lo
	v_cmp_eq_u32_e32 vcc_lo, 0, v0
	ds_bpermute_b32 v55, v56, v55
	s_waitcnt lgkmcnt(0)
	v_add_f32_e32 v46, v46, v55
	s_delay_alu instid0(VALU_DEP_1) | instskip(NEXT) | instid1(VALU_DEP_1)
	v_cndmask_b32_e32 v45, v46, v45, vcc_lo
	v_add_f32_e32 v46, v47, v45
	s_delay_alu instid0(VALU_DEP_1) | instskip(NEXT) | instid1(VALU_DEP_1)
	v_add_f32_e32 v47, v48, v46
	v_add_f32_e32 v48, v49, v47
	s_delay_alu instid0(VALU_DEP_1) | instskip(NEXT) | instid1(VALU_DEP_1)
	v_add_f32_e32 v49, v50, v48
	;; [unrolled: 3-line block ×3, first 2 shown]
	v_add_f32_e32 v52, v53, v51
	ds_store_2addr_b32 v54, v45, v46 offset1:1
	ds_store_2addr_b32 v54, v47, v48 offset0:2 offset1:3
	ds_store_2addr_b32 v54, v49, v50 offset0:4 offset1:5
	ds_store_2addr_b32 v54, v51, v52 offset0:6 offset1:7
.LBB230_2:
	s_or_b32 exec_lo, exec_lo, s2
	s_load_b32 s0, s[0:1], 0x8
	s_mov_b32 s1, exec_lo
	s_waitcnt lgkmcnt(0)
	s_barrier
	buffer_gl0_inv
	v_mov_b32_e32 v45, s0
	v_cmpx_ne_u32_e32 0, v0
	s_cbranch_execz .LBB230_4
; %bb.3:
	v_add_nc_u32_e32 v0, -1, v0
	s_delay_alu instid0(VALU_DEP_1) | instskip(NEXT) | instid1(VALU_DEP_1)
	v_lshrrev_b32_e32 v45, 5, v0
	v_add_lshl_u32 v0, v45, v0, 2
	ds_load_b32 v0, v0
	s_waitcnt lgkmcnt(0)
	v_add_f32_e32 v45, s0, v0
.LBB230_4:
	s_or_b32 exec_lo, exec_lo, s1
	s_delay_alu instid0(VALU_DEP_1) | instskip(NEXT) | instid1(VALU_DEP_1)
	v_add_f32_e32 v0, v31, v45
	v_add_f32_e32 v31, v32, v0
	s_delay_alu instid0(VALU_DEP_1) | instskip(NEXT) | instid1(VALU_DEP_1)
	v_add_f32_e32 v32, v33, v31
	v_add_f32_e32 v33, v34, v32
	;; [unrolled: 3-line block ×5, first 2 shown]
	s_clause 0x7
	global_store_b32 v[1:2], v45, off
	global_store_b32 v[3:4], v0, off
	;; [unrolled: 1-line block ×8, first 2 shown]
	v_add_f32_e32 v40, v41, v39
	s_delay_alu instid0(VALU_DEP_1) | instskip(NEXT) | instid1(VALU_DEP_1)
	v_add_f32_e32 v41, v43, v40
	v_add_f32_e32 v43, v44, v41
	s_delay_alu instid0(VALU_DEP_1)
	v_add_f32_e32 v0, v42, v43
	s_clause 0x6
	global_store_b32 v[17:18], v37, off
	global_store_b32 v[19:20], v38, off
	;; [unrolled: 1-line block ×7, first 2 shown]
	s_nop 0
	s_sendmsg sendmsg(MSG_DEALLOC_VGPRS)
	s_endpgm
	.section	.rodata,"a",@progbits
	.p2align	6, 0x0
	.amdhsa_kernel _Z27exclusive_scan_array_kernelILj255ELj15ELN6hipcub18BlockScanAlgorithmE1EfEvPT2_S2_
		.amdhsa_group_segment_fixed_size 1056
		.amdhsa_private_segment_fixed_size 0
		.amdhsa_kernarg_size 12
		.amdhsa_user_sgpr_count 15
		.amdhsa_user_sgpr_dispatch_ptr 0
		.amdhsa_user_sgpr_queue_ptr 0
		.amdhsa_user_sgpr_kernarg_segment_ptr 1
		.amdhsa_user_sgpr_dispatch_id 0
		.amdhsa_user_sgpr_private_segment_size 0
		.amdhsa_wavefront_size32 1
		.amdhsa_uses_dynamic_stack 0
		.amdhsa_enable_private_segment 0
		.amdhsa_system_sgpr_workgroup_id_x 1
		.amdhsa_system_sgpr_workgroup_id_y 0
		.amdhsa_system_sgpr_workgroup_id_z 0
		.amdhsa_system_sgpr_workgroup_info 0
		.amdhsa_system_vgpr_workitem_id 0
		.amdhsa_next_free_vgpr 60
		.amdhsa_next_free_sgpr 16
		.amdhsa_reserve_vcc 1
		.amdhsa_float_round_mode_32 0
		.amdhsa_float_round_mode_16_64 0
		.amdhsa_float_denorm_mode_32 3
		.amdhsa_float_denorm_mode_16_64 3
		.amdhsa_dx10_clamp 1
		.amdhsa_ieee_mode 1
		.amdhsa_fp16_overflow 0
		.amdhsa_workgroup_processor_mode 1
		.amdhsa_memory_ordered 1
		.amdhsa_forward_progress 0
		.amdhsa_shared_vgpr_count 0
		.amdhsa_exception_fp_ieee_invalid_op 0
		.amdhsa_exception_fp_denorm_src 0
		.amdhsa_exception_fp_ieee_div_zero 0
		.amdhsa_exception_fp_ieee_overflow 0
		.amdhsa_exception_fp_ieee_underflow 0
		.amdhsa_exception_fp_ieee_inexact 0
		.amdhsa_exception_int_div_zero 0
	.end_amdhsa_kernel
	.section	.text._Z27exclusive_scan_array_kernelILj255ELj15ELN6hipcub18BlockScanAlgorithmE1EfEvPT2_S2_,"axG",@progbits,_Z27exclusive_scan_array_kernelILj255ELj15ELN6hipcub18BlockScanAlgorithmE1EfEvPT2_S2_,comdat
.Lfunc_end230:
	.size	_Z27exclusive_scan_array_kernelILj255ELj15ELN6hipcub18BlockScanAlgorithmE1EfEvPT2_S2_, .Lfunc_end230-_Z27exclusive_scan_array_kernelILj255ELj15ELN6hipcub18BlockScanAlgorithmE1EfEvPT2_S2_
                                        ; -- End function
	.section	.AMDGPU.csdata,"",@progbits
; Kernel info:
; codeLenInByte = 1480
; NumSgprs: 18
; NumVgprs: 60
; ScratchSize: 0
; MemoryBound: 0
; FloatMode: 240
; IeeeMode: 1
; LDSByteSize: 1056 bytes/workgroup (compile time only)
; SGPRBlocks: 2
; VGPRBlocks: 7
; NumSGPRsForWavesPerEU: 18
; NumVGPRsForWavesPerEU: 60
; Occupancy: 16
; WaveLimiterHint : 0
; COMPUTE_PGM_RSRC2:SCRATCH_EN: 0
; COMPUTE_PGM_RSRC2:USER_SGPR: 15
; COMPUTE_PGM_RSRC2:TRAP_HANDLER: 0
; COMPUTE_PGM_RSRC2:TGID_X_EN: 1
; COMPUTE_PGM_RSRC2:TGID_Y_EN: 0
; COMPUTE_PGM_RSRC2:TGID_Z_EN: 0
; COMPUTE_PGM_RSRC2:TIDIG_COMP_CNT: 0
	.section	.text._Z27exclusive_scan_array_kernelILj162ELj7ELN6hipcub18BlockScanAlgorithmE1EfEvPT2_S2_,"axG",@progbits,_Z27exclusive_scan_array_kernelILj162ELj7ELN6hipcub18BlockScanAlgorithmE1EfEvPT2_S2_,comdat
	.protected	_Z27exclusive_scan_array_kernelILj162ELj7ELN6hipcub18BlockScanAlgorithmE1EfEvPT2_S2_ ; -- Begin function _Z27exclusive_scan_array_kernelILj162ELj7ELN6hipcub18BlockScanAlgorithmE1EfEvPT2_S2_
	.globl	_Z27exclusive_scan_array_kernelILj162ELj7ELN6hipcub18BlockScanAlgorithmE1EfEvPT2_S2_
	.p2align	8
	.type	_Z27exclusive_scan_array_kernelILj162ELj7ELN6hipcub18BlockScanAlgorithmE1EfEvPT2_S2_,@function
_Z27exclusive_scan_array_kernelILj162ELj7ELN6hipcub18BlockScanAlgorithmE1EfEvPT2_S2_: ; @_Z27exclusive_scan_array_kernelILj162ELj7ELN6hipcub18BlockScanAlgorithmE1EfEvPT2_S2_
; %bb.0:
	v_mad_u64_u32 v[1:2], null, 0xa2, s15, v[0:1]
	s_load_b64 s[2:3], s[0:1], 0x0
	s_delay_alu instid0(VALU_DEP_1) | instskip(NEXT) | instid1(VALU_DEP_1)
	v_mul_lo_u32 v11, v1, 7
	v_dual_mov_b32 v12, 0 :: v_dual_add_nc_u32 v1, 1, v11
	s_delay_alu instid0(VALU_DEP_1) | instskip(SKIP_2) | instid1(VALU_DEP_3)
	v_dual_mov_b32 v2, v12 :: v_dual_add_nc_u32 v3, 2, v11
	v_lshlrev_b64 v[9:10], 2, v[11:12]
	v_dual_mov_b32 v4, v12 :: v_dual_add_nc_u32 v5, 3, v11
	v_lshlrev_b64 v[13:14], 2, v[1:2]
	v_dual_mov_b32 v6, v12 :: v_dual_add_nc_u32 v7, 4, v11
	s_waitcnt lgkmcnt(0)
	s_delay_alu instid0(VALU_DEP_4)
	v_add_co_u32 v1, vcc_lo, s2, v9
	v_lshlrev_b64 v[15:16], 2, v[3:4]
	v_add_co_ci_u32_e32 v2, vcc_lo, s3, v10, vcc_lo
	v_mov_b32_e32 v8, v12
	v_add_co_u32 v3, vcc_lo, s2, v13
	v_add_nc_u32_e32 v13, 5, v11
	v_lshlrev_b64 v[17:18], 2, v[5:6]
	v_add_co_ci_u32_e32 v4, vcc_lo, s3, v14, vcc_lo
	v_add_co_u32 v5, vcc_lo, s2, v15
	v_lshlrev_b64 v[19:20], 2, v[7:8]
	v_add_co_ci_u32_e32 v6, vcc_lo, s3, v16, vcc_lo
	s_clause 0x1
	global_load_b32 v15, v[1:2], off
	global_load_b32 v16, v[3:4], off
	v_dual_mov_b32 v14, v12 :: v_dual_add_nc_u32 v11, 6, v11
	v_add_co_u32 v7, vcc_lo, s2, v17
	v_add_co_ci_u32_e32 v8, vcc_lo, s3, v18, vcc_lo
	v_add_co_u32 v9, vcc_lo, s2, v19
	global_load_b32 v17, v[5:6], off
	v_lshlrev_b64 v[13:14], 2, v[13:14]
	v_add_co_ci_u32_e32 v10, vcc_lo, s3, v20, vcc_lo
	v_lshlrev_b64 v[20:21], 2, v[11:12]
	s_clause 0x1
	global_load_b32 v18, v[7:8], off
	global_load_b32 v19, v[9:10], off
	v_add_co_u32 v11, vcc_lo, s2, v13
	v_add_co_ci_u32_e32 v12, vcc_lo, s3, v14, vcc_lo
	v_add_co_u32 v13, vcc_lo, s2, v20
	v_add_co_ci_u32_e32 v14, vcc_lo, s3, v21, vcc_lo
	s_clause 0x1
	global_load_b32 v20, v[11:12], off
	global_load_b32 v22, v[13:14], off
	s_mov_b32 s2, exec_lo
	s_waitcnt vmcnt(5)
	v_add_f32_e32 v21, v15, v16
	s_waitcnt vmcnt(4)
	s_delay_alu instid0(VALU_DEP_1) | instskip(SKIP_1) | instid1(VALU_DEP_1)
	v_add_f32_e32 v21, v17, v21
	s_waitcnt vmcnt(3)
	v_add_f32_e32 v21, v18, v21
	s_waitcnt vmcnt(2)
	s_delay_alu instid0(VALU_DEP_1) | instskip(SKIP_1) | instid1(VALU_DEP_1)
	v_add_f32_e32 v21, v19, v21
	s_waitcnt vmcnt(1)
	v_add_f32_e32 v23, v20, v21
	s_waitcnt vmcnt(0)
	s_delay_alu instid0(VALU_DEP_1)
	v_dual_add_f32 v22, v22, v23 :: v_dual_lshlrev_b32 v21, 2, v0
	ds_store_b32 v21, v22
	s_waitcnt lgkmcnt(0)
	s_barrier
	buffer_gl0_inv
	v_cmpx_gt_u32_e32 32, v0
	s_cbranch_execz .LBB231_2
; %bb.1:
	v_mul_u32_u24_e32 v23, 6, v0
	v_mbcnt_lo_u32_b32 v31, -1, 0
	s_delay_alu instid0(VALU_DEP_2) | instskip(NEXT) | instid1(VALU_DEP_2)
	v_lshlrev_b32_e32 v29, 2, v23
	v_and_b32_e32 v34, 16, v31
	ds_load_2addr_b32 v[23:24], v29 offset1:1
	ds_load_2addr_b32 v[25:26], v29 offset0:2 offset1:3
	ds_load_2addr_b32 v[27:28], v29 offset0:4 offset1:5
	v_and_b32_e32 v33, 15, v31
	s_delay_alu instid0(VALU_DEP_1) | instskip(SKIP_3) | instid1(VALU_DEP_1)
	v_cmp_eq_u32_e32 vcc_lo, 0, v33
	s_waitcnt lgkmcnt(2)
	v_add_f32_e32 v30, v23, v24
	s_waitcnt lgkmcnt(1)
	v_add_f32_e32 v30, v30, v25
	s_delay_alu instid0(VALU_DEP_1) | instskip(SKIP_1) | instid1(VALU_DEP_1)
	v_add_f32_e32 v30, v30, v26
	s_waitcnt lgkmcnt(0)
	v_add_f32_e32 v30, v30, v27
	s_delay_alu instid0(VALU_DEP_1) | instskip(NEXT) | instid1(VALU_DEP_1)
	v_add_f32_e32 v30, v30, v28
	v_mov_b32_dpp v32, v30 row_shr:1 row_mask:0xf bank_mask:0xf
	s_delay_alu instid0(VALU_DEP_1) | instskip(NEXT) | instid1(VALU_DEP_1)
	v_add_f32_e32 v32, v30, v32
	v_cndmask_b32_e32 v30, v32, v30, vcc_lo
	v_cmp_lt_u32_e32 vcc_lo, 1, v33
	s_delay_alu instid0(VALU_DEP_2) | instskip(NEXT) | instid1(VALU_DEP_1)
	v_mov_b32_dpp v32, v30 row_shr:2 row_mask:0xf bank_mask:0xf
	v_add_f32_e32 v32, v30, v32
	s_delay_alu instid0(VALU_DEP_1) | instskip(SKIP_1) | instid1(VALU_DEP_2)
	v_cndmask_b32_e32 v30, v30, v32, vcc_lo
	v_cmp_lt_u32_e32 vcc_lo, 3, v33
	v_mov_b32_dpp v32, v30 row_shr:4 row_mask:0xf bank_mask:0xf
	s_delay_alu instid0(VALU_DEP_1) | instskip(NEXT) | instid1(VALU_DEP_1)
	v_add_f32_e32 v32, v30, v32
	v_cndmask_b32_e32 v30, v30, v32, vcc_lo
	v_cmp_lt_u32_e32 vcc_lo, 7, v33
	v_add_nc_u32_e32 v33, -1, v31
	s_delay_alu instid0(VALU_DEP_3) | instskip(NEXT) | instid1(VALU_DEP_1)
	v_mov_b32_dpp v32, v30 row_shr:8 row_mask:0xf bank_mask:0xf
	v_add_f32_e32 v32, v30, v32
	s_delay_alu instid0(VALU_DEP_1) | instskip(NEXT) | instid1(VALU_DEP_4)
	v_cndmask_b32_e32 v30, v30, v32, vcc_lo
	v_cmp_gt_i32_e32 vcc_lo, 0, v33
	ds_swizzle_b32 v32, v30 offset:swizzle(BROADCAST,32,15)
	v_cndmask_b32_e32 v31, v33, v31, vcc_lo
	v_cmp_eq_u32_e32 vcc_lo, 0, v34
	s_waitcnt lgkmcnt(0)
	s_delay_alu instid0(VALU_DEP_2) | instskip(NEXT) | instid1(VALU_DEP_1)
	v_dual_add_f32 v32, v30, v32 :: v_dual_lshlrev_b32 v31, 2, v31
	v_cndmask_b32_e32 v30, v32, v30, vcc_lo
	v_cmp_eq_u32_e32 vcc_lo, 0, v0
	ds_bpermute_b32 v30, v31, v30
	s_waitcnt lgkmcnt(0)
	v_add_f32_e32 v23, v23, v30
	s_delay_alu instid0(VALU_DEP_1) | instskip(NEXT) | instid1(VALU_DEP_1)
	v_cndmask_b32_e32 v22, v23, v22, vcc_lo
	v_add_f32_e32 v23, v24, v22
	s_delay_alu instid0(VALU_DEP_1) | instskip(NEXT) | instid1(VALU_DEP_1)
	v_add_f32_e32 v24, v25, v23
	v_add_f32_e32 v25, v26, v24
	s_delay_alu instid0(VALU_DEP_1) | instskip(NEXT) | instid1(VALU_DEP_1)
	v_add_f32_e32 v26, v27, v25
	v_add_f32_e32 v27, v28, v26
	ds_store_2addr_b32 v29, v22, v23 offset1:1
	ds_store_2addr_b32 v29, v24, v25 offset0:2 offset1:3
	ds_store_2addr_b32 v29, v26, v27 offset0:4 offset1:5
.LBB231_2:
	s_or_b32 exec_lo, exec_lo, s2
	s_load_b32 s0, s[0:1], 0x8
	v_cmp_ne_u32_e32 vcc_lo, 0, v0
	s_waitcnt lgkmcnt(0)
	s_barrier
	buffer_gl0_inv
	v_mov_b32_e32 v0, s0
	s_and_saveexec_b32 s1, vcc_lo
	s_cbranch_execz .LBB231_4
; %bb.3:
	v_add_nc_u32_e32 v0, -4, v21
	ds_load_b32 v0, v0
	s_waitcnt lgkmcnt(0)
	v_add_f32_e32 v0, s0, v0
.LBB231_4:
	s_or_b32 exec_lo, exec_lo, s1
	s_delay_alu instid0(VALU_DEP_1) | instskip(NEXT) | instid1(VALU_DEP_1)
	v_add_f32_e32 v15, v15, v0
	v_add_f32_e32 v16, v16, v15
	s_delay_alu instid0(VALU_DEP_1) | instskip(NEXT) | instid1(VALU_DEP_1)
	v_add_f32_e32 v17, v17, v16
	v_add_f32_e32 v18, v18, v17
	;; [unrolled: 3-line block ×3, first 2 shown]
	s_clause 0x6
	global_store_b32 v[1:2], v0, off
	global_store_b32 v[3:4], v15, off
	;; [unrolled: 1-line block ×7, first 2 shown]
	s_nop 0
	s_sendmsg sendmsg(MSG_DEALLOC_VGPRS)
	s_endpgm
	.section	.rodata,"a",@progbits
	.p2align	6, 0x0
	.amdhsa_kernel _Z27exclusive_scan_array_kernelILj162ELj7ELN6hipcub18BlockScanAlgorithmE1EfEvPT2_S2_
		.amdhsa_group_segment_fixed_size 768
		.amdhsa_private_segment_fixed_size 0
		.amdhsa_kernarg_size 12
		.amdhsa_user_sgpr_count 15
		.amdhsa_user_sgpr_dispatch_ptr 0
		.amdhsa_user_sgpr_queue_ptr 0
		.amdhsa_user_sgpr_kernarg_segment_ptr 1
		.amdhsa_user_sgpr_dispatch_id 0
		.amdhsa_user_sgpr_private_segment_size 0
		.amdhsa_wavefront_size32 1
		.amdhsa_uses_dynamic_stack 0
		.amdhsa_enable_private_segment 0
		.amdhsa_system_sgpr_workgroup_id_x 1
		.amdhsa_system_sgpr_workgroup_id_y 0
		.amdhsa_system_sgpr_workgroup_id_z 0
		.amdhsa_system_sgpr_workgroup_info 0
		.amdhsa_system_vgpr_workitem_id 0
		.amdhsa_next_free_vgpr 35
		.amdhsa_next_free_sgpr 16
		.amdhsa_reserve_vcc 1
		.amdhsa_float_round_mode_32 0
		.amdhsa_float_round_mode_16_64 0
		.amdhsa_float_denorm_mode_32 3
		.amdhsa_float_denorm_mode_16_64 3
		.amdhsa_dx10_clamp 1
		.amdhsa_ieee_mode 1
		.amdhsa_fp16_overflow 0
		.amdhsa_workgroup_processor_mode 1
		.amdhsa_memory_ordered 1
		.amdhsa_forward_progress 0
		.amdhsa_shared_vgpr_count 0
		.amdhsa_exception_fp_ieee_invalid_op 0
		.amdhsa_exception_fp_denorm_src 0
		.amdhsa_exception_fp_ieee_div_zero 0
		.amdhsa_exception_fp_ieee_overflow 0
		.amdhsa_exception_fp_ieee_underflow 0
		.amdhsa_exception_fp_ieee_inexact 0
		.amdhsa_exception_int_div_zero 0
	.end_amdhsa_kernel
	.section	.text._Z27exclusive_scan_array_kernelILj162ELj7ELN6hipcub18BlockScanAlgorithmE1EfEvPT2_S2_,"axG",@progbits,_Z27exclusive_scan_array_kernelILj162ELj7ELN6hipcub18BlockScanAlgorithmE1EfEvPT2_S2_,comdat
.Lfunc_end231:
	.size	_Z27exclusive_scan_array_kernelILj162ELj7ELN6hipcub18BlockScanAlgorithmE1EfEvPT2_S2_, .Lfunc_end231-_Z27exclusive_scan_array_kernelILj162ELj7ELN6hipcub18BlockScanAlgorithmE1EfEvPT2_S2_
                                        ; -- End function
	.section	.AMDGPU.csdata,"",@progbits
; Kernel info:
; codeLenInByte = 900
; NumSgprs: 18
; NumVgprs: 35
; ScratchSize: 0
; MemoryBound: 0
; FloatMode: 240
; IeeeMode: 1
; LDSByteSize: 768 bytes/workgroup (compile time only)
; SGPRBlocks: 2
; VGPRBlocks: 4
; NumSGPRsForWavesPerEU: 18
; NumVGPRsForWavesPerEU: 35
; Occupancy: 15
; WaveLimiterHint : 0
; COMPUTE_PGM_RSRC2:SCRATCH_EN: 0
; COMPUTE_PGM_RSRC2:USER_SGPR: 15
; COMPUTE_PGM_RSRC2:TRAP_HANDLER: 0
; COMPUTE_PGM_RSRC2:TGID_X_EN: 1
; COMPUTE_PGM_RSRC2:TGID_Y_EN: 0
; COMPUTE_PGM_RSRC2:TGID_Z_EN: 0
; COMPUTE_PGM_RSRC2:TIDIG_COMP_CNT: 0
	.section	.text._Z27exclusive_scan_array_kernelILj65ELj5ELN6hipcub18BlockScanAlgorithmE1EfEvPT2_S2_,"axG",@progbits,_Z27exclusive_scan_array_kernelILj65ELj5ELN6hipcub18BlockScanAlgorithmE1EfEvPT2_S2_,comdat
	.protected	_Z27exclusive_scan_array_kernelILj65ELj5ELN6hipcub18BlockScanAlgorithmE1EfEvPT2_S2_ ; -- Begin function _Z27exclusive_scan_array_kernelILj65ELj5ELN6hipcub18BlockScanAlgorithmE1EfEvPT2_S2_
	.globl	_Z27exclusive_scan_array_kernelILj65ELj5ELN6hipcub18BlockScanAlgorithmE1EfEvPT2_S2_
	.p2align	8
	.type	_Z27exclusive_scan_array_kernelILj65ELj5ELN6hipcub18BlockScanAlgorithmE1EfEvPT2_S2_,@function
_Z27exclusive_scan_array_kernelILj65ELj5ELN6hipcub18BlockScanAlgorithmE1EfEvPT2_S2_: ; @_Z27exclusive_scan_array_kernelILj65ELj5ELN6hipcub18BlockScanAlgorithmE1EfEvPT2_S2_
; %bb.0:
	v_mad_u64_u32 v[1:2], null, 0x41, s15, v[0:1]
	s_load_b64 s[2:3], s[0:1], 0x0
	s_delay_alu instid0(VALU_DEP_1) | instskip(NEXT) | instid1(VALU_DEP_1)
	v_lshl_add_u32 v1, v1, 2, v1
	v_dual_mov_b32 v2, 0 :: v_dual_add_nc_u32 v3, 1, v1
	s_delay_alu instid0(VALU_DEP_1) | instskip(SKIP_3) | instid1(VALU_DEP_4)
	v_dual_mov_b32 v4, v2 :: v_dual_add_nc_u32 v5, 2, v1
	v_lshlrev_b64 v[9:10], 2, v[1:2]
	v_dual_mov_b32 v6, v2 :: v_dual_add_nc_u32 v7, 3, v1
	v_dual_mov_b32 v8, v2 :: v_dual_add_nc_u32 v1, 4, v1
	v_lshlrev_b64 v[3:4], 2, v[3:4]
	s_delay_alu instid0(VALU_DEP_3) | instskip(NEXT) | instid1(VALU_DEP_3)
	v_lshlrev_b64 v[5:6], 2, v[5:6]
	v_lshlrev_b64 v[7:8], 2, v[7:8]
	s_delay_alu instid0(VALU_DEP_4)
	v_lshlrev_b64 v[14:15], 2, v[1:2]
	s_waitcnt lgkmcnt(0)
	v_add_co_u32 v1, vcc_lo, s2, v9
	v_add_co_ci_u32_e32 v2, vcc_lo, s3, v10, vcc_lo
	v_add_co_u32 v3, vcc_lo, s2, v3
	v_add_co_ci_u32_e32 v4, vcc_lo, s3, v4, vcc_lo
	;; [unrolled: 2-line block ×3, first 2 shown]
	s_clause 0x1
	global_load_b32 v11, v[1:2], off
	global_load_b32 v12, v[3:4], off
	v_add_co_u32 v7, vcc_lo, s2, v7
	v_add_co_ci_u32_e32 v8, vcc_lo, s3, v8, vcc_lo
	global_load_b32 v13, v[5:6], off
	v_add_co_u32 v9, vcc_lo, s2, v14
	v_add_co_ci_u32_e32 v10, vcc_lo, s3, v15, vcc_lo
	s_clause 0x1
	global_load_b32 v14, v[7:8], off
	global_load_b32 v16, v[9:10], off
	s_mov_b32 s2, exec_lo
	s_waitcnt vmcnt(3)
	v_add_f32_e32 v15, v11, v12
	s_waitcnt vmcnt(2)
	s_delay_alu instid0(VALU_DEP_1) | instskip(SKIP_1) | instid1(VALU_DEP_1)
	v_add_f32_e32 v15, v13, v15
	s_waitcnt vmcnt(1)
	v_add_f32_e32 v17, v14, v15
	s_waitcnt vmcnt(0)
	s_delay_alu instid0(VALU_DEP_1)
	v_dual_add_f32 v16, v16, v17 :: v_dual_lshlrev_b32 v15, 2, v0
	ds_store_b32 v15, v16
	s_waitcnt lgkmcnt(0)
	s_barrier
	buffer_gl0_inv
	v_cmpx_gt_u32_e32 32, v0
	s_cbranch_execz .LBB232_2
; %bb.1:
	v_mul_u32_u24_e32 v17, 3, v0
	v_mbcnt_lo_u32_b32 v22, -1, 0
	s_delay_alu instid0(VALU_DEP_2) | instskip(NEXT) | instid1(VALU_DEP_2)
	v_lshlrev_b32_e32 v19, 2, v17
	v_and_b32_e32 v25, 16, v22
	ds_load_2addr_b32 v[17:18], v19 offset1:1
	ds_load_b32 v20, v19 offset:8
	v_and_b32_e32 v24, 15, v22
	s_delay_alu instid0(VALU_DEP_1) | instskip(SKIP_3) | instid1(VALU_DEP_1)
	v_cmp_eq_u32_e32 vcc_lo, 0, v24
	s_waitcnt lgkmcnt(1)
	v_add_f32_e32 v21, v17, v18
	s_waitcnt lgkmcnt(0)
	v_add_f32_e32 v21, v21, v20
	s_delay_alu instid0(VALU_DEP_1) | instskip(NEXT) | instid1(VALU_DEP_1)
	v_mov_b32_dpp v23, v21 row_shr:1 row_mask:0xf bank_mask:0xf
	v_add_f32_e32 v23, v21, v23
	s_delay_alu instid0(VALU_DEP_1) | instskip(SKIP_1) | instid1(VALU_DEP_2)
	v_cndmask_b32_e32 v21, v23, v21, vcc_lo
	v_cmp_lt_u32_e32 vcc_lo, 1, v24
	v_mov_b32_dpp v23, v21 row_shr:2 row_mask:0xf bank_mask:0xf
	s_delay_alu instid0(VALU_DEP_1) | instskip(NEXT) | instid1(VALU_DEP_1)
	v_add_f32_e32 v23, v21, v23
	v_cndmask_b32_e32 v21, v21, v23, vcc_lo
	v_cmp_lt_u32_e32 vcc_lo, 3, v24
	s_delay_alu instid0(VALU_DEP_2) | instskip(NEXT) | instid1(VALU_DEP_1)
	v_mov_b32_dpp v23, v21 row_shr:4 row_mask:0xf bank_mask:0xf
	v_add_f32_e32 v23, v21, v23
	s_delay_alu instid0(VALU_DEP_1) | instskip(SKIP_2) | instid1(VALU_DEP_3)
	v_cndmask_b32_e32 v21, v21, v23, vcc_lo
	v_cmp_lt_u32_e32 vcc_lo, 7, v24
	v_add_nc_u32_e32 v24, -1, v22
	v_mov_b32_dpp v23, v21 row_shr:8 row_mask:0xf bank_mask:0xf
	s_delay_alu instid0(VALU_DEP_1) | instskip(NEXT) | instid1(VALU_DEP_1)
	v_add_f32_e32 v23, v21, v23
	v_cndmask_b32_e32 v21, v21, v23, vcc_lo
	s_delay_alu instid0(VALU_DEP_4) | instskip(SKIP_4) | instid1(VALU_DEP_2)
	v_cmp_gt_i32_e32 vcc_lo, 0, v24
	ds_swizzle_b32 v23, v21 offset:swizzle(BROADCAST,32,15)
	v_cndmask_b32_e32 v22, v24, v22, vcc_lo
	v_cmp_eq_u32_e32 vcc_lo, 0, v25
	s_waitcnt lgkmcnt(0)
	v_dual_add_f32 v23, v21, v23 :: v_dual_lshlrev_b32 v22, 2, v22
	s_delay_alu instid0(VALU_DEP_1) | instskip(SKIP_4) | instid1(VALU_DEP_1)
	v_cndmask_b32_e32 v21, v23, v21, vcc_lo
	v_cmp_eq_u32_e32 vcc_lo, 0, v0
	ds_bpermute_b32 v21, v22, v21
	s_waitcnt lgkmcnt(0)
	v_add_f32_e32 v17, v17, v21
	v_cndmask_b32_e32 v16, v17, v16, vcc_lo
	s_delay_alu instid0(VALU_DEP_1) | instskip(NEXT) | instid1(VALU_DEP_1)
	v_add_f32_e32 v17, v18, v16
	v_add_f32_e32 v18, v20, v17
	ds_store_2addr_b32 v19, v16, v17 offset1:1
	ds_store_b32 v19, v18 offset:8
.LBB232_2:
	s_or_b32 exec_lo, exec_lo, s2
	s_load_b32 s0, s[0:1], 0x8
	v_cmp_ne_u32_e32 vcc_lo, 0, v0
	s_waitcnt lgkmcnt(0)
	s_barrier
	buffer_gl0_inv
	v_mov_b32_e32 v0, s0
	s_and_saveexec_b32 s1, vcc_lo
	s_cbranch_execz .LBB232_4
; %bb.3:
	v_add_nc_u32_e32 v0, -4, v15
	ds_load_b32 v0, v0
	s_waitcnt lgkmcnt(0)
	v_add_f32_e32 v0, s0, v0
.LBB232_4:
	s_or_b32 exec_lo, exec_lo, s1
	s_delay_alu instid0(VALU_DEP_1) | instskip(NEXT) | instid1(VALU_DEP_1)
	v_add_f32_e32 v11, v11, v0
	v_add_f32_e32 v12, v12, v11
	s_delay_alu instid0(VALU_DEP_1) | instskip(NEXT) | instid1(VALU_DEP_1)
	v_add_f32_e32 v13, v13, v12
	v_add_f32_e32 v14, v14, v13
	s_clause 0x4
	global_store_b32 v[1:2], v0, off
	global_store_b32 v[3:4], v11, off
	;; [unrolled: 1-line block ×5, first 2 shown]
	s_nop 0
	s_sendmsg sendmsg(MSG_DEALLOC_VGPRS)
	s_endpgm
	.section	.rodata,"a",@progbits
	.p2align	6, 0x0
	.amdhsa_kernel _Z27exclusive_scan_array_kernelILj65ELj5ELN6hipcub18BlockScanAlgorithmE1EfEvPT2_S2_
		.amdhsa_group_segment_fixed_size 384
		.amdhsa_private_segment_fixed_size 0
		.amdhsa_kernarg_size 12
		.amdhsa_user_sgpr_count 15
		.amdhsa_user_sgpr_dispatch_ptr 0
		.amdhsa_user_sgpr_queue_ptr 0
		.amdhsa_user_sgpr_kernarg_segment_ptr 1
		.amdhsa_user_sgpr_dispatch_id 0
		.amdhsa_user_sgpr_private_segment_size 0
		.amdhsa_wavefront_size32 1
		.amdhsa_uses_dynamic_stack 0
		.amdhsa_enable_private_segment 0
		.amdhsa_system_sgpr_workgroup_id_x 1
		.amdhsa_system_sgpr_workgroup_id_y 0
		.amdhsa_system_sgpr_workgroup_id_z 0
		.amdhsa_system_sgpr_workgroup_info 0
		.amdhsa_system_vgpr_workitem_id 0
		.amdhsa_next_free_vgpr 26
		.amdhsa_next_free_sgpr 16
		.amdhsa_reserve_vcc 1
		.amdhsa_float_round_mode_32 0
		.amdhsa_float_round_mode_16_64 0
		.amdhsa_float_denorm_mode_32 3
		.amdhsa_float_denorm_mode_16_64 3
		.amdhsa_dx10_clamp 1
		.amdhsa_ieee_mode 1
		.amdhsa_fp16_overflow 0
		.amdhsa_workgroup_processor_mode 1
		.amdhsa_memory_ordered 1
		.amdhsa_forward_progress 0
		.amdhsa_shared_vgpr_count 0
		.amdhsa_exception_fp_ieee_invalid_op 0
		.amdhsa_exception_fp_denorm_src 0
		.amdhsa_exception_fp_ieee_div_zero 0
		.amdhsa_exception_fp_ieee_overflow 0
		.amdhsa_exception_fp_ieee_underflow 0
		.amdhsa_exception_fp_ieee_inexact 0
		.amdhsa_exception_int_div_zero 0
	.end_amdhsa_kernel
	.section	.text._Z27exclusive_scan_array_kernelILj65ELj5ELN6hipcub18BlockScanAlgorithmE1EfEvPT2_S2_,"axG",@progbits,_Z27exclusive_scan_array_kernelILj65ELj5ELN6hipcub18BlockScanAlgorithmE1EfEvPT2_S2_,comdat
.Lfunc_end232:
	.size	_Z27exclusive_scan_array_kernelILj65ELj5ELN6hipcub18BlockScanAlgorithmE1EfEvPT2_S2_, .Lfunc_end232-_Z27exclusive_scan_array_kernelILj65ELj5ELN6hipcub18BlockScanAlgorithmE1EfEvPT2_S2_
                                        ; -- End function
	.section	.AMDGPU.csdata,"",@progbits
; Kernel info:
; codeLenInByte = 724
; NumSgprs: 18
; NumVgprs: 26
; ScratchSize: 0
; MemoryBound: 0
; FloatMode: 240
; IeeeMode: 1
; LDSByteSize: 384 bytes/workgroup (compile time only)
; SGPRBlocks: 2
; VGPRBlocks: 3
; NumSGPRsForWavesPerEU: 18
; NumVGPRsForWavesPerEU: 26
; Occupancy: 16
; WaveLimiterHint : 0
; COMPUTE_PGM_RSRC2:SCRATCH_EN: 0
; COMPUTE_PGM_RSRC2:USER_SGPR: 15
; COMPUTE_PGM_RSRC2:TRAP_HANDLER: 0
; COMPUTE_PGM_RSRC2:TGID_X_EN: 1
; COMPUTE_PGM_RSRC2:TGID_Y_EN: 0
; COMPUTE_PGM_RSRC2:TGID_Z_EN: 0
; COMPUTE_PGM_RSRC2:TIDIG_COMP_CNT: 0
	.section	.text._Z27exclusive_scan_array_kernelILj37ELj2ELN6hipcub18BlockScanAlgorithmE1EfEvPT2_S2_,"axG",@progbits,_Z27exclusive_scan_array_kernelILj37ELj2ELN6hipcub18BlockScanAlgorithmE1EfEvPT2_S2_,comdat
	.protected	_Z27exclusive_scan_array_kernelILj37ELj2ELN6hipcub18BlockScanAlgorithmE1EfEvPT2_S2_ ; -- Begin function _Z27exclusive_scan_array_kernelILj37ELj2ELN6hipcub18BlockScanAlgorithmE1EfEvPT2_S2_
	.globl	_Z27exclusive_scan_array_kernelILj37ELj2ELN6hipcub18BlockScanAlgorithmE1EfEvPT2_S2_
	.p2align	8
	.type	_Z27exclusive_scan_array_kernelILj37ELj2ELN6hipcub18BlockScanAlgorithmE1EfEvPT2_S2_,@function
_Z27exclusive_scan_array_kernelILj37ELj2ELN6hipcub18BlockScanAlgorithmE1EfEvPT2_S2_: ; @_Z27exclusive_scan_array_kernelILj37ELj2ELN6hipcub18BlockScanAlgorithmE1EfEvPT2_S2_
; %bb.0:
	s_load_b64 s[2:3], s[0:1], 0x0
	s_mul_i32 s15, s15, 37
	v_mov_b32_e32 v2, 0
	v_add_lshl_u32 v1, s15, v0, 1
	v_lshrrev_b32_e32 v5, 5, v0
	s_delay_alu instid0(VALU_DEP_2) | instskip(NEXT) | instid1(VALU_DEP_2)
	v_lshlrev_b64 v[1:2], 2, v[1:2]
	v_add_lshl_u32 v5, v5, v0, 2
	s_waitcnt lgkmcnt(0)
	s_delay_alu instid0(VALU_DEP_2) | instskip(NEXT) | instid1(VALU_DEP_3)
	v_add_co_u32 v1, vcc_lo, s2, v1
	v_add_co_ci_u32_e32 v2, vcc_lo, s3, v2, vcc_lo
	s_mov_b32 s2, exec_lo
	global_load_b64 v[3:4], v[1:2], off
	s_waitcnt vmcnt(0)
	v_add_f32_e32 v4, v3, v4
	ds_store_b32 v5, v4
	s_waitcnt lgkmcnt(0)
	s_barrier
	buffer_gl0_inv
	v_cmpx_gt_u32_e32 32, v0
	s_cbranch_execz .LBB233_2
; %bb.1:
	v_lshrrev_b32_e32 v5, 2, v0
	v_mbcnt_lo_u32_b32 v9, -1, 0
	s_delay_alu instid0(VALU_DEP_2) | instskip(NEXT) | instid1(VALU_DEP_2)
	v_and_b32_e32 v5, 12, v5
	v_and_b32_e32 v12, 16, v9
	;; [unrolled: 1-line block ×3, first 2 shown]
	s_delay_alu instid0(VALU_DEP_3) | instskip(NEXT) | instid1(VALU_DEP_2)
	v_lshl_or_b32 v7, v0, 3, v5
	v_cmp_eq_u32_e32 vcc_lo, 0, v11
	ds_load_2addr_b32 v[5:6], v7 offset1:1
	s_waitcnt lgkmcnt(0)
	v_add_f32_e32 v8, v5, v6
	s_delay_alu instid0(VALU_DEP_1) | instskip(NEXT) | instid1(VALU_DEP_1)
	v_mov_b32_dpp v10, v8 row_shr:1 row_mask:0xf bank_mask:0xf
	v_add_f32_e32 v10, v8, v10
	s_delay_alu instid0(VALU_DEP_1) | instskip(SKIP_1) | instid1(VALU_DEP_2)
	v_cndmask_b32_e32 v8, v10, v8, vcc_lo
	v_cmp_lt_u32_e32 vcc_lo, 1, v11
	v_mov_b32_dpp v10, v8 row_shr:2 row_mask:0xf bank_mask:0xf
	s_delay_alu instid0(VALU_DEP_1) | instskip(NEXT) | instid1(VALU_DEP_1)
	v_add_f32_e32 v10, v8, v10
	v_cndmask_b32_e32 v8, v8, v10, vcc_lo
	v_cmp_lt_u32_e32 vcc_lo, 3, v11
	s_delay_alu instid0(VALU_DEP_2) | instskip(NEXT) | instid1(VALU_DEP_1)
	v_mov_b32_dpp v10, v8 row_shr:4 row_mask:0xf bank_mask:0xf
	v_add_f32_e32 v10, v8, v10
	s_delay_alu instid0(VALU_DEP_1) | instskip(SKIP_2) | instid1(VALU_DEP_3)
	v_cndmask_b32_e32 v8, v8, v10, vcc_lo
	v_cmp_lt_u32_e32 vcc_lo, 7, v11
	v_add_nc_u32_e32 v11, -1, v9
	v_mov_b32_dpp v10, v8 row_shr:8 row_mask:0xf bank_mask:0xf
	s_delay_alu instid0(VALU_DEP_1) | instskip(NEXT) | instid1(VALU_DEP_1)
	v_add_f32_e32 v10, v8, v10
	v_cndmask_b32_e32 v8, v8, v10, vcc_lo
	s_delay_alu instid0(VALU_DEP_4) | instskip(SKIP_4) | instid1(VALU_DEP_2)
	v_cmp_gt_i32_e32 vcc_lo, 0, v11
	ds_swizzle_b32 v10, v8 offset:swizzle(BROADCAST,32,15)
	v_cndmask_b32_e32 v9, v11, v9, vcc_lo
	v_cmp_eq_u32_e32 vcc_lo, 0, v12
	s_waitcnt lgkmcnt(0)
	v_dual_add_f32 v10, v8, v10 :: v_dual_lshlrev_b32 v9, 2, v9
	s_delay_alu instid0(VALU_DEP_1) | instskip(SKIP_4) | instid1(VALU_DEP_1)
	v_cndmask_b32_e32 v8, v10, v8, vcc_lo
	v_cmp_eq_u32_e32 vcc_lo, 0, v0
	ds_bpermute_b32 v8, v9, v8
	s_waitcnt lgkmcnt(0)
	v_add_f32_e32 v5, v5, v8
	v_cndmask_b32_e32 v4, v5, v4, vcc_lo
	s_delay_alu instid0(VALU_DEP_1)
	v_add_f32_e32 v5, v6, v4
	ds_store_2addr_b32 v7, v4, v5 offset1:1
.LBB233_2:
	s_or_b32 exec_lo, exec_lo, s2
	s_load_b32 s0, s[0:1], 0x8
	s_mov_b32 s1, exec_lo
	s_waitcnt lgkmcnt(0)
	s_barrier
	buffer_gl0_inv
	v_mov_b32_e32 v4, s0
	v_cmpx_ne_u32_e32 0, v0
	s_cbranch_execz .LBB233_4
; %bb.3:
	v_add_nc_u32_e32 v0, -1, v0
	s_delay_alu instid0(VALU_DEP_1) | instskip(NEXT) | instid1(VALU_DEP_1)
	v_lshrrev_b32_e32 v4, 5, v0
	v_add_lshl_u32 v0, v4, v0, 2
	ds_load_b32 v0, v0
	s_waitcnt lgkmcnt(0)
	v_add_f32_e32 v4, s0, v0
.LBB233_4:
	s_or_b32 exec_lo, exec_lo, s1
	s_delay_alu instid0(VALU_DEP_1)
	v_add_f32_e32 v5, v3, v4
	global_store_b64 v[1:2], v[4:5], off
	s_nop 0
	s_sendmsg sendmsg(MSG_DEALLOC_VGPRS)
	s_endpgm
	.section	.rodata,"a",@progbits
	.p2align	6, 0x0
	.amdhsa_kernel _Z27exclusive_scan_array_kernelILj37ELj2ELN6hipcub18BlockScanAlgorithmE1EfEvPT2_S2_
		.amdhsa_group_segment_fixed_size 264
		.amdhsa_private_segment_fixed_size 0
		.amdhsa_kernarg_size 12
		.amdhsa_user_sgpr_count 15
		.amdhsa_user_sgpr_dispatch_ptr 0
		.amdhsa_user_sgpr_queue_ptr 0
		.amdhsa_user_sgpr_kernarg_segment_ptr 1
		.amdhsa_user_sgpr_dispatch_id 0
		.amdhsa_user_sgpr_private_segment_size 0
		.amdhsa_wavefront_size32 1
		.amdhsa_uses_dynamic_stack 0
		.amdhsa_enable_private_segment 0
		.amdhsa_system_sgpr_workgroup_id_x 1
		.amdhsa_system_sgpr_workgroup_id_y 0
		.amdhsa_system_sgpr_workgroup_id_z 0
		.amdhsa_system_sgpr_workgroup_info 0
		.amdhsa_system_vgpr_workitem_id 0
		.amdhsa_next_free_vgpr 13
		.amdhsa_next_free_sgpr 16
		.amdhsa_reserve_vcc 1
		.amdhsa_float_round_mode_32 0
		.amdhsa_float_round_mode_16_64 0
		.amdhsa_float_denorm_mode_32 3
		.amdhsa_float_denorm_mode_16_64 3
		.amdhsa_dx10_clamp 1
		.amdhsa_ieee_mode 1
		.amdhsa_fp16_overflow 0
		.amdhsa_workgroup_processor_mode 1
		.amdhsa_memory_ordered 1
		.amdhsa_forward_progress 0
		.amdhsa_shared_vgpr_count 0
		.amdhsa_exception_fp_ieee_invalid_op 0
		.amdhsa_exception_fp_denorm_src 0
		.amdhsa_exception_fp_ieee_div_zero 0
		.amdhsa_exception_fp_ieee_overflow 0
		.amdhsa_exception_fp_ieee_underflow 0
		.amdhsa_exception_fp_ieee_inexact 0
		.amdhsa_exception_int_div_zero 0
	.end_amdhsa_kernel
	.section	.text._Z27exclusive_scan_array_kernelILj37ELj2ELN6hipcub18BlockScanAlgorithmE1EfEvPT2_S2_,"axG",@progbits,_Z27exclusive_scan_array_kernelILj37ELj2ELN6hipcub18BlockScanAlgorithmE1EfEvPT2_S2_,comdat
.Lfunc_end233:
	.size	_Z27exclusive_scan_array_kernelILj37ELj2ELN6hipcub18BlockScanAlgorithmE1EfEvPT2_S2_, .Lfunc_end233-_Z27exclusive_scan_array_kernelILj37ELj2ELN6hipcub18BlockScanAlgorithmE1EfEvPT2_S2_
                                        ; -- End function
	.section	.AMDGPU.csdata,"",@progbits
; Kernel info:
; codeLenInByte = 480
; NumSgprs: 18
; NumVgprs: 13
; ScratchSize: 0
; MemoryBound: 0
; FloatMode: 240
; IeeeMode: 1
; LDSByteSize: 264 bytes/workgroup (compile time only)
; SGPRBlocks: 2
; VGPRBlocks: 1
; NumSGPRsForWavesPerEU: 18
; NumVGPRsForWavesPerEU: 13
; Occupancy: 16
; WaveLimiterHint : 0
; COMPUTE_PGM_RSRC2:SCRATCH_EN: 0
; COMPUTE_PGM_RSRC2:USER_SGPR: 15
; COMPUTE_PGM_RSRC2:TRAP_HANDLER: 0
; COMPUTE_PGM_RSRC2:TGID_X_EN: 1
; COMPUTE_PGM_RSRC2:TGID_Y_EN: 0
; COMPUTE_PGM_RSRC2:TGID_Z_EN: 0
; COMPUTE_PGM_RSRC2:TIDIG_COMP_CNT: 0
	.section	.text._Z27exclusive_scan_array_kernelILj512ELj4ELN6hipcub18BlockScanAlgorithmE1EjEvPT2_S2_,"axG",@progbits,_Z27exclusive_scan_array_kernelILj512ELj4ELN6hipcub18BlockScanAlgorithmE1EjEvPT2_S2_,comdat
	.protected	_Z27exclusive_scan_array_kernelILj512ELj4ELN6hipcub18BlockScanAlgorithmE1EjEvPT2_S2_ ; -- Begin function _Z27exclusive_scan_array_kernelILj512ELj4ELN6hipcub18BlockScanAlgorithmE1EjEvPT2_S2_
	.globl	_Z27exclusive_scan_array_kernelILj512ELj4ELN6hipcub18BlockScanAlgorithmE1EjEvPT2_S2_
	.p2align	8
	.type	_Z27exclusive_scan_array_kernelILj512ELj4ELN6hipcub18BlockScanAlgorithmE1EjEvPT2_S2_,@function
_Z27exclusive_scan_array_kernelILj512ELj4ELN6hipcub18BlockScanAlgorithmE1EjEvPT2_S2_: ; @_Z27exclusive_scan_array_kernelILj512ELj4ELN6hipcub18BlockScanAlgorithmE1EjEvPT2_S2_
; %bb.0:
	s_load_b64 s[2:3], s[0:1], 0x0
	v_dual_mov_b32 v2, 0 :: v_dual_lshlrev_b32 v1, 2, v0
	v_lshrrev_b32_e32 v5, 5, v0
	s_delay_alu instid0(VALU_DEP_2) | instskip(NEXT) | instid1(VALU_DEP_2)
	v_lshl_or_b32 v1, s15, 11, v1
	v_add_lshl_u32 v5, v5, v0, 2
	s_delay_alu instid0(VALU_DEP_2) | instskip(SKIP_1) | instid1(VALU_DEP_1)
	v_lshlrev_b64 v[1:2], 2, v[1:2]
	s_waitcnt lgkmcnt(0)
	v_add_co_u32 v8, vcc_lo, s2, v1
	s_delay_alu instid0(VALU_DEP_2) | instskip(SKIP_4) | instid1(VALU_DEP_1)
	v_add_co_ci_u32_e32 v9, vcc_lo, s3, v2, vcc_lo
	s_mov_b32 s2, exec_lo
	global_load_b128 v[1:4], v[8:9], off
	s_waitcnt vmcnt(0)
	v_add_nc_u32_e32 v6, v2, v1
	v_add3_u32 v4, v6, v3, v4
	ds_store_b32 v5, v4
	s_waitcnt lgkmcnt(0)
	s_barrier
	buffer_gl0_inv
	v_cmpx_gt_u32_e32 32, v0
	s_cbranch_execz .LBB234_2
; %bb.1:
	v_lshlrev_b32_e32 v5, 1, v0
	v_mbcnt_lo_u32_b32 v25, -1, 0
	s_delay_alu instid0(VALU_DEP_2) | instskip(NEXT) | instid1(VALU_DEP_2)
	v_and_b32_e32 v5, 0x3fc, v5
	v_and_b32_e32 v26, 15, v25
	v_bfe_i32 v28, v25, 4, 1
	s_delay_alu instid0(VALU_DEP_3) | instskip(NEXT) | instid1(VALU_DEP_3)
	v_lshl_or_b32 v7, v0, 6, v5
	v_cmp_ne_u32_e32 vcc_lo, 0, v26
	ds_load_2addr_b32 v[5:6], v7 offset1:1
	ds_load_2addr_b32 v[10:11], v7 offset0:2 offset1:3
	ds_load_2addr_b32 v[12:13], v7 offset0:4 offset1:5
	;; [unrolled: 1-line block ×4, first 2 shown]
	s_waitcnt lgkmcnt(4)
	v_add_nc_u32_e32 v18, v6, v5
	s_waitcnt lgkmcnt(3)
	s_delay_alu instid0(VALU_DEP_1)
	v_add3_u32 v20, v18, v10, v11
	ds_load_2addr_b32 v[18:19], v7 offset0:10 offset1:11
	s_waitcnt lgkmcnt(3)
	v_add3_u32 v24, v20, v12, v13
	ds_load_2addr_b32 v[20:21], v7 offset0:12 offset1:13
	ds_load_2addr_b32 v[22:23], v7 offset0:14 offset1:15
	s_waitcnt lgkmcnt(4)
	v_add3_u32 v24, v24, v14, v15
	s_waitcnt lgkmcnt(3)
	s_delay_alu instid0(VALU_DEP_1) | instskip(SKIP_1) | instid1(VALU_DEP_1)
	v_add3_u32 v24, v24, v16, v17
	s_waitcnt lgkmcnt(2)
	v_add3_u32 v24, v24, v18, v19
	s_waitcnt lgkmcnt(1)
	s_delay_alu instid0(VALU_DEP_1) | instskip(SKIP_1) | instid1(VALU_DEP_1)
	v_add3_u32 v24, v24, v20, v21
	s_waitcnt lgkmcnt(0)
	v_add3_u32 v24, v24, v22, v23
	s_delay_alu instid0(VALU_DEP_1) | instskip(NEXT) | instid1(VALU_DEP_1)
	v_mov_b32_dpp v27, v24 row_shr:1 row_mask:0xf bank_mask:0xf
	v_cndmask_b32_e32 v27, 0, v27, vcc_lo
	v_cmp_lt_u32_e32 vcc_lo, 1, v26
	s_delay_alu instid0(VALU_DEP_2) | instskip(NEXT) | instid1(VALU_DEP_1)
	v_add_nc_u32_e32 v24, v27, v24
	v_mov_b32_dpp v27, v24 row_shr:2 row_mask:0xf bank_mask:0xf
	s_delay_alu instid0(VALU_DEP_1) | instskip(SKIP_1) | instid1(VALU_DEP_2)
	v_cndmask_b32_e32 v27, 0, v27, vcc_lo
	v_cmp_lt_u32_e32 vcc_lo, 3, v26
	v_add_nc_u32_e32 v24, v24, v27
	s_delay_alu instid0(VALU_DEP_1) | instskip(NEXT) | instid1(VALU_DEP_1)
	v_mov_b32_dpp v27, v24 row_shr:4 row_mask:0xf bank_mask:0xf
	v_cndmask_b32_e32 v27, 0, v27, vcc_lo
	v_cmp_lt_u32_e32 vcc_lo, 7, v26
	s_delay_alu instid0(VALU_DEP_2) | instskip(NEXT) | instid1(VALU_DEP_1)
	v_add_nc_u32_e32 v24, v24, v27
	v_mov_b32_dpp v27, v24 row_shr:8 row_mask:0xf bank_mask:0xf
	s_delay_alu instid0(VALU_DEP_1) | instskip(NEXT) | instid1(VALU_DEP_1)
	v_dual_cndmask_b32 v26, 0, v27 :: v_dual_add_nc_u32 v27, -1, v25
	v_add_nc_u32_e32 v24, v24, v26
	s_delay_alu instid0(VALU_DEP_2) | instskip(SKIP_3) | instid1(VALU_DEP_2)
	v_cmp_gt_i32_e32 vcc_lo, 0, v27
	ds_swizzle_b32 v26, v24 offset:swizzle(BROADCAST,32,15)
	v_cndmask_b32_e32 v25, v27, v25, vcc_lo
	v_cmp_eq_u32_e32 vcc_lo, 0, v0
	v_lshlrev_b32_e32 v25, 2, v25
	s_waitcnt lgkmcnt(0)
	v_and_b32_e32 v26, v28, v26
	s_delay_alu instid0(VALU_DEP_1) | instskip(SKIP_3) | instid1(VALU_DEP_1)
	v_add_nc_u32_e32 v24, v24, v26
	ds_bpermute_b32 v24, v25, v24
	s_waitcnt lgkmcnt(0)
	v_add_nc_u32_e32 v5, v24, v5
	v_cndmask_b32_e32 v4, v5, v4, vcc_lo
	s_delay_alu instid0(VALU_DEP_1) | instskip(NEXT) | instid1(VALU_DEP_1)
	v_add_nc_u32_e32 v5, v4, v6
	v_add_nc_u32_e32 v6, v5, v10
	s_delay_alu instid0(VALU_DEP_1) | instskip(NEXT) | instid1(VALU_DEP_1)
	v_add_nc_u32_e32 v10, v6, v11
	v_add_nc_u32_e32 v11, v10, v12
	;; [unrolled: 3-line block ×7, first 2 shown]
	s_delay_alu instid0(VALU_DEP_1)
	v_add_nc_u32_e32 v22, v21, v23
	ds_store_2addr_b32 v7, v4, v5 offset1:1
	ds_store_2addr_b32 v7, v6, v10 offset0:2 offset1:3
	ds_store_2addr_b32 v7, v11, v12 offset0:4 offset1:5
	;; [unrolled: 1-line block ×7, first 2 shown]
.LBB234_2:
	s_or_b32 exec_lo, exec_lo, s2
	s_load_b32 s0, s[0:1], 0x8
	s_mov_b32 s1, exec_lo
	s_waitcnt lgkmcnt(0)
	s_barrier
	buffer_gl0_inv
	v_mov_b32_e32 v4, s0
	v_cmpx_ne_u32_e32 0, v0
	s_cbranch_execz .LBB234_4
; %bb.3:
	v_add_nc_u32_e32 v0, -1, v0
	s_delay_alu instid0(VALU_DEP_1) | instskip(NEXT) | instid1(VALU_DEP_1)
	v_lshrrev_b32_e32 v4, 5, v0
	v_add_lshl_u32 v0, v4, v0, 2
	ds_load_b32 v0, v0
	s_waitcnt lgkmcnt(0)
	v_add_nc_u32_e32 v4, s0, v0
.LBB234_4:
	s_or_b32 exec_lo, exec_lo, s1
	s_delay_alu instid0(VALU_DEP_1) | instskip(NEXT) | instid1(VALU_DEP_1)
	v_add_nc_u32_e32 v5, v4, v1
	v_add_nc_u32_e32 v6, v5, v2
	s_delay_alu instid0(VALU_DEP_1)
	v_add_nc_u32_e32 v7, v6, v3
	global_store_b128 v[8:9], v[4:7], off
	s_nop 0
	s_sendmsg sendmsg(MSG_DEALLOC_VGPRS)
	s_endpgm
	.section	.rodata,"a",@progbits
	.p2align	6, 0x0
	.amdhsa_kernel _Z27exclusive_scan_array_kernelILj512ELj4ELN6hipcub18BlockScanAlgorithmE1EjEvPT2_S2_
		.amdhsa_group_segment_fixed_size 2112
		.amdhsa_private_segment_fixed_size 0
		.amdhsa_kernarg_size 12
		.amdhsa_user_sgpr_count 15
		.amdhsa_user_sgpr_dispatch_ptr 0
		.amdhsa_user_sgpr_queue_ptr 0
		.amdhsa_user_sgpr_kernarg_segment_ptr 1
		.amdhsa_user_sgpr_dispatch_id 0
		.amdhsa_user_sgpr_private_segment_size 0
		.amdhsa_wavefront_size32 1
		.amdhsa_uses_dynamic_stack 0
		.amdhsa_enable_private_segment 0
		.amdhsa_system_sgpr_workgroup_id_x 1
		.amdhsa_system_sgpr_workgroup_id_y 0
		.amdhsa_system_sgpr_workgroup_id_z 0
		.amdhsa_system_sgpr_workgroup_info 0
		.amdhsa_system_vgpr_workitem_id 0
		.amdhsa_next_free_vgpr 29
		.amdhsa_next_free_sgpr 16
		.amdhsa_reserve_vcc 1
		.amdhsa_float_round_mode_32 0
		.amdhsa_float_round_mode_16_64 0
		.amdhsa_float_denorm_mode_32 3
		.amdhsa_float_denorm_mode_16_64 3
		.amdhsa_dx10_clamp 1
		.amdhsa_ieee_mode 1
		.amdhsa_fp16_overflow 0
		.amdhsa_workgroup_processor_mode 1
		.amdhsa_memory_ordered 1
		.amdhsa_forward_progress 0
		.amdhsa_shared_vgpr_count 0
		.amdhsa_exception_fp_ieee_invalid_op 0
		.amdhsa_exception_fp_denorm_src 0
		.amdhsa_exception_fp_ieee_div_zero 0
		.amdhsa_exception_fp_ieee_overflow 0
		.amdhsa_exception_fp_ieee_underflow 0
		.amdhsa_exception_fp_ieee_inexact 0
		.amdhsa_exception_int_div_zero 0
	.end_amdhsa_kernel
	.section	.text._Z27exclusive_scan_array_kernelILj512ELj4ELN6hipcub18BlockScanAlgorithmE1EjEvPT2_S2_,"axG",@progbits,_Z27exclusive_scan_array_kernelILj512ELj4ELN6hipcub18BlockScanAlgorithmE1EjEvPT2_S2_,comdat
.Lfunc_end234:
	.size	_Z27exclusive_scan_array_kernelILj512ELj4ELN6hipcub18BlockScanAlgorithmE1EjEvPT2_S2_, .Lfunc_end234-_Z27exclusive_scan_array_kernelILj512ELj4ELN6hipcub18BlockScanAlgorithmE1EjEvPT2_S2_
                                        ; -- End function
	.section	.AMDGPU.csdata,"",@progbits
; Kernel info:
; codeLenInByte = 800
; NumSgprs: 18
; NumVgprs: 29
; ScratchSize: 0
; MemoryBound: 0
; FloatMode: 240
; IeeeMode: 1
; LDSByteSize: 2112 bytes/workgroup (compile time only)
; SGPRBlocks: 2
; VGPRBlocks: 3
; NumSGPRsForWavesPerEU: 18
; NumVGPRsForWavesPerEU: 29
; Occupancy: 16
; WaveLimiterHint : 0
; COMPUTE_PGM_RSRC2:SCRATCH_EN: 0
; COMPUTE_PGM_RSRC2:USER_SGPR: 15
; COMPUTE_PGM_RSRC2:TRAP_HANDLER: 0
; COMPUTE_PGM_RSRC2:TGID_X_EN: 1
; COMPUTE_PGM_RSRC2:TGID_Y_EN: 0
; COMPUTE_PGM_RSRC2:TGID_Z_EN: 0
; COMPUTE_PGM_RSRC2:TIDIG_COMP_CNT: 0
	.section	.text._Z27exclusive_scan_array_kernelILj256ELj3ELN6hipcub18BlockScanAlgorithmE1EiEvPT2_S2_,"axG",@progbits,_Z27exclusive_scan_array_kernelILj256ELj3ELN6hipcub18BlockScanAlgorithmE1EiEvPT2_S2_,comdat
	.protected	_Z27exclusive_scan_array_kernelILj256ELj3ELN6hipcub18BlockScanAlgorithmE1EiEvPT2_S2_ ; -- Begin function _Z27exclusive_scan_array_kernelILj256ELj3ELN6hipcub18BlockScanAlgorithmE1EiEvPT2_S2_
	.globl	_Z27exclusive_scan_array_kernelILj256ELj3ELN6hipcub18BlockScanAlgorithmE1EiEvPT2_S2_
	.p2align	8
	.type	_Z27exclusive_scan_array_kernelILj256ELj3ELN6hipcub18BlockScanAlgorithmE1EiEvPT2_S2_,@function
_Z27exclusive_scan_array_kernelILj256ELj3ELN6hipcub18BlockScanAlgorithmE1EiEvPT2_S2_: ; @_Z27exclusive_scan_array_kernelILj256ELj3ELN6hipcub18BlockScanAlgorithmE1EiEvPT2_S2_
; %bb.0:
	s_load_b64 s[2:3], s[0:1], 0x0
	v_lshl_or_b32 v1, s15, 8, v0
	v_lshrrev_b32_e32 v10, 5, v0
	s_delay_alu instid0(VALU_DEP_2) | instskip(SKIP_1) | instid1(VALU_DEP_3)
	v_lshl_add_u32 v1, v1, 1, v1
	v_mov_b32_e32 v2, 0
	v_add_lshl_u32 v10, v10, v0, 2
	s_delay_alu instid0(VALU_DEP_2) | instskip(SKIP_2) | instid1(VALU_DEP_3)
	v_dual_mov_b32 v4, v2 :: v_dual_add_nc_u32 v3, 1, v1
	v_lshlrev_b64 v[5:6], 2, v[1:2]
	v_add_nc_u32_e32 v1, 2, v1
	v_lshlrev_b64 v[3:4], 2, v[3:4]
	s_delay_alu instid0(VALU_DEP_2) | instskip(SKIP_1) | instid1(VALU_DEP_4)
	v_lshlrev_b64 v[7:8], 2, v[1:2]
	s_waitcnt lgkmcnt(0)
	v_add_co_u32 v1, vcc_lo, s2, v5
	v_add_co_ci_u32_e32 v2, vcc_lo, s3, v6, vcc_lo
	s_delay_alu instid0(VALU_DEP_4)
	v_add_co_u32 v3, vcc_lo, s2, v3
	v_add_co_ci_u32_e32 v4, vcc_lo, s3, v4, vcc_lo
	v_add_co_u32 v5, vcc_lo, s2, v7
	v_add_co_ci_u32_e32 v6, vcc_lo, s3, v8, vcc_lo
	s_clause 0x2
	global_load_b32 v7, v[1:2], off
	global_load_b32 v8, v[3:4], off
	;; [unrolled: 1-line block ×3, first 2 shown]
	s_mov_b32 s2, exec_lo
	s_waitcnt vmcnt(0)
	v_add3_u32 v9, v8, v7, v9
	ds_store_b32 v10, v9
	s_waitcnt lgkmcnt(0)
	s_barrier
	buffer_gl0_inv
	v_cmpx_gt_u32_e32 32, v0
	s_cbranch_execz .LBB235_2
; %bb.1:
	v_and_b32_e32 v10, 0xfc, v0
	v_mbcnt_lo_u32_b32 v20, -1, 0
	s_delay_alu instid0(VALU_DEP_2) | instskip(NEXT) | instid1(VALU_DEP_2)
	v_lshl_or_b32 v18, v0, 5, v10
	v_add_nc_u32_e32 v23, -1, v20
	ds_load_2addr_b32 v[10:11], v18 offset1:1
	ds_load_2addr_b32 v[12:13], v18 offset0:2 offset1:3
	ds_load_2addr_b32 v[14:15], v18 offset0:4 offset1:5
	;; [unrolled: 1-line block ×3, first 2 shown]
	s_waitcnt lgkmcnt(3)
	v_add_nc_u32_e32 v19, v11, v10
	s_waitcnt lgkmcnt(2)
	s_delay_alu instid0(VALU_DEP_1) | instskip(SKIP_1) | instid1(VALU_DEP_1)
	v_add3_u32 v19, v19, v12, v13
	s_waitcnt lgkmcnt(1)
	v_add3_u32 v19, v19, v14, v15
	s_waitcnt lgkmcnt(0)
	s_delay_alu instid0(VALU_DEP_1) | instskip(NEXT) | instid1(VALU_DEP_1)
	v_add3_u32 v19, v19, v16, v17
	v_mov_b32_dpp v22, v19 row_shr:1 row_mask:0xf bank_mask:0xf
	v_and_b32_e32 v21, 15, v20
	s_delay_alu instid0(VALU_DEP_1) | instskip(NEXT) | instid1(VALU_DEP_3)
	v_cmp_ne_u32_e32 vcc_lo, 0, v21
	v_cndmask_b32_e32 v22, 0, v22, vcc_lo
	v_cmp_lt_u32_e32 vcc_lo, 1, v21
	s_delay_alu instid0(VALU_DEP_2) | instskip(NEXT) | instid1(VALU_DEP_1)
	v_add_nc_u32_e32 v19, v22, v19
	v_mov_b32_dpp v22, v19 row_shr:2 row_mask:0xf bank_mask:0xf
	s_delay_alu instid0(VALU_DEP_1) | instskip(SKIP_1) | instid1(VALU_DEP_2)
	v_cndmask_b32_e32 v22, 0, v22, vcc_lo
	v_cmp_lt_u32_e32 vcc_lo, 3, v21
	v_add_nc_u32_e32 v19, v19, v22
	s_delay_alu instid0(VALU_DEP_1) | instskip(NEXT) | instid1(VALU_DEP_1)
	v_mov_b32_dpp v22, v19 row_shr:4 row_mask:0xf bank_mask:0xf
	v_cndmask_b32_e32 v22, 0, v22, vcc_lo
	v_cmp_lt_u32_e32 vcc_lo, 7, v21
	s_delay_alu instid0(VALU_DEP_2) | instskip(NEXT) | instid1(VALU_DEP_1)
	v_add_nc_u32_e32 v19, v19, v22
	v_mov_b32_dpp v22, v19 row_shr:8 row_mask:0xf bank_mask:0xf
	s_delay_alu instid0(VALU_DEP_1) | instskip(SKIP_2) | instid1(VALU_DEP_3)
	v_cndmask_b32_e32 v21, 0, v22, vcc_lo
	v_bfe_i32 v22, v20, 4, 1
	v_cmp_gt_i32_e32 vcc_lo, 0, v23
	v_add_nc_u32_e32 v19, v19, v21
	v_cndmask_b32_e32 v20, v23, v20, vcc_lo
	v_cmp_eq_u32_e32 vcc_lo, 0, v0
	ds_swizzle_b32 v21, v19 offset:swizzle(BROADCAST,32,15)
	v_lshlrev_b32_e32 v20, 2, v20
	s_waitcnt lgkmcnt(0)
	v_and_b32_e32 v21, v22, v21
	s_delay_alu instid0(VALU_DEP_1) | instskip(SKIP_3) | instid1(VALU_DEP_1)
	v_add_nc_u32_e32 v19, v19, v21
	ds_bpermute_b32 v19, v20, v19
	s_waitcnt lgkmcnt(0)
	v_add_nc_u32_e32 v10, v19, v10
	v_cndmask_b32_e32 v9, v10, v9, vcc_lo
	s_delay_alu instid0(VALU_DEP_1) | instskip(NEXT) | instid1(VALU_DEP_1)
	v_add_nc_u32_e32 v10, v9, v11
	v_add_nc_u32_e32 v11, v10, v12
	s_delay_alu instid0(VALU_DEP_1) | instskip(NEXT) | instid1(VALU_DEP_1)
	v_add_nc_u32_e32 v12, v11, v13
	v_add_nc_u32_e32 v13, v12, v14
	;; [unrolled: 3-line block ×3, first 2 shown]
	s_delay_alu instid0(VALU_DEP_1)
	v_add_nc_u32_e32 v16, v15, v17
	ds_store_2addr_b32 v18, v9, v10 offset1:1
	ds_store_2addr_b32 v18, v11, v12 offset0:2 offset1:3
	ds_store_2addr_b32 v18, v13, v14 offset0:4 offset1:5
	;; [unrolled: 1-line block ×3, first 2 shown]
.LBB235_2:
	s_or_b32 exec_lo, exec_lo, s2
	s_load_b32 s0, s[0:1], 0x8
	s_mov_b32 s1, exec_lo
	s_waitcnt lgkmcnt(0)
	s_barrier
	buffer_gl0_inv
	v_mov_b32_e32 v9, s0
	v_cmpx_ne_u32_e32 0, v0
	s_cbranch_execz .LBB235_4
; %bb.3:
	v_add_nc_u32_e32 v0, -1, v0
	s_delay_alu instid0(VALU_DEP_1) | instskip(NEXT) | instid1(VALU_DEP_1)
	v_lshrrev_b32_e32 v9, 5, v0
	v_add_lshl_u32 v0, v9, v0, 2
	ds_load_b32 v0, v0
	s_waitcnt lgkmcnt(0)
	v_add_nc_u32_e32 v9, s0, v0
.LBB235_4:
	s_or_b32 exec_lo, exec_lo, s1
	s_delay_alu instid0(VALU_DEP_1) | instskip(NEXT) | instid1(VALU_DEP_1)
	v_add_nc_u32_e32 v0, v9, v7
	v_add_nc_u32_e32 v7, v0, v8
	s_clause 0x2
	global_store_b32 v[1:2], v9, off
	global_store_b32 v[3:4], v0, off
	;; [unrolled: 1-line block ×3, first 2 shown]
	s_nop 0
	s_sendmsg sendmsg(MSG_DEALLOC_VGPRS)
	s_endpgm
	.section	.rodata,"a",@progbits
	.p2align	6, 0x0
	.amdhsa_kernel _Z27exclusive_scan_array_kernelILj256ELj3ELN6hipcub18BlockScanAlgorithmE1EiEvPT2_S2_
		.amdhsa_group_segment_fixed_size 1056
		.amdhsa_private_segment_fixed_size 0
		.amdhsa_kernarg_size 12
		.amdhsa_user_sgpr_count 15
		.amdhsa_user_sgpr_dispatch_ptr 0
		.amdhsa_user_sgpr_queue_ptr 0
		.amdhsa_user_sgpr_kernarg_segment_ptr 1
		.amdhsa_user_sgpr_dispatch_id 0
		.amdhsa_user_sgpr_private_segment_size 0
		.amdhsa_wavefront_size32 1
		.amdhsa_uses_dynamic_stack 0
		.amdhsa_enable_private_segment 0
		.amdhsa_system_sgpr_workgroup_id_x 1
		.amdhsa_system_sgpr_workgroup_id_y 0
		.amdhsa_system_sgpr_workgroup_id_z 0
		.amdhsa_system_sgpr_workgroup_info 0
		.amdhsa_system_vgpr_workitem_id 0
		.amdhsa_next_free_vgpr 24
		.amdhsa_next_free_sgpr 16
		.amdhsa_reserve_vcc 1
		.amdhsa_float_round_mode_32 0
		.amdhsa_float_round_mode_16_64 0
		.amdhsa_float_denorm_mode_32 3
		.amdhsa_float_denorm_mode_16_64 3
		.amdhsa_dx10_clamp 1
		.amdhsa_ieee_mode 1
		.amdhsa_fp16_overflow 0
		.amdhsa_workgroup_processor_mode 1
		.amdhsa_memory_ordered 1
		.amdhsa_forward_progress 0
		.amdhsa_shared_vgpr_count 0
		.amdhsa_exception_fp_ieee_invalid_op 0
		.amdhsa_exception_fp_denorm_src 0
		.amdhsa_exception_fp_ieee_div_zero 0
		.amdhsa_exception_fp_ieee_overflow 0
		.amdhsa_exception_fp_ieee_underflow 0
		.amdhsa_exception_fp_ieee_inexact 0
		.amdhsa_exception_int_div_zero 0
	.end_amdhsa_kernel
	.section	.text._Z27exclusive_scan_array_kernelILj256ELj3ELN6hipcub18BlockScanAlgorithmE1EiEvPT2_S2_,"axG",@progbits,_Z27exclusive_scan_array_kernelILj256ELj3ELN6hipcub18BlockScanAlgorithmE1EiEvPT2_S2_,comdat
.Lfunc_end235:
	.size	_Z27exclusive_scan_array_kernelILj256ELj3ELN6hipcub18BlockScanAlgorithmE1EiEvPT2_S2_, .Lfunc_end235-_Z27exclusive_scan_array_kernelILj256ELj3ELN6hipcub18BlockScanAlgorithmE1EiEvPT2_S2_
                                        ; -- End function
	.section	.AMDGPU.csdata,"",@progbits
; Kernel info:
; codeLenInByte = 712
; NumSgprs: 18
; NumVgprs: 24
; ScratchSize: 0
; MemoryBound: 0
; FloatMode: 240
; IeeeMode: 1
; LDSByteSize: 1056 bytes/workgroup (compile time only)
; SGPRBlocks: 2
; VGPRBlocks: 2
; NumSGPRsForWavesPerEU: 18
; NumVGPRsForWavesPerEU: 24
; Occupancy: 16
; WaveLimiterHint : 0
; COMPUTE_PGM_RSRC2:SCRATCH_EN: 0
; COMPUTE_PGM_RSRC2:USER_SGPR: 15
; COMPUTE_PGM_RSRC2:TRAP_HANDLER: 0
; COMPUTE_PGM_RSRC2:TGID_X_EN: 1
; COMPUTE_PGM_RSRC2:TGID_Y_EN: 0
; COMPUTE_PGM_RSRC2:TGID_Z_EN: 0
; COMPUTE_PGM_RSRC2:TIDIG_COMP_CNT: 0
	.section	.text._Z27exclusive_scan_array_kernelILj32ELj2ELN6hipcub18BlockScanAlgorithmE1EfEvPT2_S2_,"axG",@progbits,_Z27exclusive_scan_array_kernelILj32ELj2ELN6hipcub18BlockScanAlgorithmE1EfEvPT2_S2_,comdat
	.protected	_Z27exclusive_scan_array_kernelILj32ELj2ELN6hipcub18BlockScanAlgorithmE1EfEvPT2_S2_ ; -- Begin function _Z27exclusive_scan_array_kernelILj32ELj2ELN6hipcub18BlockScanAlgorithmE1EfEvPT2_S2_
	.globl	_Z27exclusive_scan_array_kernelILj32ELj2ELN6hipcub18BlockScanAlgorithmE1EfEvPT2_S2_
	.p2align	8
	.type	_Z27exclusive_scan_array_kernelILj32ELj2ELN6hipcub18BlockScanAlgorithmE1EfEvPT2_S2_,@function
_Z27exclusive_scan_array_kernelILj32ELj2ELN6hipcub18BlockScanAlgorithmE1EfEvPT2_S2_: ; @_Z27exclusive_scan_array_kernelILj32ELj2ELN6hipcub18BlockScanAlgorithmE1EfEvPT2_S2_
; %bb.0:
	s_load_b64 s[2:3], s[0:1], 0x0
	v_lshlrev_b32_e32 v1, 1, v0
	v_mov_b32_e32 v5, 0
	s_delay_alu instid0(VALU_DEP_2) | instskip(NEXT) | instid1(VALU_DEP_1)
	v_lshl_or_b32 v4, s15, 6, v1
	v_lshlrev_b64 v[1:2], 2, v[4:5]
	s_waitcnt lgkmcnt(0)
	s_delay_alu instid0(VALU_DEP_1) | instskip(NEXT) | instid1(VALU_DEP_2)
	v_add_co_u32 v1, vcc_lo, s2, v1
	v_add_co_ci_u32_e32 v2, vcc_lo, s3, v2, vcc_lo
	s_mov_b32 s2, exec_lo
	global_load_b64 v[3:4], v[1:2], off
	s_waitcnt vmcnt(0)
	v_add_f32_e32 v6, v3, v4
	v_mbcnt_lo_u32_b32 v4, -1, 0
	s_delay_alu instid0(VALU_DEP_2) | instskip(NEXT) | instid1(VALU_DEP_1)
	v_mov_b32_dpp v7, v6 row_shr:1 row_mask:0xf bank_mask:0xf
	v_dual_add_f32 v7, v6, v7 :: v_dual_and_b32 v8, 15, v4
	s_delay_alu instid0(VALU_DEP_1) | instskip(NEXT) | instid1(VALU_DEP_2)
	v_cmp_eq_u32_e32 vcc_lo, 0, v8
	v_cndmask_b32_e32 v6, v7, v6, vcc_lo
	v_cmp_lt_u32_e32 vcc_lo, 1, v8
	s_delay_alu instid0(VALU_DEP_2) | instskip(NEXT) | instid1(VALU_DEP_1)
	v_mov_b32_dpp v7, v6 row_shr:2 row_mask:0xf bank_mask:0xf
	v_add_f32_e32 v7, v6, v7
	s_delay_alu instid0(VALU_DEP_1) | instskip(SKIP_1) | instid1(VALU_DEP_2)
	v_cndmask_b32_e32 v6, v6, v7, vcc_lo
	v_cmp_lt_u32_e32 vcc_lo, 3, v8
	v_mov_b32_dpp v7, v6 row_shr:4 row_mask:0xf bank_mask:0xf
	s_delay_alu instid0(VALU_DEP_1) | instskip(NEXT) | instid1(VALU_DEP_1)
	v_add_f32_e32 v7, v6, v7
	v_cndmask_b32_e32 v6, v6, v7, vcc_lo
	v_cmp_lt_u32_e32 vcc_lo, 7, v8
	v_and_b32_e32 v8, 16, v4
	s_delay_alu instid0(VALU_DEP_3) | instskip(NEXT) | instid1(VALU_DEP_1)
	v_mov_b32_dpp v7, v6 row_shr:8 row_mask:0xf bank_mask:0xf
	v_add_f32_e32 v7, v6, v7
	s_delay_alu instid0(VALU_DEP_1) | instskip(NEXT) | instid1(VALU_DEP_4)
	v_cndmask_b32_e32 v6, v6, v7, vcc_lo
	v_cmp_eq_u32_e32 vcc_lo, 0, v8
	ds_swizzle_b32 v7, v6 offset:swizzle(BROADCAST,32,15)
	s_waitcnt lgkmcnt(0)
	v_add_f32_e32 v7, v6, v7
	s_delay_alu instid0(VALU_DEP_1)
	v_cndmask_b32_e32 v6, v7, v6, vcc_lo
	v_cmpx_eq_u32_e32 31, v0
	s_cbranch_execz .LBB236_2
; %bb.1:
	ds_store_b32 v5, v6
.LBB236_2:
	s_or_b32 exec_lo, exec_lo, s2
	s_load_b32 s1, s[0:1], 0x8
	v_add_nc_u32_e32 v5, -1, v4
	v_cmp_eq_u32_e64 s0, 0, v0
	s_waitcnt vmcnt(0) lgkmcnt(0)
	s_waitcnt_vscnt null, 0x0
	; wave barrier
	s_waitcnt lgkmcnt(0)
	buffer_gl0_inv
	v_add_f32_e32 v6, s1, v6
	v_cmp_gt_i32_e32 vcc_lo, 0, v5
	v_cndmask_b32_e32 v5, v5, v4, vcc_lo
	v_cmp_eq_u32_e32 vcc_lo, 0, v4
	s_delay_alu instid0(VALU_DEP_2) | instskip(SKIP_4) | instid1(VALU_DEP_1)
	v_lshlrev_b32_e32 v5, 2, v5
	s_or_b32 s0, s0, vcc_lo
	ds_bpermute_b32 v5, v5, v6
	s_waitcnt lgkmcnt(0)
	v_cndmask_b32_e64 v4, v5, s1, s0
	v_add_f32_e32 v5, v3, v4
	global_store_b64 v[1:2], v[4:5], off
	s_nop 0
	s_sendmsg sendmsg(MSG_DEALLOC_VGPRS)
	s_endpgm
	.section	.rodata,"a",@progbits
	.p2align	6, 0x0
	.amdhsa_kernel _Z27exclusive_scan_array_kernelILj32ELj2ELN6hipcub18BlockScanAlgorithmE1EfEvPT2_S2_
		.amdhsa_group_segment_fixed_size 4
		.amdhsa_private_segment_fixed_size 0
		.amdhsa_kernarg_size 12
		.amdhsa_user_sgpr_count 15
		.amdhsa_user_sgpr_dispatch_ptr 0
		.amdhsa_user_sgpr_queue_ptr 0
		.amdhsa_user_sgpr_kernarg_segment_ptr 1
		.amdhsa_user_sgpr_dispatch_id 0
		.amdhsa_user_sgpr_private_segment_size 0
		.amdhsa_wavefront_size32 1
		.amdhsa_uses_dynamic_stack 0
		.amdhsa_enable_private_segment 0
		.amdhsa_system_sgpr_workgroup_id_x 1
		.amdhsa_system_sgpr_workgroup_id_y 0
		.amdhsa_system_sgpr_workgroup_id_z 0
		.amdhsa_system_sgpr_workgroup_info 0
		.amdhsa_system_vgpr_workitem_id 0
		.amdhsa_next_free_vgpr 9
		.amdhsa_next_free_sgpr 16
		.amdhsa_reserve_vcc 1
		.amdhsa_float_round_mode_32 0
		.amdhsa_float_round_mode_16_64 0
		.amdhsa_float_denorm_mode_32 3
		.amdhsa_float_denorm_mode_16_64 3
		.amdhsa_dx10_clamp 1
		.amdhsa_ieee_mode 1
		.amdhsa_fp16_overflow 0
		.amdhsa_workgroup_processor_mode 1
		.amdhsa_memory_ordered 1
		.amdhsa_forward_progress 0
		.amdhsa_shared_vgpr_count 0
		.amdhsa_exception_fp_ieee_invalid_op 0
		.amdhsa_exception_fp_denorm_src 0
		.amdhsa_exception_fp_ieee_div_zero 0
		.amdhsa_exception_fp_ieee_overflow 0
		.amdhsa_exception_fp_ieee_underflow 0
		.amdhsa_exception_fp_ieee_inexact 0
		.amdhsa_exception_int_div_zero 0
	.end_amdhsa_kernel
	.section	.text._Z27exclusive_scan_array_kernelILj32ELj2ELN6hipcub18BlockScanAlgorithmE1EfEvPT2_S2_,"axG",@progbits,_Z27exclusive_scan_array_kernelILj32ELj2ELN6hipcub18BlockScanAlgorithmE1EfEvPT2_S2_,comdat
.Lfunc_end236:
	.size	_Z27exclusive_scan_array_kernelILj32ELj2ELN6hipcub18BlockScanAlgorithmE1EfEvPT2_S2_, .Lfunc_end236-_Z27exclusive_scan_array_kernelILj32ELj2ELN6hipcub18BlockScanAlgorithmE1EfEvPT2_S2_
                                        ; -- End function
	.section	.AMDGPU.csdata,"",@progbits
; Kernel info:
; codeLenInByte = 360
; NumSgprs: 18
; NumVgprs: 9
; ScratchSize: 0
; MemoryBound: 0
; FloatMode: 240
; IeeeMode: 1
; LDSByteSize: 4 bytes/workgroup (compile time only)
; SGPRBlocks: 2
; VGPRBlocks: 1
; NumSGPRsForWavesPerEU: 18
; NumVGPRsForWavesPerEU: 9
; Occupancy: 16
; WaveLimiterHint : 0
; COMPUTE_PGM_RSRC2:SCRATCH_EN: 0
; COMPUTE_PGM_RSRC2:USER_SGPR: 15
; COMPUTE_PGM_RSRC2:TRAP_HANDLER: 0
; COMPUTE_PGM_RSRC2:TGID_X_EN: 1
; COMPUTE_PGM_RSRC2:TGID_Y_EN: 0
; COMPUTE_PGM_RSRC2:TGID_Z_EN: 0
; COMPUTE_PGM_RSRC2:TIDIG_COMP_CNT: 0
	.section	.text._Z27exclusive_scan_array_kernelILj6ELj32ELN6hipcub18BlockScanAlgorithmE1EfEvPT2_S2_,"axG",@progbits,_Z27exclusive_scan_array_kernelILj6ELj32ELN6hipcub18BlockScanAlgorithmE1EfEvPT2_S2_,comdat
	.protected	_Z27exclusive_scan_array_kernelILj6ELj32ELN6hipcub18BlockScanAlgorithmE1EfEvPT2_S2_ ; -- Begin function _Z27exclusive_scan_array_kernelILj6ELj32ELN6hipcub18BlockScanAlgorithmE1EfEvPT2_S2_
	.globl	_Z27exclusive_scan_array_kernelILj6ELj32ELN6hipcub18BlockScanAlgorithmE1EfEvPT2_S2_
	.p2align	8
	.type	_Z27exclusive_scan_array_kernelILj6ELj32ELN6hipcub18BlockScanAlgorithmE1EfEvPT2_S2_,@function
_Z27exclusive_scan_array_kernelILj6ELj32ELN6hipcub18BlockScanAlgorithmE1EfEvPT2_S2_: ; @_Z27exclusive_scan_array_kernelILj6ELj32ELN6hipcub18BlockScanAlgorithmE1EfEvPT2_S2_
; %bb.0:
	s_load_b64 s[2:3], s[0:1], 0x0
	s_mul_i32 s15, s15, 6
	v_mov_b32_e32 v35, 0
	v_add_lshl_u32 v34, s15, v0, 5
	s_delay_alu instid0(VALU_DEP_1) | instskip(SKIP_1) | instid1(VALU_DEP_1)
	v_lshlrev_b64 v[1:2], 2, v[34:35]
	s_waitcnt lgkmcnt(0)
	v_add_co_u32 v33, vcc_lo, s2, v1
	s_delay_alu instid0(VALU_DEP_2)
	v_add_co_ci_u32_e32 v34, vcc_lo, s3, v2, vcc_lo
	s_mov_b32 s2, exec_lo
	s_clause 0x7
	global_load_b128 v[29:32], v[33:34], off
	global_load_b128 v[25:28], v[33:34], off offset:16
	global_load_b128 v[21:24], v[33:34], off offset:32
	;; [unrolled: 1-line block ×7, first 2 shown]
	s_waitcnt vmcnt(7)
	v_add_f32_e32 v36, v29, v30
	s_delay_alu instid0(VALU_DEP_1) | instskip(NEXT) | instid1(VALU_DEP_1)
	v_add_f32_e32 v36, v36, v31
	v_add_f32_e32 v36, v36, v32
	s_waitcnt vmcnt(6)
	s_delay_alu instid0(VALU_DEP_1) | instskip(NEXT) | instid1(VALU_DEP_1)
	v_add_f32_e32 v36, v36, v25
	v_add_f32_e32 v36, v36, v26
	s_delay_alu instid0(VALU_DEP_1) | instskip(NEXT) | instid1(VALU_DEP_1)
	v_add_f32_e32 v36, v36, v27
	v_add_f32_e32 v36, v36, v28
	s_waitcnt vmcnt(5)
	s_delay_alu instid0(VALU_DEP_1) | instskip(NEXT) | instid1(VALU_DEP_1)
	v_add_f32_e32 v36, v36, v21
	;; [unrolled: 7-line block ×7, first 2 shown]
	v_add_f32_e32 v36, v36, v2
	s_delay_alu instid0(VALU_DEP_1) | instskip(NEXT) | instid1(VALU_DEP_1)
	v_add_f32_e32 v36, v36, v3
	v_add_f32_e32 v36, v36, v4
	v_mbcnt_lo_u32_b32 v4, -1, 0
	s_delay_alu instid0(VALU_DEP_2) | instskip(NEXT) | instid1(VALU_DEP_1)
	v_mov_b32_dpp v37, v36 row_shr:1 row_mask:0xf bank_mask:0xf
	v_dual_add_f32 v37, v36, v37 :: v_dual_and_b32 v38, 7, v4
	s_delay_alu instid0(VALU_DEP_1) | instskip(NEXT) | instid1(VALU_DEP_2)
	v_cmp_eq_u32_e32 vcc_lo, 0, v38
	v_cndmask_b32_e32 v36, v37, v36, vcc_lo
	v_cmp_lt_u32_e32 vcc_lo, 1, v38
	s_delay_alu instid0(VALU_DEP_2) | instskip(NEXT) | instid1(VALU_DEP_1)
	v_mov_b32_dpp v37, v36 row_shr:2 row_mask:0xf bank_mask:0xf
	v_add_f32_e32 v37, v36, v37
	s_delay_alu instid0(VALU_DEP_1) | instskip(SKIP_1) | instid1(VALU_DEP_2)
	v_cndmask_b32_e32 v36, v36, v37, vcc_lo
	v_cmp_lt_u32_e32 vcc_lo, 3, v38
	v_mov_b32_dpp v37, v36 row_shr:4 row_mask:0xf bank_mask:0xf
	s_delay_alu instid0(VALU_DEP_1) | instskip(NEXT) | instid1(VALU_DEP_1)
	v_add_f32_e32 v37, v36, v37
	v_cndmask_b32_e32 v36, v36, v37, vcc_lo
	v_cmpx_eq_u32_e32 5, v0
	s_cbranch_execz .LBB237_2
; %bb.1:
	ds_store_b32 v35, v36
.LBB237_2:
	s_or_b32 exec_lo, exec_lo, s2
	s_load_b32 s1, s[0:1], 0x8
	v_add_nc_u32_e32 v35, -1, v4
	v_and_b32_e32 v37, 24, v4
	v_cmp_eq_u32_e64 s0, 0, v0
	s_waitcnt vmcnt(0) lgkmcnt(0)
	s_waitcnt_vscnt null, 0x0
	; wave barrier
	s_waitcnt lgkmcnt(0)
	buffer_gl0_inv
	v_cmp_lt_i32_e32 vcc_lo, v35, v37
	v_cndmask_b32_e32 v35, v35, v4, vcc_lo
	v_cmp_eq_u32_e32 vcc_lo, 0, v4
	s_delay_alu instid0(VALU_DEP_2)
	v_lshlrev_b32_e32 v35, 2, v35
	s_or_b32 s0, s0, vcc_lo
	v_add_f32_e32 v36, s1, v36
	ds_bpermute_b32 v35, v35, v36
	s_waitcnt lgkmcnt(0)
	v_cndmask_b32_e64 v35, v35, s1, s0
	s_delay_alu instid0(VALU_DEP_1) | instskip(NEXT) | instid1(VALU_DEP_1)
	v_add_f32_e32 v36, v29, v35
	v_add_f32_e32 v37, v30, v36
	s_delay_alu instid0(VALU_DEP_1) | instskip(NEXT) | instid1(VALU_DEP_1)
	v_add_f32_e32 v38, v37, v31
	v_add_f32_e32 v29, v38, v32
	;; [unrolled: 3-line block ×5, first 2 shown]
	s_delay_alu instid0(VALU_DEP_1) | instskip(SKIP_4) | instid1(VALU_DEP_1)
	v_add_f32_e32 v28, v27, v23
	s_clause 0x1
	global_store_b128 v[33:34], v[35:38], off
	global_store_b128 v[33:34], v[29:32], off offset:16
	v_add_f32_e32 v21, v28, v24
	v_add_f32_e32 v22, v21, v13
	s_delay_alu instid0(VALU_DEP_1) | instskip(NEXT) | instid1(VALU_DEP_1)
	v_add_f32_e32 v23, v22, v14
	v_add_f32_e32 v24, v23, v15
	s_delay_alu instid0(VALU_DEP_1) | instskip(NEXT) | instid1(VALU_DEP_1)
	;; [unrolled: 3-line block ×9, first 2 shown]
	v_add_f32_e32 v2, v1, v2
	v_add_f32_e32 v3, v2, v3
	s_clause 0x5
	global_store_b128 v[33:34], v[25:28], off offset:32
	global_store_b128 v[33:34], v[21:24], off offset:48
	;; [unrolled: 1-line block ×6, first 2 shown]
	s_nop 0
	s_sendmsg sendmsg(MSG_DEALLOC_VGPRS)
	s_endpgm
	.section	.rodata,"a",@progbits
	.p2align	6, 0x0
	.amdhsa_kernel _Z27exclusive_scan_array_kernelILj6ELj32ELN6hipcub18BlockScanAlgorithmE1EfEvPT2_S2_
		.amdhsa_group_segment_fixed_size 4
		.amdhsa_private_segment_fixed_size 0
		.amdhsa_kernarg_size 12
		.amdhsa_user_sgpr_count 15
		.amdhsa_user_sgpr_dispatch_ptr 0
		.amdhsa_user_sgpr_queue_ptr 0
		.amdhsa_user_sgpr_kernarg_segment_ptr 1
		.amdhsa_user_sgpr_dispatch_id 0
		.amdhsa_user_sgpr_private_segment_size 0
		.amdhsa_wavefront_size32 1
		.amdhsa_uses_dynamic_stack 0
		.amdhsa_enable_private_segment 0
		.amdhsa_system_sgpr_workgroup_id_x 1
		.amdhsa_system_sgpr_workgroup_id_y 0
		.amdhsa_system_sgpr_workgroup_id_z 0
		.amdhsa_system_sgpr_workgroup_info 0
		.amdhsa_system_vgpr_workitem_id 0
		.amdhsa_next_free_vgpr 39
		.amdhsa_next_free_sgpr 16
		.amdhsa_reserve_vcc 1
		.amdhsa_float_round_mode_32 0
		.amdhsa_float_round_mode_16_64 0
		.amdhsa_float_denorm_mode_32 3
		.amdhsa_float_denorm_mode_16_64 3
		.amdhsa_dx10_clamp 1
		.amdhsa_ieee_mode 1
		.amdhsa_fp16_overflow 0
		.amdhsa_workgroup_processor_mode 1
		.amdhsa_memory_ordered 1
		.amdhsa_forward_progress 0
		.amdhsa_shared_vgpr_count 0
		.amdhsa_exception_fp_ieee_invalid_op 0
		.amdhsa_exception_fp_denorm_src 0
		.amdhsa_exception_fp_ieee_div_zero 0
		.amdhsa_exception_fp_ieee_overflow 0
		.amdhsa_exception_fp_ieee_underflow 0
		.amdhsa_exception_fp_ieee_inexact 0
		.amdhsa_exception_int_div_zero 0
	.end_amdhsa_kernel
	.section	.text._Z27exclusive_scan_array_kernelILj6ELj32ELN6hipcub18BlockScanAlgorithmE1EfEvPT2_S2_,"axG",@progbits,_Z27exclusive_scan_array_kernelILj6ELj32ELN6hipcub18BlockScanAlgorithmE1EfEvPT2_S2_,comdat
.Lfunc_end237:
	.size	_Z27exclusive_scan_array_kernelILj6ELj32ELN6hipcub18BlockScanAlgorithmE1EfEvPT2_S2_, .Lfunc_end237-_Z27exclusive_scan_array_kernelILj6ELj32ELN6hipcub18BlockScanAlgorithmE1EfEvPT2_S2_
                                        ; -- End function
	.section	.AMDGPU.csdata,"",@progbits
; Kernel info:
; codeLenInByte = 816
; NumSgprs: 18
; NumVgprs: 39
; ScratchSize: 0
; MemoryBound: 0
; FloatMode: 240
; IeeeMode: 1
; LDSByteSize: 4 bytes/workgroup (compile time only)
; SGPRBlocks: 2
; VGPRBlocks: 4
; NumSGPRsForWavesPerEU: 18
; NumVGPRsForWavesPerEU: 39
; Occupancy: 16
; WaveLimiterHint : 0
; COMPUTE_PGM_RSRC2:SCRATCH_EN: 0
; COMPUTE_PGM_RSRC2:USER_SGPR: 15
; COMPUTE_PGM_RSRC2:TRAP_HANDLER: 0
; COMPUTE_PGM_RSRC2:TGID_X_EN: 1
; COMPUTE_PGM_RSRC2:TGID_Y_EN: 0
; COMPUTE_PGM_RSRC2:TGID_Z_EN: 0
; COMPUTE_PGM_RSRC2:TIDIG_COMP_CNT: 0
	.section	.text._Z27exclusive_scan_array_kernelILj16ELj5ELN6hipcub18BlockScanAlgorithmE0E12hip_bfloat16EvPT2_S3_,"axG",@progbits,_Z27exclusive_scan_array_kernelILj16ELj5ELN6hipcub18BlockScanAlgorithmE0E12hip_bfloat16EvPT2_S3_,comdat
	.protected	_Z27exclusive_scan_array_kernelILj16ELj5ELN6hipcub18BlockScanAlgorithmE0E12hip_bfloat16EvPT2_S3_ ; -- Begin function _Z27exclusive_scan_array_kernelILj16ELj5ELN6hipcub18BlockScanAlgorithmE0E12hip_bfloat16EvPT2_S3_
	.globl	_Z27exclusive_scan_array_kernelILj16ELj5ELN6hipcub18BlockScanAlgorithmE0E12hip_bfloat16EvPT2_S3_
	.p2align	8
	.type	_Z27exclusive_scan_array_kernelILj16ELj5ELN6hipcub18BlockScanAlgorithmE0E12hip_bfloat16EvPT2_S3_,@function
_Z27exclusive_scan_array_kernelILj16ELj5ELN6hipcub18BlockScanAlgorithmE0E12hip_bfloat16EvPT2_S3_: ; @_Z27exclusive_scan_array_kernelILj16ELj5ELN6hipcub18BlockScanAlgorithmE0E12hip_bfloat16EvPT2_S3_
; %bb.0:
	s_load_b64 s[2:3], s[0:1], 0x0
	v_lshl_or_b32 v1, s15, 4, v0
	s_delay_alu instid0(VALU_DEP_1) | instskip(NEXT) | instid1(VALU_DEP_1)
	v_lshl_add_u32 v8, v1, 2, v1
	v_dual_mov_b32 v9, 0 :: v_dual_add_nc_u32 v10, 2, v8
	s_delay_alu instid0(VALU_DEP_1) | instskip(SKIP_3) | instid1(VALU_DEP_4)
	v_dual_mov_b32 v2, v9 :: v_dual_add_nc_u32 v1, 1, v8
	v_dual_mov_b32 v4, v9 :: v_dual_add_nc_u32 v3, 3, v8
	v_lshlrev_b64 v[5:6], 1, v[8:9]
	v_add_nc_u32_e32 v8, 4, v8
	v_lshlrev_b64 v[11:12], 1, v[1:2]
	s_delay_alu instid0(VALU_DEP_4) | instskip(NEXT) | instid1(VALU_DEP_3)
	v_lshlrev_b64 v[1:2], 1, v[3:4]
	v_lshlrev_b64 v[7:8], 1, v[8:9]
	s_waitcnt lgkmcnt(0)
	v_add_co_u32 v3, vcc_lo, s2, v5
	v_add_co_ci_u32_e32 v4, vcc_lo, s3, v6, vcc_lo
	s_delay_alu instid0(VALU_DEP_4)
	v_add_co_u32 v1, vcc_lo, s2, v1
	v_add_co_ci_u32_e32 v2, vcc_lo, s3, v2, vcc_lo
	v_add_co_u32 v5, vcc_lo, s2, v7
	v_add_co_ci_u32_e32 v6, vcc_lo, s3, v8, vcc_lo
	v_add_co_u32 v7, vcc_lo, s2, v11
	v_mov_b32_e32 v11, v9
	v_add_co_ci_u32_e32 v8, vcc_lo, s3, v12, vcc_lo
	s_clause 0x3
	global_load_u16 v13, v[1:2], off
	global_load_u16 v15, v[5:6], off
	;; [unrolled: 1-line block ×4, first 2 shown]
	v_lshlrev_b64 v[9:10], 1, v[10:11]
	s_delay_alu instid0(VALU_DEP_1) | instskip(NEXT) | instid1(VALU_DEP_2)
	v_add_co_u32 v9, vcc_lo, s2, v9
	v_add_co_ci_u32_e32 v10, vcc_lo, s3, v10, vcc_lo
	global_load_u16 v12, v[9:10], off
	s_waitcnt vmcnt(2)
	v_lshlrev_b32_e32 v14, 16, v14
	s_waitcnt vmcnt(1)
	v_lshlrev_b32_e32 v11, 16, v16
	s_delay_alu instid0(VALU_DEP_1) | instskip(NEXT) | instid1(VALU_DEP_1)
	v_add_f32_e32 v16, v14, v11
	v_and_b32_e32 v17, 0x7f800000, v16
	s_delay_alu instid0(VALU_DEP_1) | instskip(SKIP_1) | instid1(SALU_CYCLE_1)
	v_cmp_ne_u32_e32 vcc_lo, 0x7f800000, v17
                                        ; implicit-def: $vgpr17
	s_and_saveexec_b32 s2, vcc_lo
	s_xor_b32 s2, exec_lo, s2
; %bb.1:
	v_bfe_u32 v17, v16, 16, 1
	s_delay_alu instid0(VALU_DEP_1)
	v_add3_u32 v17, v16, v17, 0x7fff
                                        ; implicit-def: $vgpr16
; %bb.2:
	s_and_not1_saveexec_b32 s2, s2
; %bb.3:
	v_and_b32_e32 v17, 0xffff, v16
	v_or_b32_e32 v18, 0x10000, v16
	s_delay_alu instid0(VALU_DEP_2) | instskip(NEXT) | instid1(VALU_DEP_2)
	v_cmp_eq_u32_e32 vcc_lo, 0, v17
	v_cndmask_b32_e32 v17, v18, v16, vcc_lo
; %bb.4:
	s_or_b32 exec_lo, exec_lo, s2
	s_delay_alu instid0(VALU_DEP_1) | instskip(SKIP_2) | instid1(VALU_DEP_1)
	v_and_b32_e32 v16, 0xffff0000, v17
	s_waitcnt vmcnt(0)
	v_lshlrev_b32_e32 v12, 16, v12
	v_add_f32_e32 v16, v16, v12
	s_delay_alu instid0(VALU_DEP_1) | instskip(NEXT) | instid1(VALU_DEP_1)
	v_and_b32_e32 v17, 0x7f800000, v16
	v_cmp_ne_u32_e32 vcc_lo, 0x7f800000, v17
                                        ; implicit-def: $vgpr17
	s_and_saveexec_b32 s2, vcc_lo
	s_delay_alu instid0(SALU_CYCLE_1)
	s_xor_b32 s2, exec_lo, s2
; %bb.5:
	v_bfe_u32 v17, v16, 16, 1
	s_delay_alu instid0(VALU_DEP_1)
	v_add3_u32 v17, v16, v17, 0x7fff
                                        ; implicit-def: $vgpr16
; %bb.6:
	s_and_not1_saveexec_b32 s2, s2
; %bb.7:
	v_and_b32_e32 v17, 0xffff, v16
	v_or_b32_e32 v18, 0x10000, v16
	s_delay_alu instid0(VALU_DEP_2) | instskip(NEXT) | instid1(VALU_DEP_2)
	v_cmp_eq_u32_e32 vcc_lo, 0, v17
	v_cndmask_b32_e32 v17, v18, v16, vcc_lo
; %bb.8:
	s_or_b32 exec_lo, exec_lo, s2
	s_delay_alu instid0(VALU_DEP_1) | instskip(SKIP_1) | instid1(VALU_DEP_1)
	v_and_b32_e32 v16, 0xffff0000, v17
	v_lshlrev_b32_e32 v13, 16, v13
	v_add_f32_e32 v16, v16, v13
	s_delay_alu instid0(VALU_DEP_1) | instskip(NEXT) | instid1(VALU_DEP_1)
	v_and_b32_e32 v17, 0x7f800000, v16
	v_cmp_ne_u32_e32 vcc_lo, 0x7f800000, v17
                                        ; implicit-def: $vgpr17
	s_and_saveexec_b32 s2, vcc_lo
	s_delay_alu instid0(SALU_CYCLE_1)
	s_xor_b32 s2, exec_lo, s2
; %bb.9:
	v_bfe_u32 v17, v16, 16, 1
	s_delay_alu instid0(VALU_DEP_1)
	v_add3_u32 v17, v16, v17, 0x7fff
                                        ; implicit-def: $vgpr16
; %bb.10:
	s_and_not1_saveexec_b32 s2, s2
; %bb.11:
	v_and_b32_e32 v17, 0xffff, v16
	v_or_b32_e32 v18, 0x10000, v16
	s_delay_alu instid0(VALU_DEP_2) | instskip(NEXT) | instid1(VALU_DEP_2)
	v_cmp_eq_u32_e32 vcc_lo, 0, v17
	v_cndmask_b32_e32 v17, v18, v16, vcc_lo
; %bb.12:
	s_or_b32 exec_lo, exec_lo, s2
	s_delay_alu instid0(VALU_DEP_1) | instskip(SKIP_1) | instid1(VALU_DEP_1)
	v_and_b32_e32 v16, 0xffff0000, v17
	v_lshlrev_b32_e32 v15, 16, v15
	v_add_f32_e32 v15, v16, v15
	s_delay_alu instid0(VALU_DEP_1) | instskip(NEXT) | instid1(VALU_DEP_1)
	v_and_b32_e32 v16, 0x7f800000, v15
	v_cmp_ne_u32_e32 vcc_lo, 0x7f800000, v16
                                        ; implicit-def: $vgpr16
	s_and_saveexec_b32 s2, vcc_lo
	s_delay_alu instid0(SALU_CYCLE_1)
	s_xor_b32 s2, exec_lo, s2
; %bb.13:
	v_bfe_u32 v16, v15, 16, 1
	s_delay_alu instid0(VALU_DEP_1)
	v_add3_u32 v16, v15, v16, 0x7fff
                                        ; implicit-def: $vgpr15
; %bb.14:
	s_and_not1_saveexec_b32 s2, s2
; %bb.15:
	v_and_b32_e32 v16, 0xffff, v15
	v_or_b32_e32 v17, 0x10000, v15
	s_delay_alu instid0(VALU_DEP_2) | instskip(NEXT) | instid1(VALU_DEP_2)
	v_cmp_eq_u32_e32 vcc_lo, 0, v16
	v_cndmask_b32_e32 v16, v17, v15, vcc_lo
; %bb.16:
	s_or_b32 exec_lo, exec_lo, s2
	s_delay_alu instid0(VALU_DEP_1) | instskip(SKIP_2) | instid1(VALU_DEP_2)
	v_lshrrev_b32_e32 v18, 16, v16
	v_and_b32_e32 v17, 0xffff0000, v16
	s_mov_b32 s2, exec_lo
                                        ; implicit-def: $vgpr19
	v_mov_b32_dpp v15, v18 row_shr:1 row_mask:0xf bank_mask:0xf
	s_delay_alu instid0(VALU_DEP_1) | instskip(NEXT) | instid1(VALU_DEP_1)
	v_lshlrev_b32_e32 v15, 16, v15
	v_add_f32_e32 v15, v17, v15
	s_delay_alu instid0(VALU_DEP_1) | instskip(NEXT) | instid1(VALU_DEP_1)
	v_and_b32_e32 v16, 0x7f800000, v15
	v_cmpx_ne_u32_e32 0x7f800000, v16
	s_xor_b32 s2, exec_lo, s2
; %bb.17:
	v_bfe_u32 v16, v15, 16, 1
	s_delay_alu instid0(VALU_DEP_1)
	v_add3_u32 v19, v15, v16, 0x7fff
                                        ; implicit-def: $vgpr15
; %bb.18:
	s_and_not1_saveexec_b32 s2, s2
; %bb.19:
	v_and_b32_e32 v16, 0xffff, v15
	v_or_b32_e32 v19, 0x10000, v15
	s_delay_alu instid0(VALU_DEP_2) | instskip(NEXT) | instid1(VALU_DEP_2)
	v_cmp_eq_u32_e32 vcc_lo, 0, v16
	v_cndmask_b32_e32 v19, v19, v15, vcc_lo
; %bb.20:
	s_or_b32 exec_lo, exec_lo, s2
	v_mbcnt_lo_u32_b32 v15, -1, 0
	s_delay_alu instid0(VALU_DEP_2) | instskip(SKIP_1) | instid1(VALU_DEP_3)
	v_lshrrev_b32_e32 v20, 16, v19
	v_and_b32_e32 v19, 0xffff0000, v19
	v_and_b32_e32 v16, 15, v15
	s_delay_alu instid0(VALU_DEP_1) | instskip(NEXT) | instid1(VALU_DEP_3)
	v_cmp_eq_u32_e32 vcc_lo, 0, v16
	v_dual_cndmask_b32 v17, v19, v17 :: v_dual_cndmask_b32 v18, v20, v18
	s_delay_alu instid0(VALU_DEP_1) | instskip(NEXT) | instid1(VALU_DEP_1)
	v_mov_b32_dpp v20, v18 row_shr:2 row_mask:0xf bank_mask:0xf
	v_lshlrev_b32_e32 v19, 16, v20
	s_delay_alu instid0(VALU_DEP_1) | instskip(NEXT) | instid1(VALU_DEP_1)
	v_add_f32_e32 v20, v17, v19
	v_and_b32_e32 v19, 0x7f800000, v20
	s_delay_alu instid0(VALU_DEP_1) | instskip(SKIP_1) | instid1(SALU_CYCLE_1)
	v_cmp_ne_u32_e32 vcc_lo, 0x7f800000, v19
                                        ; implicit-def: $vgpr19
	s_and_saveexec_b32 s2, vcc_lo
	s_xor_b32 s2, exec_lo, s2
; %bb.21:
	v_bfe_u32 v19, v20, 16, 1
	s_delay_alu instid0(VALU_DEP_1)
	v_add3_u32 v19, v20, v19, 0x7fff
                                        ; implicit-def: $vgpr20
; %bb.22:
	s_and_not1_saveexec_b32 s2, s2
; %bb.23:
	v_and_b32_e32 v19, 0xffff, v20
	v_or_b32_e32 v21, 0x10000, v20
	s_delay_alu instid0(VALU_DEP_2) | instskip(NEXT) | instid1(VALU_DEP_2)
	v_cmp_eq_u32_e32 vcc_lo, 0, v19
	v_cndmask_b32_e32 v19, v21, v20, vcc_lo
; %bb.24:
	s_or_b32 exec_lo, exec_lo, s2
	s_delay_alu instid0(VALU_DEP_1) | instskip(SKIP_1) | instid1(VALU_DEP_2)
	v_lshrrev_b32_e32 v20, 16, v19
	v_cmp_lt_u32_e32 vcc_lo, 1, v16
	v_dual_cndmask_b32 v18, v18, v20 :: v_dual_and_b32 v19, 0xffff0000, v19
	s_delay_alu instid0(VALU_DEP_1) | instskip(NEXT) | instid1(VALU_DEP_2)
	v_cndmask_b32_e32 v17, v17, v19, vcc_lo
	v_mov_b32_dpp v20, v18 row_shr:4 row_mask:0xf bank_mask:0xf
	s_delay_alu instid0(VALU_DEP_1) | instskip(NEXT) | instid1(VALU_DEP_1)
	v_lshlrev_b32_e32 v19, 16, v20
	v_add_f32_e32 v20, v17, v19
	s_delay_alu instid0(VALU_DEP_1) | instskip(NEXT) | instid1(VALU_DEP_1)
	v_and_b32_e32 v19, 0x7f800000, v20
	v_cmp_ne_u32_e32 vcc_lo, 0x7f800000, v19
                                        ; implicit-def: $vgpr19
	s_and_saveexec_b32 s2, vcc_lo
	s_delay_alu instid0(SALU_CYCLE_1)
	s_xor_b32 s2, exec_lo, s2
; %bb.25:
	v_bfe_u32 v19, v20, 16, 1
	s_delay_alu instid0(VALU_DEP_1)
	v_add3_u32 v19, v20, v19, 0x7fff
                                        ; implicit-def: $vgpr20
; %bb.26:
	s_and_not1_saveexec_b32 s2, s2
; %bb.27:
	v_and_b32_e32 v19, 0xffff, v20
	v_or_b32_e32 v21, 0x10000, v20
	s_delay_alu instid0(VALU_DEP_2) | instskip(NEXT) | instid1(VALU_DEP_2)
	v_cmp_eq_u32_e32 vcc_lo, 0, v19
	v_cndmask_b32_e32 v19, v21, v20, vcc_lo
; %bb.28:
	s_or_b32 exec_lo, exec_lo, s2
	s_delay_alu instid0(VALU_DEP_1) | instskip(SKIP_1) | instid1(VALU_DEP_2)
	v_lshrrev_b32_e32 v20, 16, v19
	v_cmp_lt_u32_e32 vcc_lo, 3, v16
	v_dual_cndmask_b32 v18, v18, v20 :: v_dual_and_b32 v19, 0xffff0000, v19
	s_delay_alu instid0(VALU_DEP_1) | instskip(NEXT) | instid1(VALU_DEP_2)
	v_cndmask_b32_e32 v17, v17, v19, vcc_lo
	v_mov_b32_dpp v20, v18 row_shr:8 row_mask:0xf bank_mask:0xf
	s_delay_alu instid0(VALU_DEP_1) | instskip(NEXT) | instid1(VALU_DEP_1)
	v_lshlrev_b32_e32 v19, 16, v20
	v_add_f32_e32 v17, v17, v19
	s_delay_alu instid0(VALU_DEP_1) | instskip(NEXT) | instid1(VALU_DEP_1)
	v_and_b32_e32 v19, 0x7f800000, v17
	v_cmp_ne_u32_e32 vcc_lo, 0x7f800000, v19
                                        ; implicit-def: $vgpr19
	s_and_saveexec_b32 s2, vcc_lo
	s_delay_alu instid0(SALU_CYCLE_1)
	s_xor_b32 s2, exec_lo, s2
; %bb.29:
	v_bfe_u32 v19, v17, 16, 1
	s_delay_alu instid0(VALU_DEP_1)
	v_add3_u32 v19, v17, v19, 0x7fff
                                        ; implicit-def: $vgpr17
; %bb.30:
	s_and_not1_saveexec_b32 s2, s2
; %bb.31:
	v_and_b32_e32 v19, 0xffff, v17
	v_or_b32_e32 v20, 0x10000, v17
	s_delay_alu instid0(VALU_DEP_2) | instskip(NEXT) | instid1(VALU_DEP_2)
	v_cmp_eq_u32_e32 vcc_lo, 0, v19
	v_cndmask_b32_e32 v19, v20, v17, vcc_lo
; %bb.32:
	s_or_b32 exec_lo, exec_lo, s2
	s_delay_alu instid0(VALU_DEP_1) | instskip(SKIP_2) | instid1(VALU_DEP_2)
	v_lshrrev_b32_e32 v17, 16, v19
	v_cmp_lt_u32_e32 vcc_lo, 7, v16
	s_mov_b32 s2, exec_lo
	v_cndmask_b32_e32 v16, v18, v17, vcc_lo
	v_cmpx_eq_u32_e32 15, v0
	s_cbranch_execz .LBB238_34
; %bb.33:
	v_mov_b32_e32 v17, 0
	ds_store_b16 v17, v16
.LBB238_34:
	s_or_b32 exec_lo, exec_lo, s2
	s_load_b32 s1, s[0:1], 0x8
	v_lshlrev_b32_e32 v16, 16, v16
	s_waitcnt vmcnt(0) lgkmcnt(0)
	s_waitcnt_vscnt null, 0x0
	; wave barrier
	s_waitcnt lgkmcnt(0)
	buffer_gl0_inv
	s_lshl_b32 s0, s1, 16
	s_delay_alu instid0(SALU_CYCLE_1) | instskip(NEXT) | instid1(VALU_DEP_1)
	v_add_f32_e32 v16, s0, v16
	v_and_b32_e32 v17, 0x7f800000, v16
	s_delay_alu instid0(VALU_DEP_1) | instskip(SKIP_1) | instid1(SALU_CYCLE_1)
	v_cmp_ne_u32_e32 vcc_lo, 0x7f800000, v17
                                        ; implicit-def: $vgpr17
	s_and_saveexec_b32 s0, vcc_lo
	s_xor_b32 s0, exec_lo, s0
; %bb.35:
	v_bfe_u32 v17, v16, 16, 1
	s_delay_alu instid0(VALU_DEP_1)
	v_add3_u32 v17, v16, v17, 0x7fff
                                        ; implicit-def: $vgpr16
; %bb.36:
	s_and_not1_saveexec_b32 s0, s0
; %bb.37:
	v_and_b32_e32 v17, 0xffff, v16
	v_or_b32_e32 v18, 0x10000, v16
	s_delay_alu instid0(VALU_DEP_2) | instskip(NEXT) | instid1(VALU_DEP_2)
	v_cmp_eq_u32_e32 vcc_lo, 0, v17
	v_cndmask_b32_e32 v17, v18, v16, vcc_lo
; %bb.38:
	s_or_b32 exec_lo, exec_lo, s0
	v_add_nc_u32_e32 v16, -1, v15
	v_and_b32_e32 v18, 16, v15
	s_delay_alu instid0(VALU_DEP_3) | instskip(SKIP_1) | instid1(VALU_DEP_3)
	v_lshrrev_b32_e32 v17, 16, v17
	v_cmp_eq_u32_e64 s0, 0, v0
	v_cmp_lt_i32_e32 vcc_lo, v16, v18
	v_cndmask_b32_e32 v16, v16, v15, vcc_lo
	v_cmp_eq_u32_e32 vcc_lo, 0, v15
	s_delay_alu instid0(VALU_DEP_2) | instskip(SKIP_4) | instid1(VALU_DEP_1)
	v_lshlrev_b32_e32 v16, 2, v16
	s_or_b32 s0, s0, vcc_lo
	ds_bpermute_b32 v16, v16, v17
	s_waitcnt lgkmcnt(0)
	v_cndmask_b32_e64 v0, v16, s1, s0
	v_lshlrev_b32_e32 v15, 16, v0
	s_delay_alu instid0(VALU_DEP_1) | instskip(NEXT) | instid1(VALU_DEP_1)
	v_add_f32_e32 v15, v14, v15
	v_and_b32_e32 v14, 0x7f800000, v15
	s_delay_alu instid0(VALU_DEP_1) | instskip(SKIP_1) | instid1(SALU_CYCLE_1)
	v_cmp_ne_u32_e32 vcc_lo, 0x7f800000, v14
                                        ; implicit-def: $vgpr14
	s_and_saveexec_b32 s0, vcc_lo
	s_xor_b32 s0, exec_lo, s0
; %bb.39:
	v_bfe_u32 v14, v15, 16, 1
	s_delay_alu instid0(VALU_DEP_1)
	v_add3_u32 v14, v15, v14, 0x7fff
                                        ; implicit-def: $vgpr15
; %bb.40:
	s_and_not1_saveexec_b32 s0, s0
; %bb.41:
	v_and_b32_e32 v14, 0xffff, v15
	v_or_b32_e32 v16, 0x10000, v15
	s_delay_alu instid0(VALU_DEP_2) | instskip(NEXT) | instid1(VALU_DEP_2)
	v_cmp_eq_u32_e32 vcc_lo, 0, v14
	v_cndmask_b32_e32 v14, v16, v15, vcc_lo
; %bb.42:
	s_or_b32 exec_lo, exec_lo, s0
	s_delay_alu instid0(VALU_DEP_1) | instskip(NEXT) | instid1(VALU_DEP_1)
	v_and_b32_e32 v15, 0xffff0000, v14
	v_add_f32_e32 v15, v15, v11
	s_delay_alu instid0(VALU_DEP_1) | instskip(NEXT) | instid1(VALU_DEP_1)
	v_and_b32_e32 v11, 0x7f800000, v15
	v_cmp_ne_u32_e32 vcc_lo, 0x7f800000, v11
                                        ; implicit-def: $vgpr11
	s_and_saveexec_b32 s0, vcc_lo
	s_delay_alu instid0(SALU_CYCLE_1)
	s_xor_b32 s0, exec_lo, s0
; %bb.43:
	v_bfe_u32 v11, v15, 16, 1
	s_delay_alu instid0(VALU_DEP_1)
	v_add3_u32 v11, v15, v11, 0x7fff
                                        ; implicit-def: $vgpr15
; %bb.44:
	s_and_not1_saveexec_b32 s0, s0
; %bb.45:
	v_and_b32_e32 v11, 0xffff, v15
	v_or_b32_e32 v16, 0x10000, v15
	s_delay_alu instid0(VALU_DEP_2) | instskip(NEXT) | instid1(VALU_DEP_2)
	v_cmp_eq_u32_e32 vcc_lo, 0, v11
	v_cndmask_b32_e32 v11, v16, v15, vcc_lo
; %bb.46:
	s_or_b32 exec_lo, exec_lo, s0
	s_delay_alu instid0(VALU_DEP_1) | instskip(NEXT) | instid1(VALU_DEP_1)
	v_and_b32_e32 v15, 0xffff0000, v11
	v_add_f32_e32 v15, v15, v12
	s_delay_alu instid0(VALU_DEP_1) | instskip(NEXT) | instid1(VALU_DEP_1)
	v_and_b32_e32 v12, 0x7f800000, v15
	v_cmp_ne_u32_e32 vcc_lo, 0x7f800000, v12
                                        ; implicit-def: $vgpr12
	s_and_saveexec_b32 s0, vcc_lo
	s_delay_alu instid0(SALU_CYCLE_1)
	s_xor_b32 s0, exec_lo, s0
; %bb.47:
	v_bfe_u32 v12, v15, 16, 1
	s_delay_alu instid0(VALU_DEP_1)
	v_add3_u32 v12, v15, v12, 0x7fff
                                        ; implicit-def: $vgpr15
; %bb.48:
	s_and_not1_saveexec_b32 s0, s0
; %bb.49:
	v_and_b32_e32 v12, 0xffff, v15
	v_or_b32_e32 v16, 0x10000, v15
	s_delay_alu instid0(VALU_DEP_2) | instskip(NEXT) | instid1(VALU_DEP_2)
	v_cmp_eq_u32_e32 vcc_lo, 0, v12
	v_cndmask_b32_e32 v12, v16, v15, vcc_lo
; %bb.50:
	s_or_b32 exec_lo, exec_lo, s0
	s_delay_alu instid0(VALU_DEP_1) | instskip(NEXT) | instid1(VALU_DEP_1)
	v_and_b32_e32 v15, 0xffff0000, v12
	v_add_f32_e32 v15, v15, v13
	s_delay_alu instid0(VALU_DEP_1) | instskip(NEXT) | instid1(VALU_DEP_1)
	v_and_b32_e32 v13, 0x7f800000, v15
	v_cmp_ne_u32_e32 vcc_lo, 0x7f800000, v13
                                        ; implicit-def: $vgpr13
	s_and_saveexec_b32 s0, vcc_lo
	s_delay_alu instid0(SALU_CYCLE_1)
	s_xor_b32 s0, exec_lo, s0
; %bb.51:
	v_bfe_u32 v13, v15, 16, 1
	s_delay_alu instid0(VALU_DEP_1)
	v_add3_u32 v13, v15, v13, 0x7fff
                                        ; implicit-def: $vgpr15
; %bb.52:
	s_and_not1_saveexec_b32 s0, s0
; %bb.53:
	v_and_b32_e32 v13, 0xffff, v15
	v_or_b32_e32 v16, 0x10000, v15
	s_delay_alu instid0(VALU_DEP_2) | instskip(NEXT) | instid1(VALU_DEP_2)
	v_cmp_eq_u32_e32 vcc_lo, 0, v13
	v_cndmask_b32_e32 v13, v16, v15, vcc_lo
; %bb.54:
	s_or_b32 exec_lo, exec_lo, s0
	s_clause 0x4
	global_store_b16 v[3:4], v0, off
	global_store_d16_hi_b16 v[7:8], v14, off
	global_store_d16_hi_b16 v[9:10], v11, off
	global_store_d16_hi_b16 v[1:2], v12, off
	global_store_d16_hi_b16 v[5:6], v13, off
	s_nop 0
	s_sendmsg sendmsg(MSG_DEALLOC_VGPRS)
	s_endpgm
	.section	.rodata,"a",@progbits
	.p2align	6, 0x0
	.amdhsa_kernel _Z27exclusive_scan_array_kernelILj16ELj5ELN6hipcub18BlockScanAlgorithmE0E12hip_bfloat16EvPT2_S3_
		.amdhsa_group_segment_fixed_size 2
		.amdhsa_private_segment_fixed_size 0
		.amdhsa_kernarg_size 12
		.amdhsa_user_sgpr_count 15
		.amdhsa_user_sgpr_dispatch_ptr 0
		.amdhsa_user_sgpr_queue_ptr 0
		.amdhsa_user_sgpr_kernarg_segment_ptr 1
		.amdhsa_user_sgpr_dispatch_id 0
		.amdhsa_user_sgpr_private_segment_size 0
		.amdhsa_wavefront_size32 1
		.amdhsa_uses_dynamic_stack 0
		.amdhsa_enable_private_segment 0
		.amdhsa_system_sgpr_workgroup_id_x 1
		.amdhsa_system_sgpr_workgroup_id_y 0
		.amdhsa_system_sgpr_workgroup_id_z 0
		.amdhsa_system_sgpr_workgroup_info 0
		.amdhsa_system_vgpr_workitem_id 0
		.amdhsa_next_free_vgpr 22
		.amdhsa_next_free_sgpr 16
		.amdhsa_reserve_vcc 1
		.amdhsa_float_round_mode_32 0
		.amdhsa_float_round_mode_16_64 0
		.amdhsa_float_denorm_mode_32 3
		.amdhsa_float_denorm_mode_16_64 3
		.amdhsa_dx10_clamp 1
		.amdhsa_ieee_mode 1
		.amdhsa_fp16_overflow 0
		.amdhsa_workgroup_processor_mode 1
		.amdhsa_memory_ordered 1
		.amdhsa_forward_progress 0
		.amdhsa_shared_vgpr_count 0
		.amdhsa_exception_fp_ieee_invalid_op 0
		.amdhsa_exception_fp_denorm_src 0
		.amdhsa_exception_fp_ieee_div_zero 0
		.amdhsa_exception_fp_ieee_overflow 0
		.amdhsa_exception_fp_ieee_underflow 0
		.amdhsa_exception_fp_ieee_inexact 0
		.amdhsa_exception_int_div_zero 0
	.end_amdhsa_kernel
	.section	.text._Z27exclusive_scan_array_kernelILj16ELj5ELN6hipcub18BlockScanAlgorithmE0E12hip_bfloat16EvPT2_S3_,"axG",@progbits,_Z27exclusive_scan_array_kernelILj16ELj5ELN6hipcub18BlockScanAlgorithmE0E12hip_bfloat16EvPT2_S3_,comdat
.Lfunc_end238:
	.size	_Z27exclusive_scan_array_kernelILj16ELj5ELN6hipcub18BlockScanAlgorithmE0E12hip_bfloat16EvPT2_S3_, .Lfunc_end238-_Z27exclusive_scan_array_kernelILj16ELj5ELN6hipcub18BlockScanAlgorithmE0E12hip_bfloat16EvPT2_S3_
                                        ; -- End function
	.section	.AMDGPU.csdata,"",@progbits
; Kernel info:
; codeLenInByte = 1968
; NumSgprs: 18
; NumVgprs: 22
; ScratchSize: 0
; MemoryBound: 0
; FloatMode: 240
; IeeeMode: 1
; LDSByteSize: 2 bytes/workgroup (compile time only)
; SGPRBlocks: 2
; VGPRBlocks: 2
; NumSGPRsForWavesPerEU: 18
; NumVGPRsForWavesPerEU: 22
; Occupancy: 16
; WaveLimiterHint : 0
; COMPUTE_PGM_RSRC2:SCRATCH_EN: 0
; COMPUTE_PGM_RSRC2:USER_SGPR: 15
; COMPUTE_PGM_RSRC2:TRAP_HANDLER: 0
; COMPUTE_PGM_RSRC2:TGID_X_EN: 1
; COMPUTE_PGM_RSRC2:TGID_Y_EN: 0
; COMPUTE_PGM_RSRC2:TGID_Z_EN: 0
; COMPUTE_PGM_RSRC2:TIDIG_COMP_CNT: 0
	.section	.text._Z27exclusive_scan_array_kernelILj65ELj5ELN6hipcub18BlockScanAlgorithmE0E6__halfEvPT2_S3_,"axG",@progbits,_Z27exclusive_scan_array_kernelILj65ELj5ELN6hipcub18BlockScanAlgorithmE0E6__halfEvPT2_S3_,comdat
	.protected	_Z27exclusive_scan_array_kernelILj65ELj5ELN6hipcub18BlockScanAlgorithmE0E6__halfEvPT2_S3_ ; -- Begin function _Z27exclusive_scan_array_kernelILj65ELj5ELN6hipcub18BlockScanAlgorithmE0E6__halfEvPT2_S3_
	.globl	_Z27exclusive_scan_array_kernelILj65ELj5ELN6hipcub18BlockScanAlgorithmE0E6__halfEvPT2_S3_
	.p2align	8
	.type	_Z27exclusive_scan_array_kernelILj65ELj5ELN6hipcub18BlockScanAlgorithmE0E6__halfEvPT2_S3_,@function
_Z27exclusive_scan_array_kernelILj65ELj5ELN6hipcub18BlockScanAlgorithmE0E6__halfEvPT2_S3_: ; @_Z27exclusive_scan_array_kernelILj65ELj5ELN6hipcub18BlockScanAlgorithmE0E6__halfEvPT2_S3_
; %bb.0:
	v_mad_u64_u32 v[1:2], null, 0x41, s15, v[0:1]
	s_clause 0x1
	s_load_b64 s[2:3], s[0:1], 0x0
	s_load_b32 s0, s[0:1], 0x8
	s_mov_b32 s1, exec_lo
	s_delay_alu instid0(VALU_DEP_1) | instskip(NEXT) | instid1(VALU_DEP_1)
	v_lshl_add_u32 v1, v1, 2, v1
	v_dual_mov_b32 v2, 0 :: v_dual_add_nc_u32 v3, 1, v1
	s_delay_alu instid0(VALU_DEP_1) | instskip(SKIP_3) | instid1(VALU_DEP_4)
	v_dual_mov_b32 v4, v2 :: v_dual_add_nc_u32 v5, 2, v1
	v_lshlrev_b64 v[9:10], 1, v[1:2]
	v_dual_mov_b32 v6, v2 :: v_dual_add_nc_u32 v7, 3, v1
	v_dual_mov_b32 v8, v2 :: v_dual_add_nc_u32 v1, 4, v1
	v_lshlrev_b64 v[3:4], 1, v[3:4]
	s_delay_alu instid0(VALU_DEP_3) | instskip(NEXT) | instid1(VALU_DEP_3)
	v_lshlrev_b64 v[5:6], 1, v[5:6]
	v_lshlrev_b64 v[7:8], 1, v[7:8]
	s_delay_alu instid0(VALU_DEP_4)
	v_lshlrev_b64 v[14:15], 1, v[1:2]
	s_waitcnt lgkmcnt(0)
	v_add_co_u32 v1, vcc_lo, s2, v9
	v_add_co_ci_u32_e32 v2, vcc_lo, s3, v10, vcc_lo
	v_add_co_u32 v3, vcc_lo, s2, v3
	v_add_co_ci_u32_e32 v4, vcc_lo, s3, v4, vcc_lo
	;; [unrolled: 2-line block ×3, first 2 shown]
	s_clause 0x1
	global_load_u16 v11, v[1:2], off
	global_load_u16 v12, v[3:4], off
	v_add_co_u32 v7, vcc_lo, s2, v7
	v_add_co_ci_u32_e32 v8, vcc_lo, s3, v8, vcc_lo
	global_load_u16 v13, v[5:6], off
	v_add_co_u32 v9, vcc_lo, s2, v14
	v_add_co_ci_u32_e32 v10, vcc_lo, s3, v15, vcc_lo
	s_clause 0x1
	global_load_u16 v14, v[7:8], off
	global_load_u16 v15, v[9:10], off
	s_waitcnt vmcnt(3)
	v_add_f16_e32 v16, v11, v12
	s_waitcnt vmcnt(2)
	s_delay_alu instid0(VALU_DEP_1) | instskip(SKIP_1) | instid1(VALU_DEP_1)
	v_add_f16_e32 v16, v16, v13
	s_waitcnt vmcnt(1)
	v_add_f16_e32 v16, v16, v14
	s_waitcnt vmcnt(0)
	s_delay_alu instid0(VALU_DEP_1) | instskip(SKIP_1) | instid1(VALU_DEP_2)
	v_add_f16_e32 v16, v16, v15
	v_mbcnt_lo_u32_b32 v15, -1, 0
	v_and_b32_e32 v17, 0xffff, v16
	s_delay_alu instid0(VALU_DEP_2) | instskip(SKIP_1) | instid1(VALU_DEP_3)
	v_and_b32_e32 v18, 15, v15
	v_and_b32_e32 v19, 16, v15
	v_mov_b32_dpp v17, v17 row_shr:1 row_mask:0xf bank_mask:0xf
	s_delay_alu instid0(VALU_DEP_3) | instskip(NEXT) | instid1(VALU_DEP_2)
	v_cmp_eq_u32_e32 vcc_lo, 0, v18
	v_add_f16_e32 v17, v16, v17
	s_delay_alu instid0(VALU_DEP_1) | instskip(SKIP_1) | instid1(VALU_DEP_2)
	v_cndmask_b32_e32 v16, v17, v16, vcc_lo
	v_cmp_lt_u32_e32 vcc_lo, 1, v18
	v_and_b32_e32 v17, 0xffff, v16
	s_delay_alu instid0(VALU_DEP_1) | instskip(NEXT) | instid1(VALU_DEP_1)
	v_mov_b32_dpp v17, v17 row_shr:2 row_mask:0xf bank_mask:0xf
	v_add_f16_e32 v17, v16, v17
	s_delay_alu instid0(VALU_DEP_1) | instskip(SKIP_1) | instid1(VALU_DEP_2)
	v_cndmask_b32_e32 v16, v16, v17, vcc_lo
	v_cmp_lt_u32_e32 vcc_lo, 3, v18
	v_and_b32_e32 v17, 0xffff, v16
	s_delay_alu instid0(VALU_DEP_1) | instskip(NEXT) | instid1(VALU_DEP_1)
	v_mov_b32_dpp v17, v17 row_shr:4 row_mask:0xf bank_mask:0xf
	v_add_f16_e32 v17, v16, v17
	s_delay_alu instid0(VALU_DEP_1) | instskip(SKIP_2) | instid1(VALU_DEP_3)
	v_cndmask_b32_e32 v16, v16, v17, vcc_lo
	v_cmp_lt_u32_e32 vcc_lo, 7, v18
	v_and_b32_e32 v18, 0x60, v0
	v_and_b32_e32 v17, 0xffff, v16
	s_delay_alu instid0(VALU_DEP_2) | instskip(NEXT) | instid1(VALU_DEP_2)
	v_min_u32_e32 v18, 33, v18
	v_mov_b32_dpp v17, v17 row_shr:8 row_mask:0xf bank_mask:0xf
	s_delay_alu instid0(VALU_DEP_2) | instskip(NEXT) | instid1(VALU_DEP_2)
	v_add_nc_u32_e32 v18, 31, v18
	v_add_f16_e32 v17, v16, v17
	s_delay_alu instid0(VALU_DEP_1) | instskip(SKIP_1) | instid1(VALU_DEP_2)
	v_cndmask_b32_e32 v16, v16, v17, vcc_lo
	v_cmp_eq_u32_e32 vcc_lo, 0, v19
	v_and_b32_e32 v17, 0xffff, v16
	ds_swizzle_b32 v17, v17 offset:swizzle(BROADCAST,32,15)
	s_waitcnt lgkmcnt(0)
	v_add_f16_e32 v20, v16, v17
	v_lshrrev_b32_e32 v17, 5, v0
	s_delay_alu instid0(VALU_DEP_2)
	v_cndmask_b32_e32 v16, v20, v16, vcc_lo
	v_cmpx_eq_u32_e64 v18, v0
	s_cbranch_execz .LBB239_2
; %bb.1:
	s_delay_alu instid0(VALU_DEP_3)
	v_lshlrev_b32_e32 v18, 1, v17
	ds_store_b16 v18, v16
.LBB239_2:
	s_or_b32 exec_lo, exec_lo, s1
	s_delay_alu instid0(SALU_CYCLE_1)
	s_mov_b32 s1, exec_lo
	s_waitcnt lgkmcnt(0)
	s_barrier
	buffer_gl0_inv
	v_cmpx_gt_u32_e32 3, v0
	s_cbranch_execz .LBB239_4
; %bb.3:
	v_and_b32_e32 v21, 3, v15
	s_delay_alu instid0(VALU_DEP_1) | instskip(SKIP_4) | instid1(VALU_DEP_1)
	v_cmp_eq_u32_e32 vcc_lo, 0, v21
	v_lshlrev_b32_e32 v18, 1, v0
	ds_load_u16 v19, v18
	s_waitcnt lgkmcnt(0)
	v_and_b32_e32 v20, 0xffff, v19
	v_mov_b32_dpp v20, v20 row_shr:1 row_mask:0xf bank_mask:0xf
	s_delay_alu instid0(VALU_DEP_1) | instskip(NEXT) | instid1(VALU_DEP_1)
	v_add_f16_e32 v20, v19, v20
	v_cndmask_b32_e32 v19, v20, v19, vcc_lo
	v_cmp_lt_u32_e32 vcc_lo, 1, v21
	s_delay_alu instid0(VALU_DEP_2) | instskip(NEXT) | instid1(VALU_DEP_1)
	v_and_b32_e32 v20, 0xffff, v19
	v_mov_b32_dpp v20, v20 row_shr:2 row_mask:0xf bank_mask:0xf
	s_delay_alu instid0(VALU_DEP_1) | instskip(NEXT) | instid1(VALU_DEP_1)
	v_add_f16_e32 v20, v19, v20
	v_cndmask_b32_e32 v19, v19, v20, vcc_lo
	ds_store_b16 v18, v19
.LBB239_4:
	s_or_b32 exec_lo, exec_lo, s1
	v_mov_b32_e32 v18, s0
	s_mov_b32 s1, exec_lo
	s_waitcnt lgkmcnt(0)
	s_barrier
	buffer_gl0_inv
	v_cmpx_lt_u32_e32 31, v0
	s_cbranch_execz .LBB239_6
; %bb.5:
	v_lshl_add_u32 v17, v17, 1, -2
	ds_load_u16 v17, v17
	s_waitcnt lgkmcnt(0)
	v_add_f16_e32 v18, s0, v17
.LBB239_6:
	s_or_b32 exec_lo, exec_lo, s1
	v_add_nc_u32_e32 v17, -1, v15
	s_delay_alu instid0(VALU_DEP_2) | instskip(NEXT) | instid1(VALU_DEP_2)
	v_add_f16_e32 v16, v16, v18
	v_cmp_gt_i32_e32 vcc_lo, 0, v17
	s_delay_alu instid0(VALU_DEP_2) | instskip(SKIP_1) | instid1(VALU_DEP_2)
	v_dual_cndmask_b32 v17, v17, v15 :: v_dual_and_b32 v16, 0xffff, v16
	v_cmp_eq_u32_e32 vcc_lo, 0, v15
	v_lshlrev_b32_e32 v17, 2, v17
	ds_bpermute_b32 v16, v17, v16
	s_waitcnt lgkmcnt(0)
	v_cndmask_b32_e32 v15, v16, v18, vcc_lo
	v_cmp_eq_u32_e32 vcc_lo, 0, v0
	s_delay_alu instid0(VALU_DEP_2) | instskip(NEXT) | instid1(VALU_DEP_1)
	v_cndmask_b32_e64 v0, v15, s0, vcc_lo
	v_add_f16_e32 v11, v11, v0
	s_delay_alu instid0(VALU_DEP_1) | instskip(NEXT) | instid1(VALU_DEP_1)
	v_add_f16_e32 v12, v12, v11
	v_add_f16_e32 v13, v13, v12
	s_delay_alu instid0(VALU_DEP_1)
	v_add_f16_e32 v14, v14, v13
	s_clause 0x4
	global_store_b16 v[1:2], v0, off
	global_store_b16 v[3:4], v11, off
	;; [unrolled: 1-line block ×5, first 2 shown]
	s_nop 0
	s_sendmsg sendmsg(MSG_DEALLOC_VGPRS)
	s_endpgm
	.section	.rodata,"a",@progbits
	.p2align	6, 0x0
	.amdhsa_kernel _Z27exclusive_scan_array_kernelILj65ELj5ELN6hipcub18BlockScanAlgorithmE0E6__halfEvPT2_S3_
		.amdhsa_group_segment_fixed_size 6
		.amdhsa_private_segment_fixed_size 0
		.amdhsa_kernarg_size 12
		.amdhsa_user_sgpr_count 15
		.amdhsa_user_sgpr_dispatch_ptr 0
		.amdhsa_user_sgpr_queue_ptr 0
		.amdhsa_user_sgpr_kernarg_segment_ptr 1
		.amdhsa_user_sgpr_dispatch_id 0
		.amdhsa_user_sgpr_private_segment_size 0
		.amdhsa_wavefront_size32 1
		.amdhsa_uses_dynamic_stack 0
		.amdhsa_enable_private_segment 0
		.amdhsa_system_sgpr_workgroup_id_x 1
		.amdhsa_system_sgpr_workgroup_id_y 0
		.amdhsa_system_sgpr_workgroup_id_z 0
		.amdhsa_system_sgpr_workgroup_info 0
		.amdhsa_system_vgpr_workitem_id 0
		.amdhsa_next_free_vgpr 22
		.amdhsa_next_free_sgpr 16
		.amdhsa_reserve_vcc 1
		.amdhsa_float_round_mode_32 0
		.amdhsa_float_round_mode_16_64 0
		.amdhsa_float_denorm_mode_32 3
		.amdhsa_float_denorm_mode_16_64 3
		.amdhsa_dx10_clamp 1
		.amdhsa_ieee_mode 1
		.amdhsa_fp16_overflow 0
		.amdhsa_workgroup_processor_mode 1
		.amdhsa_memory_ordered 1
		.amdhsa_forward_progress 0
		.amdhsa_shared_vgpr_count 0
		.amdhsa_exception_fp_ieee_invalid_op 0
		.amdhsa_exception_fp_denorm_src 0
		.amdhsa_exception_fp_ieee_div_zero 0
		.amdhsa_exception_fp_ieee_overflow 0
		.amdhsa_exception_fp_ieee_underflow 0
		.amdhsa_exception_fp_ieee_inexact 0
		.amdhsa_exception_int_div_zero 0
	.end_amdhsa_kernel
	.section	.text._Z27exclusive_scan_array_kernelILj65ELj5ELN6hipcub18BlockScanAlgorithmE0E6__halfEvPT2_S3_,"axG",@progbits,_Z27exclusive_scan_array_kernelILj65ELj5ELN6hipcub18BlockScanAlgorithmE0E6__halfEvPT2_S3_,comdat
.Lfunc_end239:
	.size	_Z27exclusive_scan_array_kernelILj65ELj5ELN6hipcub18BlockScanAlgorithmE0E6__halfEvPT2_S3_, .Lfunc_end239-_Z27exclusive_scan_array_kernelILj65ELj5ELN6hipcub18BlockScanAlgorithmE0E6__halfEvPT2_S3_
                                        ; -- End function
	.section	.AMDGPU.csdata,"",@progbits
; Kernel info:
; codeLenInByte = 888
; NumSgprs: 18
; NumVgprs: 22
; ScratchSize: 0
; MemoryBound: 0
; FloatMode: 240
; IeeeMode: 1
; LDSByteSize: 6 bytes/workgroup (compile time only)
; SGPRBlocks: 2
; VGPRBlocks: 2
; NumSGPRsForWavesPerEU: 18
; NumVGPRsForWavesPerEU: 22
; Occupancy: 16
; WaveLimiterHint : 0
; COMPUTE_PGM_RSRC2:SCRATCH_EN: 0
; COMPUTE_PGM_RSRC2:USER_SGPR: 15
; COMPUTE_PGM_RSRC2:TRAP_HANDLER: 0
; COMPUTE_PGM_RSRC2:TGID_X_EN: 1
; COMPUTE_PGM_RSRC2:TGID_Y_EN: 0
; COMPUTE_PGM_RSRC2:TGID_Z_EN: 0
; COMPUTE_PGM_RSRC2:TIDIG_COMP_CNT: 0
	.section	.text._Z27exclusive_scan_array_kernelILj255ELj15ELN6hipcub18BlockScanAlgorithmE0EfEvPT2_S2_,"axG",@progbits,_Z27exclusive_scan_array_kernelILj255ELj15ELN6hipcub18BlockScanAlgorithmE0EfEvPT2_S2_,comdat
	.protected	_Z27exclusive_scan_array_kernelILj255ELj15ELN6hipcub18BlockScanAlgorithmE0EfEvPT2_S2_ ; -- Begin function _Z27exclusive_scan_array_kernelILj255ELj15ELN6hipcub18BlockScanAlgorithmE0EfEvPT2_S2_
	.globl	_Z27exclusive_scan_array_kernelILj255ELj15ELN6hipcub18BlockScanAlgorithmE0EfEvPT2_S2_
	.p2align	8
	.type	_Z27exclusive_scan_array_kernelILj255ELj15ELN6hipcub18BlockScanAlgorithmE0EfEvPT2_S2_,@function
_Z27exclusive_scan_array_kernelILj255ELj15ELN6hipcub18BlockScanAlgorithmE0EfEvPT2_S2_: ; @_Z27exclusive_scan_array_kernelILj255ELj15ELN6hipcub18BlockScanAlgorithmE0EfEvPT2_S2_
; %bb.0:
	v_mad_u64_u32 v[1:2], null, 0xff, s15, v[0:1]
	s_load_b64 s[2:3], s[0:1], 0x0
	s_delay_alu instid0(VALU_DEP_1) | instskip(NEXT) | instid1(VALU_DEP_1)
	v_mul_lo_u32 v27, v1, 15
	v_dual_mov_b32 v28, 0 :: v_dual_add_nc_u32 v1, 1, v27
	s_delay_alu instid0(VALU_DEP_1) | instskip(SKIP_2) | instid1(VALU_DEP_3)
	v_dual_mov_b32 v2, v28 :: v_dual_add_nc_u32 v3, 2, v27
	v_lshlrev_b64 v[9:10], 2, v[27:28]
	v_dual_mov_b32 v4, v28 :: v_dual_add_nc_u32 v5, 3, v27
	v_lshlrev_b64 v[11:12], 2, v[1:2]
	v_dual_mov_b32 v6, v28 :: v_dual_add_nc_u32 v7, 4, v27
	s_delay_alu instid0(VALU_DEP_3)
	v_lshlrev_b64 v[13:14], 2, v[3:4]
	s_waitcnt lgkmcnt(0)
	v_add_co_u32 v1, vcc_lo, s2, v9
	v_mov_b32_e32 v8, v28
	v_add_co_ci_u32_e32 v2, vcc_lo, s3, v10, vcc_lo
	v_lshlrev_b64 v[15:16], 2, v[5:6]
	v_add_co_u32 v3, vcc_lo, s2, v11
	v_add_nc_u32_e32 v11, 5, v27
	v_add_co_ci_u32_e32 v4, vcc_lo, s3, v12, vcc_lo
	v_lshlrev_b64 v[17:18], 2, v[7:8]
	v_add_co_u32 v5, vcc_lo, s2, v13
	v_add_co_ci_u32_e32 v6, vcc_lo, s3, v14, vcc_lo
	v_add_co_u32 v7, vcc_lo, s2, v15
	v_add_co_ci_u32_e32 v8, vcc_lo, s3, v16, vcc_lo
	v_add_co_u32 v9, vcc_lo, s2, v17
	v_dual_mov_b32 v12, v28 :: v_dual_add_nc_u32 v13, 6, v27
	v_add_co_ci_u32_e32 v10, vcc_lo, s3, v18, vcc_lo
	s_clause 0x4
	global_load_b32 v31, v[1:2], off
	global_load_b32 v32, v[3:4], off
	;; [unrolled: 1-line block ×5, first 2 shown]
	v_dual_mov_b32 v14, v28 :: v_dual_add_nc_u32 v15, 7, v27
	v_lshlrev_b64 v[11:12], 2, v[11:12]
	v_dual_mov_b32 v16, v28 :: v_dual_add_nc_u32 v17, 8, v27
	s_delay_alu instid0(VALU_DEP_3) | instskip(SKIP_1) | instid1(VALU_DEP_4)
	v_lshlrev_b64 v[13:14], 2, v[13:14]
	v_dual_mov_b32 v18, v28 :: v_dual_add_nc_u32 v19, 9, v27
	v_add_co_u32 v11, vcc_lo, s2, v11
	s_delay_alu instid0(VALU_DEP_4)
	v_lshlrev_b64 v[15:16], 2, v[15:16]
	v_add_co_ci_u32_e32 v12, vcc_lo, s3, v12, vcc_lo
	v_add_co_u32 v13, vcc_lo, s2, v13
	v_add_co_ci_u32_e32 v14, vcc_lo, s3, v14, vcc_lo
	v_dual_mov_b32 v20, v28 :: v_dual_add_nc_u32 v21, 10, v27
	v_add_co_u32 v15, vcc_lo, s2, v15
	global_load_b32 v36, v[11:12], off
	v_lshlrev_b64 v[17:18], 2, v[17:18]
	v_add_co_ci_u32_e32 v16, vcc_lo, s3, v16, vcc_lo
	v_lshlrev_b64 v[19:20], 2, v[19:20]
	s_clause 0x1
	global_load_b32 v37, v[13:14], off
	global_load_b32 v38, v[15:16], off
	v_add_co_u32 v17, vcc_lo, s2, v17
	v_dual_mov_b32 v22, v28 :: v_dual_add_nc_u32 v23, 11, v27
	v_add_co_ci_u32_e32 v18, vcc_lo, s3, v18, vcc_lo
	v_add_co_u32 v19, vcc_lo, s2, v19
	v_dual_mov_b32 v24, v28 :: v_dual_add_nc_u32 v25, 12, v27
	v_add_co_ci_u32_e32 v20, vcc_lo, s3, v20, vcc_lo
	v_lshlrev_b64 v[21:22], 2, v[21:22]
	v_dual_mov_b32 v26, v28 :: v_dual_add_nc_u32 v29, 13, v27
	s_clause 0x1
	global_load_b32 v39, v[17:18], off
	global_load_b32 v40, v[19:20], off
	v_lshlrev_b64 v[23:24], 2, v[23:24]
	v_dual_mov_b32 v30, v28 :: v_dual_add_nc_u32 v27, 14, v27
	v_add_co_u32 v21, vcc_lo, s2, v21
	v_lshlrev_b64 v[25:26], 2, v[25:26]
	v_add_co_ci_u32_e32 v22, vcc_lo, s3, v22, vcc_lo
	v_add_co_u32 v23, vcc_lo, s2, v23
	v_add_co_ci_u32_e32 v24, vcc_lo, s3, v24, vcc_lo
	s_delay_alu instid0(VALU_DEP_4)
	v_add_co_u32 v25, vcc_lo, s2, v25
	global_load_b32 v41, v[21:22], off
	v_lshlrev_b64 v[29:30], 2, v[29:30]
	v_add_co_ci_u32_e32 v26, vcc_lo, s3, v26, vcc_lo
	v_lshlrev_b64 v[45:46], 2, v[27:28]
	s_clause 0x1
	global_load_b32 v43, v[23:24], off
	global_load_b32 v44, v[25:26], off
	v_add_co_u32 v27, vcc_lo, s2, v29
	v_add_co_ci_u32_e32 v28, vcc_lo, s3, v30, vcc_lo
	v_add_co_u32 v29, vcc_lo, s2, v45
	v_add_co_ci_u32_e32 v30, vcc_lo, s3, v46, vcc_lo
	s_clause 0x1
	global_load_b32 v42, v[27:28], off
	global_load_b32 v45, v[29:30], off
	s_mov_b32 s2, exec_lo
	s_waitcnt vmcnt(13)
	v_add_f32_e32 v46, v31, v32
	s_waitcnt vmcnt(12)
	s_delay_alu instid0(VALU_DEP_1) | instskip(SKIP_1) | instid1(VALU_DEP_1)
	v_add_f32_e32 v46, v33, v46
	s_waitcnt vmcnt(11)
	v_add_f32_e32 v46, v34, v46
	s_waitcnt vmcnt(10)
	s_delay_alu instid0(VALU_DEP_1) | instskip(SKIP_1) | instid1(VALU_DEP_1)
	v_add_f32_e32 v46, v35, v46
	;; [unrolled: 5-line block ×6, first 2 shown]
	s_waitcnt vmcnt(1)
	v_add_f32_e32 v46, v42, v46
	s_waitcnt vmcnt(0)
	s_delay_alu instid0(VALU_DEP_1) | instskip(SKIP_1) | instid1(VALU_DEP_2)
	v_add_f32_e32 v46, v45, v46
	v_mbcnt_lo_u32_b32 v45, -1, 0
	v_mov_b32_dpp v47, v46 row_shr:1 row_mask:0xf bank_mask:0xf
	s_delay_alu instid0(VALU_DEP_2) | instskip(NEXT) | instid1(VALU_DEP_2)
	v_and_b32_e32 v49, 16, v45
	v_dual_add_f32 v47, v46, v47 :: v_dual_and_b32 v48, 15, v45
	s_delay_alu instid0(VALU_DEP_1) | instskip(NEXT) | instid1(VALU_DEP_2)
	v_cmp_eq_u32_e32 vcc_lo, 0, v48
	v_cndmask_b32_e32 v46, v47, v46, vcc_lo
	v_cmp_lt_u32_e32 vcc_lo, 1, v48
	s_delay_alu instid0(VALU_DEP_2) | instskip(NEXT) | instid1(VALU_DEP_1)
	v_mov_b32_dpp v47, v46 row_shr:2 row_mask:0xf bank_mask:0xf
	v_add_f32_e32 v47, v46, v47
	s_delay_alu instid0(VALU_DEP_1) | instskip(SKIP_1) | instid1(VALU_DEP_2)
	v_cndmask_b32_e32 v46, v46, v47, vcc_lo
	v_cmp_lt_u32_e32 vcc_lo, 3, v48
	v_mov_b32_dpp v47, v46 row_shr:4 row_mask:0xf bank_mask:0xf
	s_delay_alu instid0(VALU_DEP_1) | instskip(NEXT) | instid1(VALU_DEP_1)
	v_add_f32_e32 v47, v46, v47
	v_cndmask_b32_e32 v46, v46, v47, vcc_lo
	v_cmp_lt_u32_e32 vcc_lo, 7, v48
	v_and_b32_e32 v48, 0xe0, v0
	s_delay_alu instid0(VALU_DEP_1) | instskip(NEXT) | instid1(VALU_DEP_1)
	v_min_u32_e32 v48, 0xdf, v48
	v_add_nc_u32_e32 v48, 31, v48
	v_mov_b32_dpp v47, v46 row_shr:8 row_mask:0xf bank_mask:0xf
	s_delay_alu instid0(VALU_DEP_1) | instskip(NEXT) | instid1(VALU_DEP_1)
	v_add_f32_e32 v47, v46, v47
	v_cndmask_b32_e32 v46, v46, v47, vcc_lo
	v_cmp_eq_u32_e32 vcc_lo, 0, v49
	ds_swizzle_b32 v47, v46 offset:swizzle(BROADCAST,32,15)
	s_waitcnt lgkmcnt(0)
	v_add_f32_e32 v50, v46, v47
	v_lshrrev_b32_e32 v47, 5, v0
	s_delay_alu instid0(VALU_DEP_2)
	v_cndmask_b32_e32 v46, v50, v46, vcc_lo
	v_cmpx_eq_u32_e64 v48, v0
	s_cbranch_execz .LBB240_2
; %bb.1:
	s_delay_alu instid0(VALU_DEP_3)
	v_lshlrev_b32_e32 v48, 2, v47
	ds_store_b32 v48, v46
.LBB240_2:
	s_or_b32 exec_lo, exec_lo, s2
	s_delay_alu instid0(SALU_CYCLE_1)
	s_mov_b32 s2, exec_lo
	s_waitcnt lgkmcnt(0)
	s_barrier
	buffer_gl0_inv
	v_cmpx_gt_u32_e32 8, v0
	s_cbranch_execz .LBB240_4
; %bb.3:
	v_and_b32_e32 v51, 7, v45
	s_delay_alu instid0(VALU_DEP_1) | instskip(SKIP_4) | instid1(VALU_DEP_1)
	v_cmp_eq_u32_e32 vcc_lo, 0, v51
	v_lshlrev_b32_e32 v48, 2, v0
	ds_load_b32 v49, v48
	s_waitcnt lgkmcnt(0)
	v_mov_b32_dpp v50, v49 row_shr:1 row_mask:0xf bank_mask:0xf
	v_add_f32_e32 v50, v49, v50
	s_delay_alu instid0(VALU_DEP_1) | instskip(SKIP_1) | instid1(VALU_DEP_2)
	v_cndmask_b32_e32 v49, v50, v49, vcc_lo
	v_cmp_lt_u32_e32 vcc_lo, 1, v51
	v_mov_b32_dpp v50, v49 row_shr:2 row_mask:0xf bank_mask:0xf
	s_delay_alu instid0(VALU_DEP_1) | instskip(NEXT) | instid1(VALU_DEP_1)
	v_add_f32_e32 v50, v49, v50
	v_cndmask_b32_e32 v49, v49, v50, vcc_lo
	v_cmp_lt_u32_e32 vcc_lo, 3, v51
	s_delay_alu instid0(VALU_DEP_2) | instskip(NEXT) | instid1(VALU_DEP_1)
	v_mov_b32_dpp v50, v49 row_shr:4 row_mask:0xf bank_mask:0xf
	v_add_f32_e32 v50, v49, v50
	s_delay_alu instid0(VALU_DEP_1)
	v_cndmask_b32_e32 v49, v49, v50, vcc_lo
	ds_store_b32 v48, v49
.LBB240_4:
	s_or_b32 exec_lo, exec_lo, s2
	s_load_b32 s0, s[0:1], 0x8
	s_mov_b32 s1, exec_lo
	s_waitcnt lgkmcnt(0)
	s_barrier
	buffer_gl0_inv
	v_mov_b32_e32 v48, s0
	v_cmpx_lt_u32_e32 31, v0
	s_cbranch_execz .LBB240_6
; %bb.5:
	v_lshl_add_u32 v47, v47, 2, -4
	ds_load_b32 v47, v47
	s_waitcnt lgkmcnt(0)
	v_add_f32_e32 v48, s0, v47
.LBB240_6:
	s_or_b32 exec_lo, exec_lo, s1
	s_delay_alu instid0(VALU_DEP_1) | instskip(NEXT) | instid1(VALU_DEP_1)
	v_dual_add_f32 v46, v46, v48 :: v_dual_add_nc_u32 v47, -1, v45
	v_cmp_gt_i32_e32 vcc_lo, 0, v47
	v_cndmask_b32_e32 v47, v47, v45, vcc_lo
	v_cmp_eq_u32_e32 vcc_lo, 0, v45
	s_delay_alu instid0(VALU_DEP_2) | instskip(SKIP_4) | instid1(VALU_DEP_2)
	v_lshlrev_b32_e32 v47, 2, v47
	ds_bpermute_b32 v46, v47, v46
	s_waitcnt lgkmcnt(0)
	v_cndmask_b32_e32 v45, v46, v48, vcc_lo
	v_cmp_eq_u32_e32 vcc_lo, 0, v0
	v_cndmask_b32_e64 v0, v45, s0, vcc_lo
	s_delay_alu instid0(VALU_DEP_1) | instskip(NEXT) | instid1(VALU_DEP_1)
	v_add_f32_e32 v31, v31, v0
	v_add_f32_e32 v32, v32, v31
	s_delay_alu instid0(VALU_DEP_1) | instskip(NEXT) | instid1(VALU_DEP_1)
	v_add_f32_e32 v33, v33, v32
	v_add_f32_e32 v34, v34, v33
	;; [unrolled: 3-line block ×6, first 2 shown]
	s_delay_alu instid0(VALU_DEP_1)
	v_add_f32_e32 v44, v44, v43
	s_clause 0x7
	global_store_b32 v[1:2], v0, off
	global_store_b32 v[3:4], v31, off
	;; [unrolled: 1-line block ×8, first 2 shown]
	v_add_f32_e32 v0, v42, v44
	s_clause 0x6
	global_store_b32 v[17:18], v38, off
	global_store_b32 v[19:20], v39, off
	;; [unrolled: 1-line block ×7, first 2 shown]
	s_nop 0
	s_sendmsg sendmsg(MSG_DEALLOC_VGPRS)
	s_endpgm
	.section	.rodata,"a",@progbits
	.p2align	6, 0x0
	.amdhsa_kernel _Z27exclusive_scan_array_kernelILj255ELj15ELN6hipcub18BlockScanAlgorithmE0EfEvPT2_S2_
		.amdhsa_group_segment_fixed_size 32
		.amdhsa_private_segment_fixed_size 0
		.amdhsa_kernarg_size 12
		.amdhsa_user_sgpr_count 15
		.amdhsa_user_sgpr_dispatch_ptr 0
		.amdhsa_user_sgpr_queue_ptr 0
		.amdhsa_user_sgpr_kernarg_segment_ptr 1
		.amdhsa_user_sgpr_dispatch_id 0
		.amdhsa_user_sgpr_private_segment_size 0
		.amdhsa_wavefront_size32 1
		.amdhsa_uses_dynamic_stack 0
		.amdhsa_enable_private_segment 0
		.amdhsa_system_sgpr_workgroup_id_x 1
		.amdhsa_system_sgpr_workgroup_id_y 0
		.amdhsa_system_sgpr_workgroup_id_z 0
		.amdhsa_system_sgpr_workgroup_info 0
		.amdhsa_system_vgpr_workitem_id 0
		.amdhsa_next_free_vgpr 52
		.amdhsa_next_free_sgpr 16
		.amdhsa_reserve_vcc 1
		.amdhsa_float_round_mode_32 0
		.amdhsa_float_round_mode_16_64 0
		.amdhsa_float_denorm_mode_32 3
		.amdhsa_float_denorm_mode_16_64 3
		.amdhsa_dx10_clamp 1
		.amdhsa_ieee_mode 1
		.amdhsa_fp16_overflow 0
		.amdhsa_workgroup_processor_mode 1
		.amdhsa_memory_ordered 1
		.amdhsa_forward_progress 0
		.amdhsa_shared_vgpr_count 0
		.amdhsa_exception_fp_ieee_invalid_op 0
		.amdhsa_exception_fp_denorm_src 0
		.amdhsa_exception_fp_ieee_div_zero 0
		.amdhsa_exception_fp_ieee_overflow 0
		.amdhsa_exception_fp_ieee_underflow 0
		.amdhsa_exception_fp_ieee_inexact 0
		.amdhsa_exception_int_div_zero 0
	.end_amdhsa_kernel
	.section	.text._Z27exclusive_scan_array_kernelILj255ELj15ELN6hipcub18BlockScanAlgorithmE0EfEvPT2_S2_,"axG",@progbits,_Z27exclusive_scan_array_kernelILj255ELj15ELN6hipcub18BlockScanAlgorithmE0EfEvPT2_S2_,comdat
.Lfunc_end240:
	.size	_Z27exclusive_scan_array_kernelILj255ELj15ELN6hipcub18BlockScanAlgorithmE0EfEvPT2_S2_, .Lfunc_end240-_Z27exclusive_scan_array_kernelILj255ELj15ELN6hipcub18BlockScanAlgorithmE0EfEvPT2_S2_
                                        ; -- End function
	.section	.AMDGPU.csdata,"",@progbits
; Kernel info:
; codeLenInByte = 1456
; NumSgprs: 18
; NumVgprs: 52
; ScratchSize: 0
; MemoryBound: 0
; FloatMode: 240
; IeeeMode: 1
; LDSByteSize: 32 bytes/workgroup (compile time only)
; SGPRBlocks: 2
; VGPRBlocks: 6
; NumSGPRsForWavesPerEU: 18
; NumVGPRsForWavesPerEU: 52
; Occupancy: 16
; WaveLimiterHint : 0
; COMPUTE_PGM_RSRC2:SCRATCH_EN: 0
; COMPUTE_PGM_RSRC2:USER_SGPR: 15
; COMPUTE_PGM_RSRC2:TRAP_HANDLER: 0
; COMPUTE_PGM_RSRC2:TGID_X_EN: 1
; COMPUTE_PGM_RSRC2:TGID_Y_EN: 0
; COMPUTE_PGM_RSRC2:TGID_Z_EN: 0
; COMPUTE_PGM_RSRC2:TIDIG_COMP_CNT: 0
	.section	.text._Z27exclusive_scan_array_kernelILj162ELj7ELN6hipcub18BlockScanAlgorithmE0EfEvPT2_S2_,"axG",@progbits,_Z27exclusive_scan_array_kernelILj162ELj7ELN6hipcub18BlockScanAlgorithmE0EfEvPT2_S2_,comdat
	.protected	_Z27exclusive_scan_array_kernelILj162ELj7ELN6hipcub18BlockScanAlgorithmE0EfEvPT2_S2_ ; -- Begin function _Z27exclusive_scan_array_kernelILj162ELj7ELN6hipcub18BlockScanAlgorithmE0EfEvPT2_S2_
	.globl	_Z27exclusive_scan_array_kernelILj162ELj7ELN6hipcub18BlockScanAlgorithmE0EfEvPT2_S2_
	.p2align	8
	.type	_Z27exclusive_scan_array_kernelILj162ELj7ELN6hipcub18BlockScanAlgorithmE0EfEvPT2_S2_,@function
_Z27exclusive_scan_array_kernelILj162ELj7ELN6hipcub18BlockScanAlgorithmE0EfEvPT2_S2_: ; @_Z27exclusive_scan_array_kernelILj162ELj7ELN6hipcub18BlockScanAlgorithmE0EfEvPT2_S2_
; %bb.0:
	v_mad_u64_u32 v[1:2], null, 0xa2, s15, v[0:1]
	s_load_b64 s[2:3], s[0:1], 0x0
	s_delay_alu instid0(VALU_DEP_1) | instskip(NEXT) | instid1(VALU_DEP_1)
	v_mul_lo_u32 v11, v1, 7
	v_dual_mov_b32 v12, 0 :: v_dual_add_nc_u32 v1, 1, v11
	s_delay_alu instid0(VALU_DEP_1) | instskip(SKIP_2) | instid1(VALU_DEP_3)
	v_dual_mov_b32 v2, v12 :: v_dual_add_nc_u32 v3, 2, v11
	v_lshlrev_b64 v[9:10], 2, v[11:12]
	v_dual_mov_b32 v4, v12 :: v_dual_add_nc_u32 v5, 3, v11
	v_lshlrev_b64 v[13:14], 2, v[1:2]
	v_dual_mov_b32 v6, v12 :: v_dual_add_nc_u32 v7, 4, v11
	s_waitcnt lgkmcnt(0)
	s_delay_alu instid0(VALU_DEP_4)
	v_add_co_u32 v1, vcc_lo, s2, v9
	v_lshlrev_b64 v[15:16], 2, v[3:4]
	v_add_co_ci_u32_e32 v2, vcc_lo, s3, v10, vcc_lo
	v_mov_b32_e32 v8, v12
	v_add_co_u32 v3, vcc_lo, s2, v13
	v_add_nc_u32_e32 v13, 5, v11
	v_lshlrev_b64 v[17:18], 2, v[5:6]
	v_add_co_ci_u32_e32 v4, vcc_lo, s3, v14, vcc_lo
	v_add_co_u32 v5, vcc_lo, s2, v15
	v_lshlrev_b64 v[19:20], 2, v[7:8]
	v_add_co_ci_u32_e32 v6, vcc_lo, s3, v16, vcc_lo
	s_clause 0x1
	global_load_b32 v15, v[1:2], off
	global_load_b32 v16, v[3:4], off
	v_dual_mov_b32 v14, v12 :: v_dual_add_nc_u32 v11, 6, v11
	v_add_co_u32 v7, vcc_lo, s2, v17
	v_add_co_ci_u32_e32 v8, vcc_lo, s3, v18, vcc_lo
	v_add_co_u32 v9, vcc_lo, s2, v19
	global_load_b32 v17, v[5:6], off
	v_lshlrev_b64 v[13:14], 2, v[13:14]
	v_add_co_ci_u32_e32 v10, vcc_lo, s3, v20, vcc_lo
	v_lshlrev_b64 v[20:21], 2, v[11:12]
	s_clause 0x1
	global_load_b32 v18, v[7:8], off
	global_load_b32 v19, v[9:10], off
	v_add_co_u32 v11, vcc_lo, s2, v13
	v_add_co_ci_u32_e32 v12, vcc_lo, s3, v14, vcc_lo
	v_add_co_u32 v13, vcc_lo, s2, v20
	v_add_co_ci_u32_e32 v14, vcc_lo, s3, v21, vcc_lo
	s_clause 0x1
	global_load_b32 v20, v[11:12], off
	global_load_b32 v21, v[13:14], off
	s_mov_b32 s2, exec_lo
	s_waitcnt vmcnt(5)
	v_add_f32_e32 v22, v15, v16
	s_waitcnt vmcnt(4)
	s_delay_alu instid0(VALU_DEP_1) | instskip(SKIP_1) | instid1(VALU_DEP_1)
	v_add_f32_e32 v22, v17, v22
	s_waitcnt vmcnt(3)
	v_add_f32_e32 v22, v18, v22
	s_waitcnt vmcnt(2)
	s_delay_alu instid0(VALU_DEP_1) | instskip(SKIP_1) | instid1(VALU_DEP_1)
	v_add_f32_e32 v22, v19, v22
	s_waitcnt vmcnt(1)
	v_add_f32_e32 v22, v20, v22
	s_waitcnt vmcnt(0)
	s_delay_alu instid0(VALU_DEP_1) | instskip(SKIP_1) | instid1(VALU_DEP_2)
	v_add_f32_e32 v22, v21, v22
	v_mbcnt_lo_u32_b32 v21, -1, 0
	v_mov_b32_dpp v23, v22 row_shr:1 row_mask:0xf bank_mask:0xf
	s_delay_alu instid0(VALU_DEP_2) | instskip(NEXT) | instid1(VALU_DEP_2)
	v_and_b32_e32 v25, 16, v21
	v_dual_add_f32 v23, v22, v23 :: v_dual_and_b32 v24, 15, v21
	s_delay_alu instid0(VALU_DEP_1) | instskip(NEXT) | instid1(VALU_DEP_2)
	v_cmp_eq_u32_e32 vcc_lo, 0, v24
	v_cndmask_b32_e32 v22, v23, v22, vcc_lo
	v_cmp_lt_u32_e32 vcc_lo, 1, v24
	s_delay_alu instid0(VALU_DEP_2) | instskip(NEXT) | instid1(VALU_DEP_1)
	v_mov_b32_dpp v23, v22 row_shr:2 row_mask:0xf bank_mask:0xf
	v_add_f32_e32 v23, v22, v23
	s_delay_alu instid0(VALU_DEP_1) | instskip(SKIP_1) | instid1(VALU_DEP_2)
	v_cndmask_b32_e32 v22, v22, v23, vcc_lo
	v_cmp_lt_u32_e32 vcc_lo, 3, v24
	v_mov_b32_dpp v23, v22 row_shr:4 row_mask:0xf bank_mask:0xf
	s_delay_alu instid0(VALU_DEP_1) | instskip(NEXT) | instid1(VALU_DEP_1)
	v_add_f32_e32 v23, v22, v23
	v_cndmask_b32_e32 v22, v22, v23, vcc_lo
	v_cmp_lt_u32_e32 vcc_lo, 7, v24
	v_and_b32_e32 v24, 0xe0, v0
	s_delay_alu instid0(VALU_DEP_1) | instskip(NEXT) | instid1(VALU_DEP_1)
	v_min_u32_e32 v24, 0x82, v24
	v_add_nc_u32_e32 v24, 31, v24
	v_mov_b32_dpp v23, v22 row_shr:8 row_mask:0xf bank_mask:0xf
	s_delay_alu instid0(VALU_DEP_1) | instskip(NEXT) | instid1(VALU_DEP_1)
	v_add_f32_e32 v23, v22, v23
	v_cndmask_b32_e32 v22, v22, v23, vcc_lo
	v_cmp_eq_u32_e32 vcc_lo, 0, v25
	ds_swizzle_b32 v23, v22 offset:swizzle(BROADCAST,32,15)
	s_waitcnt lgkmcnt(0)
	v_add_f32_e32 v26, v22, v23
	v_lshrrev_b32_e32 v23, 5, v0
	s_delay_alu instid0(VALU_DEP_2)
	v_cndmask_b32_e32 v22, v26, v22, vcc_lo
	v_cmpx_eq_u32_e64 v24, v0
	s_cbranch_execz .LBB241_2
; %bb.1:
	s_delay_alu instid0(VALU_DEP_3)
	v_lshlrev_b32_e32 v24, 2, v23
	ds_store_b32 v24, v22
.LBB241_2:
	s_or_b32 exec_lo, exec_lo, s2
	s_delay_alu instid0(SALU_CYCLE_1)
	s_mov_b32 s2, exec_lo
	s_waitcnt lgkmcnt(0)
	s_barrier
	buffer_gl0_inv
	v_cmpx_gt_u32_e32 6, v0
	s_cbranch_execz .LBB241_4
; %bb.3:
	v_and_b32_e32 v27, 7, v21
	s_delay_alu instid0(VALU_DEP_1) | instskip(SKIP_4) | instid1(VALU_DEP_1)
	v_cmp_eq_u32_e32 vcc_lo, 0, v27
	v_lshlrev_b32_e32 v24, 2, v0
	ds_load_b32 v25, v24
	s_waitcnt lgkmcnt(0)
	v_mov_b32_dpp v26, v25 row_shr:1 row_mask:0xf bank_mask:0xf
	v_add_f32_e32 v26, v25, v26
	s_delay_alu instid0(VALU_DEP_1) | instskip(SKIP_1) | instid1(VALU_DEP_2)
	v_cndmask_b32_e32 v25, v26, v25, vcc_lo
	v_cmp_lt_u32_e32 vcc_lo, 1, v27
	v_mov_b32_dpp v26, v25 row_shr:2 row_mask:0xf bank_mask:0xf
	s_delay_alu instid0(VALU_DEP_1) | instskip(NEXT) | instid1(VALU_DEP_1)
	v_add_f32_e32 v26, v25, v26
	v_cndmask_b32_e32 v25, v25, v26, vcc_lo
	v_cmp_lt_u32_e32 vcc_lo, 3, v27
	s_delay_alu instid0(VALU_DEP_2) | instskip(NEXT) | instid1(VALU_DEP_1)
	v_mov_b32_dpp v26, v25 row_shr:4 row_mask:0xf bank_mask:0xf
	v_add_f32_e32 v26, v25, v26
	s_delay_alu instid0(VALU_DEP_1)
	v_cndmask_b32_e32 v25, v25, v26, vcc_lo
	ds_store_b32 v24, v25
.LBB241_4:
	s_or_b32 exec_lo, exec_lo, s2
	s_load_b32 s0, s[0:1], 0x8
	s_mov_b32 s1, exec_lo
	s_waitcnt lgkmcnt(0)
	s_barrier
	buffer_gl0_inv
	v_mov_b32_e32 v24, s0
	v_cmpx_lt_u32_e32 31, v0
	s_cbranch_execz .LBB241_6
; %bb.5:
	v_lshl_add_u32 v23, v23, 2, -4
	ds_load_b32 v23, v23
	s_waitcnt lgkmcnt(0)
	v_add_f32_e32 v24, s0, v23
.LBB241_6:
	s_or_b32 exec_lo, exec_lo, s1
	s_delay_alu instid0(VALU_DEP_1) | instskip(NEXT) | instid1(VALU_DEP_1)
	v_dual_add_f32 v22, v22, v24 :: v_dual_add_nc_u32 v23, -1, v21
	v_cmp_gt_i32_e32 vcc_lo, 0, v23
	v_cndmask_b32_e32 v23, v23, v21, vcc_lo
	v_cmp_eq_u32_e32 vcc_lo, 0, v21
	s_delay_alu instid0(VALU_DEP_2) | instskip(SKIP_4) | instid1(VALU_DEP_2)
	v_lshlrev_b32_e32 v23, 2, v23
	ds_bpermute_b32 v22, v23, v22
	s_waitcnt lgkmcnt(0)
	v_cndmask_b32_e32 v21, v22, v24, vcc_lo
	v_cmp_eq_u32_e32 vcc_lo, 0, v0
	v_cndmask_b32_e64 v0, v21, s0, vcc_lo
	s_delay_alu instid0(VALU_DEP_1) | instskip(NEXT) | instid1(VALU_DEP_1)
	v_add_f32_e32 v15, v15, v0
	v_add_f32_e32 v16, v16, v15
	s_delay_alu instid0(VALU_DEP_1) | instskip(NEXT) | instid1(VALU_DEP_1)
	v_add_f32_e32 v17, v17, v16
	v_add_f32_e32 v18, v18, v17
	;; [unrolled: 3-line block ×3, first 2 shown]
	s_clause 0x6
	global_store_b32 v[1:2], v0, off
	global_store_b32 v[3:4], v15, off
	global_store_b32 v[5:6], v16, off
	global_store_b32 v[7:8], v17, off
	global_store_b32 v[9:10], v18, off
	global_store_b32 v[11:12], v19, off
	global_store_b32 v[13:14], v20, off
	s_nop 0
	s_sendmsg sendmsg(MSG_DEALLOC_VGPRS)
	s_endpgm
	.section	.rodata,"a",@progbits
	.p2align	6, 0x0
	.amdhsa_kernel _Z27exclusive_scan_array_kernelILj162ELj7ELN6hipcub18BlockScanAlgorithmE0EfEvPT2_S2_
		.amdhsa_group_segment_fixed_size 24
		.amdhsa_private_segment_fixed_size 0
		.amdhsa_kernarg_size 12
		.amdhsa_user_sgpr_count 15
		.amdhsa_user_sgpr_dispatch_ptr 0
		.amdhsa_user_sgpr_queue_ptr 0
		.amdhsa_user_sgpr_kernarg_segment_ptr 1
		.amdhsa_user_sgpr_dispatch_id 0
		.amdhsa_user_sgpr_private_segment_size 0
		.amdhsa_wavefront_size32 1
		.amdhsa_uses_dynamic_stack 0
		.amdhsa_enable_private_segment 0
		.amdhsa_system_sgpr_workgroup_id_x 1
		.amdhsa_system_sgpr_workgroup_id_y 0
		.amdhsa_system_sgpr_workgroup_id_z 0
		.amdhsa_system_sgpr_workgroup_info 0
		.amdhsa_system_vgpr_workitem_id 0
		.amdhsa_next_free_vgpr 28
		.amdhsa_next_free_sgpr 16
		.amdhsa_reserve_vcc 1
		.amdhsa_float_round_mode_32 0
		.amdhsa_float_round_mode_16_64 0
		.amdhsa_float_denorm_mode_32 3
		.amdhsa_float_denorm_mode_16_64 3
		.amdhsa_dx10_clamp 1
		.amdhsa_ieee_mode 1
		.amdhsa_fp16_overflow 0
		.amdhsa_workgroup_processor_mode 1
		.amdhsa_memory_ordered 1
		.amdhsa_forward_progress 0
		.amdhsa_shared_vgpr_count 0
		.amdhsa_exception_fp_ieee_invalid_op 0
		.amdhsa_exception_fp_denorm_src 0
		.amdhsa_exception_fp_ieee_div_zero 0
		.amdhsa_exception_fp_ieee_overflow 0
		.amdhsa_exception_fp_ieee_underflow 0
		.amdhsa_exception_fp_ieee_inexact 0
		.amdhsa_exception_int_div_zero 0
	.end_amdhsa_kernel
	.section	.text._Z27exclusive_scan_array_kernelILj162ELj7ELN6hipcub18BlockScanAlgorithmE0EfEvPT2_S2_,"axG",@progbits,_Z27exclusive_scan_array_kernelILj162ELj7ELN6hipcub18BlockScanAlgorithmE0EfEvPT2_S2_,comdat
.Lfunc_end241:
	.size	_Z27exclusive_scan_array_kernelILj162ELj7ELN6hipcub18BlockScanAlgorithmE0EfEvPT2_S2_, .Lfunc_end241-_Z27exclusive_scan_array_kernelILj162ELj7ELN6hipcub18BlockScanAlgorithmE0EfEvPT2_S2_
                                        ; -- End function
	.section	.AMDGPU.csdata,"",@progbits
; Kernel info:
; codeLenInByte = 952
; NumSgprs: 18
; NumVgprs: 28
; ScratchSize: 0
; MemoryBound: 0
; FloatMode: 240
; IeeeMode: 1
; LDSByteSize: 24 bytes/workgroup (compile time only)
; SGPRBlocks: 2
; VGPRBlocks: 3
; NumSGPRsForWavesPerEU: 18
; NumVGPRsForWavesPerEU: 28
; Occupancy: 15
; WaveLimiterHint : 0
; COMPUTE_PGM_RSRC2:SCRATCH_EN: 0
; COMPUTE_PGM_RSRC2:USER_SGPR: 15
; COMPUTE_PGM_RSRC2:TRAP_HANDLER: 0
; COMPUTE_PGM_RSRC2:TGID_X_EN: 1
; COMPUTE_PGM_RSRC2:TGID_Y_EN: 0
; COMPUTE_PGM_RSRC2:TGID_Z_EN: 0
; COMPUTE_PGM_RSRC2:TIDIG_COMP_CNT: 0
	.section	.text._Z27exclusive_scan_array_kernelILj65ELj5ELN6hipcub18BlockScanAlgorithmE0EfEvPT2_S2_,"axG",@progbits,_Z27exclusive_scan_array_kernelILj65ELj5ELN6hipcub18BlockScanAlgorithmE0EfEvPT2_S2_,comdat
	.protected	_Z27exclusive_scan_array_kernelILj65ELj5ELN6hipcub18BlockScanAlgorithmE0EfEvPT2_S2_ ; -- Begin function _Z27exclusive_scan_array_kernelILj65ELj5ELN6hipcub18BlockScanAlgorithmE0EfEvPT2_S2_
	.globl	_Z27exclusive_scan_array_kernelILj65ELj5ELN6hipcub18BlockScanAlgorithmE0EfEvPT2_S2_
	.p2align	8
	.type	_Z27exclusive_scan_array_kernelILj65ELj5ELN6hipcub18BlockScanAlgorithmE0EfEvPT2_S2_,@function
_Z27exclusive_scan_array_kernelILj65ELj5ELN6hipcub18BlockScanAlgorithmE0EfEvPT2_S2_: ; @_Z27exclusive_scan_array_kernelILj65ELj5ELN6hipcub18BlockScanAlgorithmE0EfEvPT2_S2_
; %bb.0:
	v_mad_u64_u32 v[1:2], null, 0x41, s15, v[0:1]
	s_load_b64 s[2:3], s[0:1], 0x0
	s_delay_alu instid0(VALU_DEP_1) | instskip(NEXT) | instid1(VALU_DEP_1)
	v_lshl_add_u32 v1, v1, 2, v1
	v_dual_mov_b32 v2, 0 :: v_dual_add_nc_u32 v3, 1, v1
	s_delay_alu instid0(VALU_DEP_1) | instskip(SKIP_3) | instid1(VALU_DEP_4)
	v_dual_mov_b32 v4, v2 :: v_dual_add_nc_u32 v5, 2, v1
	v_lshlrev_b64 v[9:10], 2, v[1:2]
	v_dual_mov_b32 v6, v2 :: v_dual_add_nc_u32 v7, 3, v1
	v_dual_mov_b32 v8, v2 :: v_dual_add_nc_u32 v1, 4, v1
	v_lshlrev_b64 v[3:4], 2, v[3:4]
	s_delay_alu instid0(VALU_DEP_3) | instskip(NEXT) | instid1(VALU_DEP_3)
	v_lshlrev_b64 v[5:6], 2, v[5:6]
	v_lshlrev_b64 v[7:8], 2, v[7:8]
	s_delay_alu instid0(VALU_DEP_4)
	v_lshlrev_b64 v[14:15], 2, v[1:2]
	s_waitcnt lgkmcnt(0)
	v_add_co_u32 v1, vcc_lo, s2, v9
	v_add_co_ci_u32_e32 v2, vcc_lo, s3, v10, vcc_lo
	v_add_co_u32 v3, vcc_lo, s2, v3
	v_add_co_ci_u32_e32 v4, vcc_lo, s3, v4, vcc_lo
	;; [unrolled: 2-line block ×3, first 2 shown]
	s_clause 0x1
	global_load_b32 v11, v[1:2], off
	global_load_b32 v12, v[3:4], off
	v_add_co_u32 v7, vcc_lo, s2, v7
	v_add_co_ci_u32_e32 v8, vcc_lo, s3, v8, vcc_lo
	global_load_b32 v13, v[5:6], off
	v_add_co_u32 v9, vcc_lo, s2, v14
	v_add_co_ci_u32_e32 v10, vcc_lo, s3, v15, vcc_lo
	s_clause 0x1
	global_load_b32 v14, v[7:8], off
	global_load_b32 v15, v[9:10], off
	s_mov_b32 s2, exec_lo
	s_waitcnt vmcnt(3)
	v_add_f32_e32 v16, v11, v12
	s_waitcnt vmcnt(2)
	s_delay_alu instid0(VALU_DEP_1) | instskip(SKIP_1) | instid1(VALU_DEP_1)
	v_add_f32_e32 v16, v13, v16
	s_waitcnt vmcnt(1)
	v_add_f32_e32 v16, v14, v16
	s_waitcnt vmcnt(0)
	s_delay_alu instid0(VALU_DEP_1) | instskip(SKIP_1) | instid1(VALU_DEP_2)
	v_add_f32_e32 v16, v15, v16
	v_mbcnt_lo_u32_b32 v15, -1, 0
	v_mov_b32_dpp v17, v16 row_shr:1 row_mask:0xf bank_mask:0xf
	s_delay_alu instid0(VALU_DEP_2) | instskip(NEXT) | instid1(VALU_DEP_2)
	v_and_b32_e32 v19, 16, v15
	v_dual_add_f32 v17, v16, v17 :: v_dual_and_b32 v18, 15, v15
	s_delay_alu instid0(VALU_DEP_1) | instskip(NEXT) | instid1(VALU_DEP_2)
	v_cmp_eq_u32_e32 vcc_lo, 0, v18
	v_cndmask_b32_e32 v16, v17, v16, vcc_lo
	v_cmp_lt_u32_e32 vcc_lo, 1, v18
	s_delay_alu instid0(VALU_DEP_2) | instskip(NEXT) | instid1(VALU_DEP_1)
	v_mov_b32_dpp v17, v16 row_shr:2 row_mask:0xf bank_mask:0xf
	v_add_f32_e32 v17, v16, v17
	s_delay_alu instid0(VALU_DEP_1) | instskip(SKIP_1) | instid1(VALU_DEP_2)
	v_cndmask_b32_e32 v16, v16, v17, vcc_lo
	v_cmp_lt_u32_e32 vcc_lo, 3, v18
	v_mov_b32_dpp v17, v16 row_shr:4 row_mask:0xf bank_mask:0xf
	s_delay_alu instid0(VALU_DEP_1) | instskip(NEXT) | instid1(VALU_DEP_1)
	v_add_f32_e32 v17, v16, v17
	v_cndmask_b32_e32 v16, v16, v17, vcc_lo
	v_cmp_lt_u32_e32 vcc_lo, 7, v18
	v_and_b32_e32 v18, 0x60, v0
	s_delay_alu instid0(VALU_DEP_1) | instskip(NEXT) | instid1(VALU_DEP_1)
	v_min_u32_e32 v18, 33, v18
	v_add_nc_u32_e32 v18, 31, v18
	v_mov_b32_dpp v17, v16 row_shr:8 row_mask:0xf bank_mask:0xf
	s_delay_alu instid0(VALU_DEP_1) | instskip(NEXT) | instid1(VALU_DEP_1)
	v_add_f32_e32 v17, v16, v17
	v_cndmask_b32_e32 v16, v16, v17, vcc_lo
	v_cmp_eq_u32_e32 vcc_lo, 0, v19
	ds_swizzle_b32 v17, v16 offset:swizzle(BROADCAST,32,15)
	s_waitcnt lgkmcnt(0)
	v_add_f32_e32 v20, v16, v17
	v_lshrrev_b32_e32 v17, 5, v0
	s_delay_alu instid0(VALU_DEP_2)
	v_cndmask_b32_e32 v16, v20, v16, vcc_lo
	v_cmpx_eq_u32_e64 v18, v0
	s_cbranch_execz .LBB242_2
; %bb.1:
	s_delay_alu instid0(VALU_DEP_3)
	v_lshlrev_b32_e32 v18, 2, v17
	ds_store_b32 v18, v16
.LBB242_2:
	s_or_b32 exec_lo, exec_lo, s2
	s_delay_alu instid0(SALU_CYCLE_1)
	s_mov_b32 s2, exec_lo
	s_waitcnt lgkmcnt(0)
	s_barrier
	buffer_gl0_inv
	v_cmpx_gt_u32_e32 3, v0
	s_cbranch_execz .LBB242_4
; %bb.3:
	v_and_b32_e32 v21, 3, v15
	s_delay_alu instid0(VALU_DEP_1) | instskip(SKIP_4) | instid1(VALU_DEP_1)
	v_cmp_eq_u32_e32 vcc_lo, 0, v21
	v_lshlrev_b32_e32 v18, 2, v0
	ds_load_b32 v19, v18
	s_waitcnt lgkmcnt(0)
	v_mov_b32_dpp v20, v19 row_shr:1 row_mask:0xf bank_mask:0xf
	v_add_f32_e32 v20, v19, v20
	s_delay_alu instid0(VALU_DEP_1) | instskip(SKIP_1) | instid1(VALU_DEP_2)
	v_cndmask_b32_e32 v19, v20, v19, vcc_lo
	v_cmp_lt_u32_e32 vcc_lo, 1, v21
	v_mov_b32_dpp v20, v19 row_shr:2 row_mask:0xf bank_mask:0xf
	s_delay_alu instid0(VALU_DEP_1) | instskip(NEXT) | instid1(VALU_DEP_1)
	v_add_f32_e32 v20, v19, v20
	v_cndmask_b32_e32 v19, v19, v20, vcc_lo
	ds_store_b32 v18, v19
.LBB242_4:
	s_or_b32 exec_lo, exec_lo, s2
	s_load_b32 s0, s[0:1], 0x8
	s_mov_b32 s1, exec_lo
	s_waitcnt lgkmcnt(0)
	s_barrier
	buffer_gl0_inv
	v_mov_b32_e32 v18, s0
	v_cmpx_lt_u32_e32 31, v0
	s_cbranch_execz .LBB242_6
; %bb.5:
	v_lshl_add_u32 v17, v17, 2, -4
	ds_load_b32 v17, v17
	s_waitcnt lgkmcnt(0)
	v_add_f32_e32 v18, s0, v17
.LBB242_6:
	s_or_b32 exec_lo, exec_lo, s1
	s_delay_alu instid0(VALU_DEP_1) | instskip(NEXT) | instid1(VALU_DEP_1)
	v_dual_add_f32 v16, v16, v18 :: v_dual_add_nc_u32 v17, -1, v15
	v_cmp_gt_i32_e32 vcc_lo, 0, v17
	v_cndmask_b32_e32 v17, v17, v15, vcc_lo
	v_cmp_eq_u32_e32 vcc_lo, 0, v15
	s_delay_alu instid0(VALU_DEP_2) | instskip(SKIP_4) | instid1(VALU_DEP_2)
	v_lshlrev_b32_e32 v17, 2, v17
	ds_bpermute_b32 v16, v17, v16
	s_waitcnt lgkmcnt(0)
	v_cndmask_b32_e32 v15, v16, v18, vcc_lo
	v_cmp_eq_u32_e32 vcc_lo, 0, v0
	v_cndmask_b32_e64 v0, v15, s0, vcc_lo
	s_delay_alu instid0(VALU_DEP_1) | instskip(NEXT) | instid1(VALU_DEP_1)
	v_add_f32_e32 v11, v11, v0
	v_add_f32_e32 v12, v12, v11
	s_delay_alu instid0(VALU_DEP_1) | instskip(NEXT) | instid1(VALU_DEP_1)
	v_add_f32_e32 v13, v13, v12
	v_add_f32_e32 v14, v14, v13
	s_clause 0x4
	global_store_b32 v[1:2], v0, off
	global_store_b32 v[3:4], v11, off
	;; [unrolled: 1-line block ×5, first 2 shown]
	s_nop 0
	s_sendmsg sendmsg(MSG_DEALLOC_VGPRS)
	s_endpgm
	.section	.rodata,"a",@progbits
	.p2align	6, 0x0
	.amdhsa_kernel _Z27exclusive_scan_array_kernelILj65ELj5ELN6hipcub18BlockScanAlgorithmE0EfEvPT2_S2_
		.amdhsa_group_segment_fixed_size 12
		.amdhsa_private_segment_fixed_size 0
		.amdhsa_kernarg_size 12
		.amdhsa_user_sgpr_count 15
		.amdhsa_user_sgpr_dispatch_ptr 0
		.amdhsa_user_sgpr_queue_ptr 0
		.amdhsa_user_sgpr_kernarg_segment_ptr 1
		.amdhsa_user_sgpr_dispatch_id 0
		.amdhsa_user_sgpr_private_segment_size 0
		.amdhsa_wavefront_size32 1
		.amdhsa_uses_dynamic_stack 0
		.amdhsa_enable_private_segment 0
		.amdhsa_system_sgpr_workgroup_id_x 1
		.amdhsa_system_sgpr_workgroup_id_y 0
		.amdhsa_system_sgpr_workgroup_id_z 0
		.amdhsa_system_sgpr_workgroup_info 0
		.amdhsa_system_vgpr_workitem_id 0
		.amdhsa_next_free_vgpr 22
		.amdhsa_next_free_sgpr 16
		.amdhsa_reserve_vcc 1
		.amdhsa_float_round_mode_32 0
		.amdhsa_float_round_mode_16_64 0
		.amdhsa_float_denorm_mode_32 3
		.amdhsa_float_denorm_mode_16_64 3
		.amdhsa_dx10_clamp 1
		.amdhsa_ieee_mode 1
		.amdhsa_fp16_overflow 0
		.amdhsa_workgroup_processor_mode 1
		.amdhsa_memory_ordered 1
		.amdhsa_forward_progress 0
		.amdhsa_shared_vgpr_count 0
		.amdhsa_exception_fp_ieee_invalid_op 0
		.amdhsa_exception_fp_denorm_src 0
		.amdhsa_exception_fp_ieee_div_zero 0
		.amdhsa_exception_fp_ieee_overflow 0
		.amdhsa_exception_fp_ieee_underflow 0
		.amdhsa_exception_fp_ieee_inexact 0
		.amdhsa_exception_int_div_zero 0
	.end_amdhsa_kernel
	.section	.text._Z27exclusive_scan_array_kernelILj65ELj5ELN6hipcub18BlockScanAlgorithmE0EfEvPT2_S2_,"axG",@progbits,_Z27exclusive_scan_array_kernelILj65ELj5ELN6hipcub18BlockScanAlgorithmE0EfEvPT2_S2_,comdat
.Lfunc_end242:
	.size	_Z27exclusive_scan_array_kernelILj65ELj5ELN6hipcub18BlockScanAlgorithmE0EfEvPT2_S2_, .Lfunc_end242-_Z27exclusive_scan_array_kernelILj65ELj5ELN6hipcub18BlockScanAlgorithmE0EfEvPT2_S2_
                                        ; -- End function
	.section	.AMDGPU.csdata,"",@progbits
; Kernel info:
; codeLenInByte = 800
; NumSgprs: 18
; NumVgprs: 22
; ScratchSize: 0
; MemoryBound: 0
; FloatMode: 240
; IeeeMode: 1
; LDSByteSize: 12 bytes/workgroup (compile time only)
; SGPRBlocks: 2
; VGPRBlocks: 2
; NumSGPRsForWavesPerEU: 18
; NumVGPRsForWavesPerEU: 22
; Occupancy: 16
; WaveLimiterHint : 0
; COMPUTE_PGM_RSRC2:SCRATCH_EN: 0
; COMPUTE_PGM_RSRC2:USER_SGPR: 15
; COMPUTE_PGM_RSRC2:TRAP_HANDLER: 0
; COMPUTE_PGM_RSRC2:TGID_X_EN: 1
; COMPUTE_PGM_RSRC2:TGID_Y_EN: 0
; COMPUTE_PGM_RSRC2:TGID_Z_EN: 0
; COMPUTE_PGM_RSRC2:TIDIG_COMP_CNT: 0
	.section	.text._Z27exclusive_scan_array_kernelILj37ELj2ELN6hipcub18BlockScanAlgorithmE0EfEvPT2_S2_,"axG",@progbits,_Z27exclusive_scan_array_kernelILj37ELj2ELN6hipcub18BlockScanAlgorithmE0EfEvPT2_S2_,comdat
	.protected	_Z27exclusive_scan_array_kernelILj37ELj2ELN6hipcub18BlockScanAlgorithmE0EfEvPT2_S2_ ; -- Begin function _Z27exclusive_scan_array_kernelILj37ELj2ELN6hipcub18BlockScanAlgorithmE0EfEvPT2_S2_
	.globl	_Z27exclusive_scan_array_kernelILj37ELj2ELN6hipcub18BlockScanAlgorithmE0EfEvPT2_S2_
	.p2align	8
	.type	_Z27exclusive_scan_array_kernelILj37ELj2ELN6hipcub18BlockScanAlgorithmE0EfEvPT2_S2_,@function
_Z27exclusive_scan_array_kernelILj37ELj2ELN6hipcub18BlockScanAlgorithmE0EfEvPT2_S2_: ; @_Z27exclusive_scan_array_kernelILj37ELj2ELN6hipcub18BlockScanAlgorithmE0EfEvPT2_S2_
; %bb.0:
	s_load_b64 s[2:3], s[0:1], 0x0
	s_mul_i32 s15, s15, 37
	v_mov_b32_e32 v2, 0
	v_add_lshl_u32 v1, s15, v0, 1
	s_delay_alu instid0(VALU_DEP_1) | instskip(SKIP_1) | instid1(VALU_DEP_1)
	v_lshlrev_b64 v[1:2], 2, v[1:2]
	s_waitcnt lgkmcnt(0)
	v_add_co_u32 v1, vcc_lo, s2, v1
	s_delay_alu instid0(VALU_DEP_2)
	v_add_co_ci_u32_e32 v2, vcc_lo, s3, v2, vcc_lo
	s_mov_b32 s2, exec_lo
	global_load_b64 v[3:4], v[1:2], off
	s_waitcnt vmcnt(0)
	v_add_f32_e32 v5, v3, v4
	v_mbcnt_lo_u32_b32 v4, -1, 0
	s_delay_alu instid0(VALU_DEP_2) | instskip(NEXT) | instid1(VALU_DEP_2)
	v_mov_b32_dpp v6, v5 row_shr:1 row_mask:0xf bank_mask:0xf
	v_and_b32_e32 v7, 15, v4
	v_and_b32_e32 v8, 16, v4
	s_delay_alu instid0(VALU_DEP_3) | instskip(NEXT) | instid1(VALU_DEP_3)
	v_add_f32_e32 v6, v5, v6
	v_cmp_eq_u32_e32 vcc_lo, 0, v7
	s_delay_alu instid0(VALU_DEP_2) | instskip(SKIP_1) | instid1(VALU_DEP_2)
	v_cndmask_b32_e32 v5, v6, v5, vcc_lo
	v_cmp_lt_u32_e32 vcc_lo, 1, v7
	v_mov_b32_dpp v6, v5 row_shr:2 row_mask:0xf bank_mask:0xf
	s_delay_alu instid0(VALU_DEP_1) | instskip(NEXT) | instid1(VALU_DEP_1)
	v_add_f32_e32 v6, v5, v6
	v_cndmask_b32_e32 v5, v5, v6, vcc_lo
	v_cmp_lt_u32_e32 vcc_lo, 3, v7
	s_delay_alu instid0(VALU_DEP_2) | instskip(NEXT) | instid1(VALU_DEP_1)
	v_mov_b32_dpp v6, v5 row_shr:4 row_mask:0xf bank_mask:0xf
	v_add_f32_e32 v6, v5, v6
	s_delay_alu instid0(VALU_DEP_1) | instskip(SKIP_2) | instid1(VALU_DEP_1)
	v_cndmask_b32_e32 v5, v5, v6, vcc_lo
	v_cmp_lt_u32_e32 vcc_lo, 7, v7
	v_and_b32_e32 v7, 32, v0
	v_min_u32_e32 v7, 5, v7
	s_delay_alu instid0(VALU_DEP_1) | instskip(SKIP_1) | instid1(VALU_DEP_1)
	v_add_nc_u32_e32 v7, 31, v7
	v_mov_b32_dpp v6, v5 row_shr:8 row_mask:0xf bank_mask:0xf
	v_add_f32_e32 v6, v5, v6
	s_delay_alu instid0(VALU_DEP_1)
	v_cndmask_b32_e32 v5, v5, v6, vcc_lo
	v_cmp_eq_u32_e32 vcc_lo, 0, v8
	ds_swizzle_b32 v6, v5 offset:swizzle(BROADCAST,32,15)
	s_waitcnt lgkmcnt(0)
	v_add_f32_e32 v9, v5, v6
	v_lshrrev_b32_e32 v6, 5, v0
	s_delay_alu instid0(VALU_DEP_2)
	v_cndmask_b32_e32 v5, v9, v5, vcc_lo
	v_cmpx_eq_u32_e64 v7, v0
	s_cbranch_execz .LBB243_2
; %bb.1:
	s_delay_alu instid0(VALU_DEP_3)
	v_lshlrev_b32_e32 v7, 2, v6
	ds_store_b32 v7, v5
.LBB243_2:
	s_or_b32 exec_lo, exec_lo, s2
	s_delay_alu instid0(SALU_CYCLE_1)
	s_mov_b32 s2, exec_lo
	s_waitcnt lgkmcnt(0)
	s_barrier
	buffer_gl0_inv
	v_cmpx_gt_u32_e32 2, v0
	s_cbranch_execz .LBB243_4
; %bb.3:
	v_lshlrev_b32_e32 v7, 2, v0
	ds_load_b32 v8, v7
	s_waitcnt lgkmcnt(0)
	v_mov_b32_dpp v9, v8 row_shr:1 row_mask:0xf bank_mask:0xf
	s_delay_alu instid0(VALU_DEP_1) | instskip(NEXT) | instid1(VALU_DEP_1)
	v_dual_add_f32 v9, v8, v9 :: v_dual_and_b32 v10, 1, v4
	v_cmp_eq_u32_e32 vcc_lo, 0, v10
	s_delay_alu instid0(VALU_DEP_2)
	v_cndmask_b32_e32 v8, v9, v8, vcc_lo
	ds_store_b32 v7, v8
.LBB243_4:
	s_or_b32 exec_lo, exec_lo, s2
	s_load_b32 s0, s[0:1], 0x8
	s_mov_b32 s1, exec_lo
	s_waitcnt lgkmcnt(0)
	s_barrier
	buffer_gl0_inv
	v_mov_b32_e32 v7, s0
	v_cmpx_lt_u32_e32 31, v0
	s_cbranch_execz .LBB243_6
; %bb.5:
	v_lshl_add_u32 v6, v6, 2, -4
	ds_load_b32 v6, v6
	s_waitcnt lgkmcnt(0)
	v_add_f32_e32 v7, s0, v6
.LBB243_6:
	s_or_b32 exec_lo, exec_lo, s1
	s_delay_alu instid0(VALU_DEP_1) | instskip(NEXT) | instid1(VALU_DEP_1)
	v_dual_add_f32 v5, v5, v7 :: v_dual_add_nc_u32 v6, -1, v4
	v_cmp_gt_i32_e32 vcc_lo, 0, v6
	v_cndmask_b32_e32 v6, v6, v4, vcc_lo
	v_cmp_eq_u32_e32 vcc_lo, 0, v4
	s_delay_alu instid0(VALU_DEP_2) | instskip(SKIP_4) | instid1(VALU_DEP_2)
	v_lshlrev_b32_e32 v6, 2, v6
	ds_bpermute_b32 v5, v6, v5
	s_waitcnt lgkmcnt(0)
	v_cndmask_b32_e32 v4, v5, v7, vcc_lo
	v_cmp_eq_u32_e32 vcc_lo, 0, v0
	v_cndmask_b32_e64 v4, v4, s0, vcc_lo
	s_delay_alu instid0(VALU_DEP_1)
	v_add_f32_e32 v5, v3, v4
	global_store_b64 v[1:2], v[4:5], off
	s_nop 0
	s_sendmsg sendmsg(MSG_DEALLOC_VGPRS)
	s_endpgm
	.section	.rodata,"a",@progbits
	.p2align	6, 0x0
	.amdhsa_kernel _Z27exclusive_scan_array_kernelILj37ELj2ELN6hipcub18BlockScanAlgorithmE0EfEvPT2_S2_
		.amdhsa_group_segment_fixed_size 8
		.amdhsa_private_segment_fixed_size 0
		.amdhsa_kernarg_size 12
		.amdhsa_user_sgpr_count 15
		.amdhsa_user_sgpr_dispatch_ptr 0
		.amdhsa_user_sgpr_queue_ptr 0
		.amdhsa_user_sgpr_kernarg_segment_ptr 1
		.amdhsa_user_sgpr_dispatch_id 0
		.amdhsa_user_sgpr_private_segment_size 0
		.amdhsa_wavefront_size32 1
		.amdhsa_uses_dynamic_stack 0
		.amdhsa_enable_private_segment 0
		.amdhsa_system_sgpr_workgroup_id_x 1
		.amdhsa_system_sgpr_workgroup_id_y 0
		.amdhsa_system_sgpr_workgroup_id_z 0
		.amdhsa_system_sgpr_workgroup_info 0
		.amdhsa_system_vgpr_workitem_id 0
		.amdhsa_next_free_vgpr 11
		.amdhsa_next_free_sgpr 16
		.amdhsa_reserve_vcc 1
		.amdhsa_float_round_mode_32 0
		.amdhsa_float_round_mode_16_64 0
		.amdhsa_float_denorm_mode_32 3
		.amdhsa_float_denorm_mode_16_64 3
		.amdhsa_dx10_clamp 1
		.amdhsa_ieee_mode 1
		.amdhsa_fp16_overflow 0
		.amdhsa_workgroup_processor_mode 1
		.amdhsa_memory_ordered 1
		.amdhsa_forward_progress 0
		.amdhsa_shared_vgpr_count 0
		.amdhsa_exception_fp_ieee_invalid_op 0
		.amdhsa_exception_fp_denorm_src 0
		.amdhsa_exception_fp_ieee_div_zero 0
		.amdhsa_exception_fp_ieee_overflow 0
		.amdhsa_exception_fp_ieee_underflow 0
		.amdhsa_exception_fp_ieee_inexact 0
		.amdhsa_exception_int_div_zero 0
	.end_amdhsa_kernel
	.section	.text._Z27exclusive_scan_array_kernelILj37ELj2ELN6hipcub18BlockScanAlgorithmE0EfEvPT2_S2_,"axG",@progbits,_Z27exclusive_scan_array_kernelILj37ELj2ELN6hipcub18BlockScanAlgorithmE0EfEvPT2_S2_,comdat
.Lfunc_end243:
	.size	_Z27exclusive_scan_array_kernelILj37ELj2ELN6hipcub18BlockScanAlgorithmE0EfEvPT2_S2_, .Lfunc_end243-_Z27exclusive_scan_array_kernelILj37ELj2ELN6hipcub18BlockScanAlgorithmE0EfEvPT2_S2_
                                        ; -- End function
	.section	.AMDGPU.csdata,"",@progbits
; Kernel info:
; codeLenInByte = 528
; NumSgprs: 18
; NumVgprs: 11
; ScratchSize: 0
; MemoryBound: 0
; FloatMode: 240
; IeeeMode: 1
; LDSByteSize: 8 bytes/workgroup (compile time only)
; SGPRBlocks: 2
; VGPRBlocks: 1
; NumSGPRsForWavesPerEU: 18
; NumVGPRsForWavesPerEU: 11
; Occupancy: 16
; WaveLimiterHint : 0
; COMPUTE_PGM_RSRC2:SCRATCH_EN: 0
; COMPUTE_PGM_RSRC2:USER_SGPR: 15
; COMPUTE_PGM_RSRC2:TRAP_HANDLER: 0
; COMPUTE_PGM_RSRC2:TGID_X_EN: 1
; COMPUTE_PGM_RSRC2:TGID_Y_EN: 0
; COMPUTE_PGM_RSRC2:TGID_Z_EN: 0
; COMPUTE_PGM_RSRC2:TIDIG_COMP_CNT: 0
	.section	.text._Z27exclusive_scan_array_kernelILj512ELj4ELN6hipcub18BlockScanAlgorithmE0EiEvPT2_S2_,"axG",@progbits,_Z27exclusive_scan_array_kernelILj512ELj4ELN6hipcub18BlockScanAlgorithmE0EiEvPT2_S2_,comdat
	.protected	_Z27exclusive_scan_array_kernelILj512ELj4ELN6hipcub18BlockScanAlgorithmE0EiEvPT2_S2_ ; -- Begin function _Z27exclusive_scan_array_kernelILj512ELj4ELN6hipcub18BlockScanAlgorithmE0EiEvPT2_S2_
	.globl	_Z27exclusive_scan_array_kernelILj512ELj4ELN6hipcub18BlockScanAlgorithmE0EiEvPT2_S2_
	.p2align	8
	.type	_Z27exclusive_scan_array_kernelILj512ELj4ELN6hipcub18BlockScanAlgorithmE0EiEvPT2_S2_,@function
_Z27exclusive_scan_array_kernelILj512ELj4ELN6hipcub18BlockScanAlgorithmE0EiEvPT2_S2_: ; @_Z27exclusive_scan_array_kernelILj512ELj4ELN6hipcub18BlockScanAlgorithmE0EiEvPT2_S2_
; %bb.0:
	s_load_b64 s[2:3], s[0:1], 0x0
	v_lshlrev_b32_e32 v8, 2, v0
	v_mbcnt_lo_u32_b32 v7, -1, 0
	v_mov_b32_e32 v2, 0
	v_or_b32_e32 v11, 31, v0
	s_mov_b32 s6, exec_lo
	v_lshl_or_b32 v1, s15, 11, v8
	s_delay_alu instid0(VALU_DEP_1) | instskip(SKIP_1) | instid1(VALU_DEP_1)
	v_lshlrev_b64 v[1:2], 2, v[1:2]
	s_waitcnt lgkmcnt(0)
	v_add_co_u32 v5, vcc_lo, s2, v1
	s_delay_alu instid0(VALU_DEP_2) | instskip(SKIP_3) | instid1(VALU_DEP_1)
	v_add_co_ci_u32_e32 v6, vcc_lo, s3, v2, vcc_lo
	global_load_b128 v[1:4], v[5:6], off
	s_waitcnt vmcnt(0)
	v_add_nc_u32_e32 v9, v2, v1
	v_add3_u32 v4, v9, v3, v4
	v_and_b32_e32 v9, 15, v7
	s_delay_alu instid0(VALU_DEP_2) | instskip(NEXT) | instid1(VALU_DEP_2)
	v_mov_b32_dpp v10, v4 row_shr:1 row_mask:0xf bank_mask:0xf
	v_cmp_eq_u32_e32 vcc_lo, 0, v9
	v_cmp_lt_u32_e64 s2, 1, v9
	v_cmp_lt_u32_e64 s3, 3, v9
	;; [unrolled: 1-line block ×3, first 2 shown]
	v_cndmask_b32_e64 v10, v10, 0, vcc_lo
	s_delay_alu instid0(VALU_DEP_1) | instskip(NEXT) | instid1(VALU_DEP_1)
	v_add_nc_u32_e32 v4, v10, v4
	v_mov_b32_dpp v10, v4 row_shr:2 row_mask:0xf bank_mask:0xf
	s_delay_alu instid0(VALU_DEP_1) | instskip(NEXT) | instid1(VALU_DEP_1)
	v_cndmask_b32_e64 v10, 0, v10, s2
	v_add_nc_u32_e32 v4, v4, v10
	s_delay_alu instid0(VALU_DEP_1) | instskip(NEXT) | instid1(VALU_DEP_1)
	v_mov_b32_dpp v10, v4 row_shr:4 row_mask:0xf bank_mask:0xf
	v_cndmask_b32_e64 v10, 0, v10, s3
	s_delay_alu instid0(VALU_DEP_1) | instskip(NEXT) | instid1(VALU_DEP_1)
	v_add_nc_u32_e32 v4, v4, v10
	v_mov_b32_dpp v10, v4 row_shr:8 row_mask:0xf bank_mask:0xf
	s_delay_alu instid0(VALU_DEP_1) | instskip(SKIP_1) | instid1(VALU_DEP_2)
	v_cndmask_b32_e64 v9, 0, v10, s4
	v_bfe_i32 v10, v7, 4, 1
	v_add_nc_u32_e32 v4, v4, v9
	ds_swizzle_b32 v9, v4 offset:swizzle(BROADCAST,32,15)
	s_waitcnt lgkmcnt(0)
	v_and_b32_e32 v10, v10, v9
	v_lshrrev_b32_e32 v9, 5, v0
	s_delay_alu instid0(VALU_DEP_2)
	v_add_nc_u32_e32 v4, v4, v10
	v_cmpx_eq_u32_e64 v11, v0
	s_cbranch_execz .LBB244_2
; %bb.1:
	s_delay_alu instid0(VALU_DEP_3)
	v_lshlrev_b32_e32 v10, 2, v9
	ds_store_b32 v10, v4
.LBB244_2:
	s_or_b32 exec_lo, exec_lo, s6
	s_delay_alu instid0(SALU_CYCLE_1)
	s_mov_b32 s6, exec_lo
	s_waitcnt lgkmcnt(0)
	s_barrier
	buffer_gl0_inv
	v_cmpx_gt_u32_e32 16, v0
	s_cbranch_execz .LBB244_4
; %bb.3:
	ds_load_b32 v10, v8
	s_waitcnt lgkmcnt(0)
	v_mov_b32_dpp v11, v10 row_shr:1 row_mask:0xf bank_mask:0xf
	s_delay_alu instid0(VALU_DEP_1) | instskip(NEXT) | instid1(VALU_DEP_1)
	v_cndmask_b32_e64 v11, v11, 0, vcc_lo
	v_add_nc_u32_e32 v10, v11, v10
	s_delay_alu instid0(VALU_DEP_1) | instskip(NEXT) | instid1(VALU_DEP_1)
	v_mov_b32_dpp v11, v10 row_shr:2 row_mask:0xf bank_mask:0xf
	v_cndmask_b32_e64 v11, 0, v11, s2
	s_delay_alu instid0(VALU_DEP_1) | instskip(NEXT) | instid1(VALU_DEP_1)
	v_add_nc_u32_e32 v10, v10, v11
	v_mov_b32_dpp v11, v10 row_shr:4 row_mask:0xf bank_mask:0xf
	s_delay_alu instid0(VALU_DEP_1) | instskip(NEXT) | instid1(VALU_DEP_1)
	v_cndmask_b32_e64 v11, 0, v11, s3
	v_add_nc_u32_e32 v10, v10, v11
	s_delay_alu instid0(VALU_DEP_1) | instskip(NEXT) | instid1(VALU_DEP_1)
	v_mov_b32_dpp v11, v10 row_shr:8 row_mask:0xf bank_mask:0xf
	v_cndmask_b32_e64 v11, 0, v11, s4
	s_delay_alu instid0(VALU_DEP_1)
	v_add_nc_u32_e32 v10, v10, v11
	ds_store_b32 v8, v10
.LBB244_4:
	s_or_b32 exec_lo, exec_lo, s6
	s_load_b32 s0, s[0:1], 0x8
	s_mov_b32 s1, exec_lo
	s_waitcnt lgkmcnt(0)
	s_barrier
	buffer_gl0_inv
	v_mov_b32_e32 v8, s0
	v_cmpx_lt_u32_e32 31, v0
	s_cbranch_execz .LBB244_6
; %bb.5:
	v_lshl_add_u32 v8, v9, 2, -4
	ds_load_b32 v8, v8
	s_waitcnt lgkmcnt(0)
	v_add_nc_u32_e32 v8, s0, v8
.LBB244_6:
	s_or_b32 exec_lo, exec_lo, s1
	v_add_nc_u32_e32 v9, -1, v7
	s_delay_alu instid0(VALU_DEP_2) | instskip(NEXT) | instid1(VALU_DEP_2)
	v_add_nc_u32_e32 v4, v8, v4
	v_cmp_gt_i32_e32 vcc_lo, 0, v9
	v_cndmask_b32_e32 v9, v9, v7, vcc_lo
	v_cmp_eq_u32_e32 vcc_lo, 0, v7
	s_delay_alu instid0(VALU_DEP_2) | instskip(SKIP_4) | instid1(VALU_DEP_2)
	v_lshlrev_b32_e32 v9, 2, v9
	ds_bpermute_b32 v4, v9, v4
	s_waitcnt lgkmcnt(0)
	v_cndmask_b32_e32 v4, v4, v8, vcc_lo
	v_cmp_eq_u32_e32 vcc_lo, 0, v0
	v_cndmask_b32_e64 v0, v4, s0, vcc_lo
	s_delay_alu instid0(VALU_DEP_1) | instskip(NEXT) | instid1(VALU_DEP_1)
	v_add_nc_u32_e32 v1, v0, v1
	v_add_nc_u32_e32 v2, v1, v2
	s_delay_alu instid0(VALU_DEP_1)
	v_add_nc_u32_e32 v3, v2, v3
	global_store_b128 v[5:6], v[0:3], off
	s_nop 0
	s_sendmsg sendmsg(MSG_DEALLOC_VGPRS)
	s_endpgm
	.section	.rodata,"a",@progbits
	.p2align	6, 0x0
	.amdhsa_kernel _Z27exclusive_scan_array_kernelILj512ELj4ELN6hipcub18BlockScanAlgorithmE0EiEvPT2_S2_
		.amdhsa_group_segment_fixed_size 64
		.amdhsa_private_segment_fixed_size 0
		.amdhsa_kernarg_size 12
		.amdhsa_user_sgpr_count 15
		.amdhsa_user_sgpr_dispatch_ptr 0
		.amdhsa_user_sgpr_queue_ptr 0
		.amdhsa_user_sgpr_kernarg_segment_ptr 1
		.amdhsa_user_sgpr_dispatch_id 0
		.amdhsa_user_sgpr_private_segment_size 0
		.amdhsa_wavefront_size32 1
		.amdhsa_uses_dynamic_stack 0
		.amdhsa_enable_private_segment 0
		.amdhsa_system_sgpr_workgroup_id_x 1
		.amdhsa_system_sgpr_workgroup_id_y 0
		.amdhsa_system_sgpr_workgroup_id_z 0
		.amdhsa_system_sgpr_workgroup_info 0
		.amdhsa_system_vgpr_workitem_id 0
		.amdhsa_next_free_vgpr 12
		.amdhsa_next_free_sgpr 16
		.amdhsa_reserve_vcc 1
		.amdhsa_float_round_mode_32 0
		.amdhsa_float_round_mode_16_64 0
		.amdhsa_float_denorm_mode_32 3
		.amdhsa_float_denorm_mode_16_64 3
		.amdhsa_dx10_clamp 1
		.amdhsa_ieee_mode 1
		.amdhsa_fp16_overflow 0
		.amdhsa_workgroup_processor_mode 1
		.amdhsa_memory_ordered 1
		.amdhsa_forward_progress 0
		.amdhsa_shared_vgpr_count 0
		.amdhsa_exception_fp_ieee_invalid_op 0
		.amdhsa_exception_fp_denorm_src 0
		.amdhsa_exception_fp_ieee_div_zero 0
		.amdhsa_exception_fp_ieee_overflow 0
		.amdhsa_exception_fp_ieee_underflow 0
		.amdhsa_exception_fp_ieee_inexact 0
		.amdhsa_exception_int_div_zero 0
	.end_amdhsa_kernel
	.section	.text._Z27exclusive_scan_array_kernelILj512ELj4ELN6hipcub18BlockScanAlgorithmE0EiEvPT2_S2_,"axG",@progbits,_Z27exclusive_scan_array_kernelILj512ELj4ELN6hipcub18BlockScanAlgorithmE0EiEvPT2_S2_,comdat
.Lfunc_end244:
	.size	_Z27exclusive_scan_array_kernelILj512ELj4ELN6hipcub18BlockScanAlgorithmE0EiEvPT2_S2_, .Lfunc_end244-_Z27exclusive_scan_array_kernelILj512ELj4ELN6hipcub18BlockScanAlgorithmE0EiEvPT2_S2_
                                        ; -- End function
	.section	.AMDGPU.csdata,"",@progbits
; Kernel info:
; codeLenInByte = 628
; NumSgprs: 18
; NumVgprs: 12
; ScratchSize: 0
; MemoryBound: 0
; FloatMode: 240
; IeeeMode: 1
; LDSByteSize: 64 bytes/workgroup (compile time only)
; SGPRBlocks: 2
; VGPRBlocks: 1
; NumSGPRsForWavesPerEU: 18
; NumVGPRsForWavesPerEU: 12
; Occupancy: 16
; WaveLimiterHint : 0
; COMPUTE_PGM_RSRC2:SCRATCH_EN: 0
; COMPUTE_PGM_RSRC2:USER_SGPR: 15
; COMPUTE_PGM_RSRC2:TRAP_HANDLER: 0
; COMPUTE_PGM_RSRC2:TGID_X_EN: 1
; COMPUTE_PGM_RSRC2:TGID_Y_EN: 0
; COMPUTE_PGM_RSRC2:TGID_Z_EN: 0
; COMPUTE_PGM_RSRC2:TIDIG_COMP_CNT: 0
	.section	.text._Z27exclusive_scan_array_kernelILj256ELj3ELN6hipcub18BlockScanAlgorithmE0EjEvPT2_S2_,"axG",@progbits,_Z27exclusive_scan_array_kernelILj256ELj3ELN6hipcub18BlockScanAlgorithmE0EjEvPT2_S2_,comdat
	.protected	_Z27exclusive_scan_array_kernelILj256ELj3ELN6hipcub18BlockScanAlgorithmE0EjEvPT2_S2_ ; -- Begin function _Z27exclusive_scan_array_kernelILj256ELj3ELN6hipcub18BlockScanAlgorithmE0EjEvPT2_S2_
	.globl	_Z27exclusive_scan_array_kernelILj256ELj3ELN6hipcub18BlockScanAlgorithmE0EjEvPT2_S2_
	.p2align	8
	.type	_Z27exclusive_scan_array_kernelILj256ELj3ELN6hipcub18BlockScanAlgorithmE0EjEvPT2_S2_,@function
_Z27exclusive_scan_array_kernelILj256ELj3ELN6hipcub18BlockScanAlgorithmE0EjEvPT2_S2_: ; @_Z27exclusive_scan_array_kernelILj256ELj3ELN6hipcub18BlockScanAlgorithmE0EjEvPT2_S2_
; %bb.0:
	s_load_b64 s[2:3], s[0:1], 0x0
	v_lshl_or_b32 v1, s15, 8, v0
	v_mbcnt_lo_u32_b32 v9, -1, 0
	v_or_b32_e32 v13, 31, v0
	s_delay_alu instid0(VALU_DEP_3) | instskip(NEXT) | instid1(VALU_DEP_1)
	v_lshl_add_u32 v1, v1, 1, v1
	v_dual_mov_b32 v2, 0 :: v_dual_add_nc_u32 v3, 1, v1
	s_delay_alu instid0(VALU_DEP_1) | instskip(SKIP_2) | instid1(VALU_DEP_3)
	v_mov_b32_e32 v4, v2
	v_lshlrev_b64 v[5:6], 2, v[1:2]
	v_add_nc_u32_e32 v1, 2, v1
	v_lshlrev_b64 v[3:4], 2, v[3:4]
	s_delay_alu instid0(VALU_DEP_2) | instskip(SKIP_1) | instid1(VALU_DEP_4)
	v_lshlrev_b64 v[7:8], 2, v[1:2]
	s_waitcnt lgkmcnt(0)
	v_add_co_u32 v1, vcc_lo, s2, v5
	v_add_co_ci_u32_e32 v2, vcc_lo, s3, v6, vcc_lo
	s_delay_alu instid0(VALU_DEP_4)
	v_add_co_u32 v3, vcc_lo, s2, v3
	v_add_co_ci_u32_e32 v4, vcc_lo, s3, v4, vcc_lo
	v_add_co_u32 v5, vcc_lo, s2, v7
	v_add_co_ci_u32_e32 v6, vcc_lo, s3, v8, vcc_lo
	s_clause 0x2
	global_load_b32 v7, v[1:2], off
	global_load_b32 v8, v[3:4], off
	;; [unrolled: 1-line block ×3, first 2 shown]
	s_mov_b32 s2, exec_lo
	s_waitcnt vmcnt(0)
	v_add3_u32 v10, v8, v7, v10
	s_delay_alu instid0(VALU_DEP_1) | instskip(SKIP_1) | instid1(VALU_DEP_1)
	v_mov_b32_dpp v12, v10 row_shr:1 row_mask:0xf bank_mask:0xf
	v_and_b32_e32 v11, 15, v9
	v_cmp_ne_u32_e32 vcc_lo, 0, v11
	s_delay_alu instid0(VALU_DEP_3) | instskip(SKIP_1) | instid1(VALU_DEP_2)
	v_cndmask_b32_e32 v12, 0, v12, vcc_lo
	v_cmp_lt_u32_e32 vcc_lo, 1, v11
	v_add_nc_u32_e32 v10, v12, v10
	s_delay_alu instid0(VALU_DEP_1) | instskip(NEXT) | instid1(VALU_DEP_1)
	v_mov_b32_dpp v12, v10 row_shr:2 row_mask:0xf bank_mask:0xf
	v_cndmask_b32_e32 v12, 0, v12, vcc_lo
	v_cmp_lt_u32_e32 vcc_lo, 3, v11
	s_delay_alu instid0(VALU_DEP_2) | instskip(NEXT) | instid1(VALU_DEP_1)
	v_add_nc_u32_e32 v10, v10, v12
	v_mov_b32_dpp v12, v10 row_shr:4 row_mask:0xf bank_mask:0xf
	s_delay_alu instid0(VALU_DEP_1) | instskip(SKIP_1) | instid1(VALU_DEP_2)
	v_cndmask_b32_e32 v12, 0, v12, vcc_lo
	v_cmp_lt_u32_e32 vcc_lo, 7, v11
	v_add_nc_u32_e32 v10, v10, v12
	s_delay_alu instid0(VALU_DEP_1) | instskip(NEXT) | instid1(VALU_DEP_1)
	v_mov_b32_dpp v12, v10 row_shr:8 row_mask:0xf bank_mask:0xf
	v_cndmask_b32_e32 v11, 0, v12, vcc_lo
	v_bfe_i32 v12, v9, 4, 1
	s_delay_alu instid0(VALU_DEP_2) | instskip(SKIP_4) | instid1(VALU_DEP_2)
	v_add_nc_u32_e32 v10, v10, v11
	ds_swizzle_b32 v11, v10 offset:swizzle(BROADCAST,32,15)
	s_waitcnt lgkmcnt(0)
	v_and_b32_e32 v12, v12, v11
	v_lshrrev_b32_e32 v11, 5, v0
	v_add_nc_u32_e32 v10, v10, v12
	v_cmpx_eq_u32_e64 v13, v0
	s_cbranch_execz .LBB245_2
; %bb.1:
	s_delay_alu instid0(VALU_DEP_3)
	v_lshlrev_b32_e32 v12, 2, v11
	ds_store_b32 v12, v10
.LBB245_2:
	s_or_b32 exec_lo, exec_lo, s2
	s_delay_alu instid0(SALU_CYCLE_1)
	s_mov_b32 s2, exec_lo
	s_waitcnt lgkmcnt(0)
	s_barrier
	buffer_gl0_inv
	v_cmpx_gt_u32_e32 8, v0
	s_cbranch_execz .LBB245_4
; %bb.3:
	v_and_b32_e32 v14, 7, v9
	s_delay_alu instid0(VALU_DEP_1) | instskip(SKIP_4) | instid1(VALU_DEP_1)
	v_cmp_ne_u32_e32 vcc_lo, 0, v14
	v_lshlrev_b32_e32 v12, 2, v0
	ds_load_b32 v13, v12
	s_waitcnt lgkmcnt(0)
	v_mov_b32_dpp v15, v13 row_shr:1 row_mask:0xf bank_mask:0xf
	v_cndmask_b32_e32 v15, 0, v15, vcc_lo
	v_cmp_lt_u32_e32 vcc_lo, 1, v14
	s_delay_alu instid0(VALU_DEP_2) | instskip(NEXT) | instid1(VALU_DEP_1)
	v_add_nc_u32_e32 v13, v15, v13
	v_mov_b32_dpp v15, v13 row_shr:2 row_mask:0xf bank_mask:0xf
	s_delay_alu instid0(VALU_DEP_1) | instskip(SKIP_1) | instid1(VALU_DEP_2)
	v_cndmask_b32_e32 v15, 0, v15, vcc_lo
	v_cmp_lt_u32_e32 vcc_lo, 3, v14
	v_add_nc_u32_e32 v13, v13, v15
	s_delay_alu instid0(VALU_DEP_1) | instskip(NEXT) | instid1(VALU_DEP_1)
	v_mov_b32_dpp v15, v13 row_shr:4 row_mask:0xf bank_mask:0xf
	v_cndmask_b32_e32 v14, 0, v15, vcc_lo
	s_delay_alu instid0(VALU_DEP_1)
	v_add_nc_u32_e32 v13, v13, v14
	ds_store_b32 v12, v13
.LBB245_4:
	s_or_b32 exec_lo, exec_lo, s2
	s_load_b32 s0, s[0:1], 0x8
	s_mov_b32 s1, exec_lo
	s_waitcnt lgkmcnt(0)
	s_barrier
	buffer_gl0_inv
	v_mov_b32_e32 v12, s0
	v_cmpx_lt_u32_e32 31, v0
	s_cbranch_execz .LBB245_6
; %bb.5:
	v_lshl_add_u32 v11, v11, 2, -4
	ds_load_b32 v11, v11
	s_waitcnt lgkmcnt(0)
	v_add_nc_u32_e32 v12, s0, v11
.LBB245_6:
	s_or_b32 exec_lo, exec_lo, s1
	v_add_nc_u32_e32 v11, -1, v9
	s_delay_alu instid0(VALU_DEP_2) | instskip(NEXT) | instid1(VALU_DEP_2)
	v_add_nc_u32_e32 v10, v12, v10
	v_cmp_gt_i32_e32 vcc_lo, 0, v11
	v_cndmask_b32_e32 v11, v11, v9, vcc_lo
	v_cmp_eq_u32_e32 vcc_lo, 0, v9
	s_delay_alu instid0(VALU_DEP_2) | instskip(SKIP_4) | instid1(VALU_DEP_2)
	v_lshlrev_b32_e32 v11, 2, v11
	ds_bpermute_b32 v10, v11, v10
	s_waitcnt lgkmcnt(0)
	v_cndmask_b32_e32 v9, v10, v12, vcc_lo
	v_cmp_eq_u32_e32 vcc_lo, 0, v0
	v_cndmask_b32_e64 v0, v9, s0, vcc_lo
	s_delay_alu instid0(VALU_DEP_1) | instskip(NEXT) | instid1(VALU_DEP_1)
	v_add_nc_u32_e32 v7, v0, v7
	v_add_nc_u32_e32 v8, v7, v8
	s_clause 0x2
	global_store_b32 v[1:2], v0, off
	global_store_b32 v[3:4], v7, off
	;; [unrolled: 1-line block ×3, first 2 shown]
	s_nop 0
	s_sendmsg sendmsg(MSG_DEALLOC_VGPRS)
	s_endpgm
	.section	.rodata,"a",@progbits
	.p2align	6, 0x0
	.amdhsa_kernel _Z27exclusive_scan_array_kernelILj256ELj3ELN6hipcub18BlockScanAlgorithmE0EjEvPT2_S2_
		.amdhsa_group_segment_fixed_size 32
		.amdhsa_private_segment_fixed_size 0
		.amdhsa_kernarg_size 12
		.amdhsa_user_sgpr_count 15
		.amdhsa_user_sgpr_dispatch_ptr 0
		.amdhsa_user_sgpr_queue_ptr 0
		.amdhsa_user_sgpr_kernarg_segment_ptr 1
		.amdhsa_user_sgpr_dispatch_id 0
		.amdhsa_user_sgpr_private_segment_size 0
		.amdhsa_wavefront_size32 1
		.amdhsa_uses_dynamic_stack 0
		.amdhsa_enable_private_segment 0
		.amdhsa_system_sgpr_workgroup_id_x 1
		.amdhsa_system_sgpr_workgroup_id_y 0
		.amdhsa_system_sgpr_workgroup_id_z 0
		.amdhsa_system_sgpr_workgroup_info 0
		.amdhsa_system_vgpr_workitem_id 0
		.amdhsa_next_free_vgpr 16
		.amdhsa_next_free_sgpr 16
		.amdhsa_reserve_vcc 1
		.amdhsa_float_round_mode_32 0
		.amdhsa_float_round_mode_16_64 0
		.amdhsa_float_denorm_mode_32 3
		.amdhsa_float_denorm_mode_16_64 3
		.amdhsa_dx10_clamp 1
		.amdhsa_ieee_mode 1
		.amdhsa_fp16_overflow 0
		.amdhsa_workgroup_processor_mode 1
		.amdhsa_memory_ordered 1
		.amdhsa_forward_progress 0
		.amdhsa_shared_vgpr_count 0
		.amdhsa_exception_fp_ieee_invalid_op 0
		.amdhsa_exception_fp_denorm_src 0
		.amdhsa_exception_fp_ieee_div_zero 0
		.amdhsa_exception_fp_ieee_overflow 0
		.amdhsa_exception_fp_ieee_underflow 0
		.amdhsa_exception_fp_ieee_inexact 0
		.amdhsa_exception_int_div_zero 0
	.end_amdhsa_kernel
	.section	.text._Z27exclusive_scan_array_kernelILj256ELj3ELN6hipcub18BlockScanAlgorithmE0EjEvPT2_S2_,"axG",@progbits,_Z27exclusive_scan_array_kernelILj256ELj3ELN6hipcub18BlockScanAlgorithmE0EjEvPT2_S2_,comdat
.Lfunc_end245:
	.size	_Z27exclusive_scan_array_kernelILj256ELj3ELN6hipcub18BlockScanAlgorithmE0EjEvPT2_S2_, .Lfunc_end245-_Z27exclusive_scan_array_kernelILj256ELj3ELN6hipcub18BlockScanAlgorithmE0EjEvPT2_S2_
                                        ; -- End function
	.section	.AMDGPU.csdata,"",@progbits
; Kernel info:
; codeLenInByte = 676
; NumSgprs: 18
; NumVgprs: 16
; ScratchSize: 0
; MemoryBound: 0
; FloatMode: 240
; IeeeMode: 1
; LDSByteSize: 32 bytes/workgroup (compile time only)
; SGPRBlocks: 2
; VGPRBlocks: 1
; NumSGPRsForWavesPerEU: 18
; NumVGPRsForWavesPerEU: 16
; Occupancy: 16
; WaveLimiterHint : 0
; COMPUTE_PGM_RSRC2:SCRATCH_EN: 0
; COMPUTE_PGM_RSRC2:USER_SGPR: 15
; COMPUTE_PGM_RSRC2:TRAP_HANDLER: 0
; COMPUTE_PGM_RSRC2:TGID_X_EN: 1
; COMPUTE_PGM_RSRC2:TGID_Y_EN: 0
; COMPUTE_PGM_RSRC2:TGID_Z_EN: 0
; COMPUTE_PGM_RSRC2:TIDIG_COMP_CNT: 0
	.section	.text._Z27exclusive_scan_array_kernelILj32ELj2ELN6hipcub18BlockScanAlgorithmE0EfEvPT2_S2_,"axG",@progbits,_Z27exclusive_scan_array_kernelILj32ELj2ELN6hipcub18BlockScanAlgorithmE0EfEvPT2_S2_,comdat
	.protected	_Z27exclusive_scan_array_kernelILj32ELj2ELN6hipcub18BlockScanAlgorithmE0EfEvPT2_S2_ ; -- Begin function _Z27exclusive_scan_array_kernelILj32ELj2ELN6hipcub18BlockScanAlgorithmE0EfEvPT2_S2_
	.globl	_Z27exclusive_scan_array_kernelILj32ELj2ELN6hipcub18BlockScanAlgorithmE0EfEvPT2_S2_
	.p2align	8
	.type	_Z27exclusive_scan_array_kernelILj32ELj2ELN6hipcub18BlockScanAlgorithmE0EfEvPT2_S2_,@function
_Z27exclusive_scan_array_kernelILj32ELj2ELN6hipcub18BlockScanAlgorithmE0EfEvPT2_S2_: ; @_Z27exclusive_scan_array_kernelILj32ELj2ELN6hipcub18BlockScanAlgorithmE0EfEvPT2_S2_
; %bb.0:
	s_load_b64 s[2:3], s[0:1], 0x0
	v_lshlrev_b32_e32 v1, 1, v0
	v_mov_b32_e32 v5, 0
	s_delay_alu instid0(VALU_DEP_2) | instskip(NEXT) | instid1(VALU_DEP_1)
	v_lshl_or_b32 v4, s15, 6, v1
	v_lshlrev_b64 v[1:2], 2, v[4:5]
	s_waitcnt lgkmcnt(0)
	s_delay_alu instid0(VALU_DEP_1) | instskip(NEXT) | instid1(VALU_DEP_2)
	v_add_co_u32 v1, vcc_lo, s2, v1
	v_add_co_ci_u32_e32 v2, vcc_lo, s3, v2, vcc_lo
	s_mov_b32 s2, exec_lo
	global_load_b64 v[3:4], v[1:2], off
	s_waitcnt vmcnt(0)
	v_add_f32_e32 v6, v3, v4
	v_mbcnt_lo_u32_b32 v4, -1, 0
	s_delay_alu instid0(VALU_DEP_2) | instskip(NEXT) | instid1(VALU_DEP_1)
	v_mov_b32_dpp v7, v6 row_shr:1 row_mask:0xf bank_mask:0xf
	v_dual_add_f32 v7, v6, v7 :: v_dual_and_b32 v8, 15, v4
	s_delay_alu instid0(VALU_DEP_1) | instskip(NEXT) | instid1(VALU_DEP_2)
	v_cmp_eq_u32_e32 vcc_lo, 0, v8
	v_cndmask_b32_e32 v6, v7, v6, vcc_lo
	v_cmp_lt_u32_e32 vcc_lo, 1, v8
	s_delay_alu instid0(VALU_DEP_2) | instskip(NEXT) | instid1(VALU_DEP_1)
	v_mov_b32_dpp v7, v6 row_shr:2 row_mask:0xf bank_mask:0xf
	v_add_f32_e32 v7, v6, v7
	s_delay_alu instid0(VALU_DEP_1) | instskip(SKIP_1) | instid1(VALU_DEP_2)
	v_cndmask_b32_e32 v6, v6, v7, vcc_lo
	v_cmp_lt_u32_e32 vcc_lo, 3, v8
	v_mov_b32_dpp v7, v6 row_shr:4 row_mask:0xf bank_mask:0xf
	s_delay_alu instid0(VALU_DEP_1) | instskip(NEXT) | instid1(VALU_DEP_1)
	v_add_f32_e32 v7, v6, v7
	v_cndmask_b32_e32 v6, v6, v7, vcc_lo
	v_cmp_lt_u32_e32 vcc_lo, 7, v8
	v_and_b32_e32 v8, 16, v4
	s_delay_alu instid0(VALU_DEP_3) | instskip(NEXT) | instid1(VALU_DEP_1)
	v_mov_b32_dpp v7, v6 row_shr:8 row_mask:0xf bank_mask:0xf
	v_add_f32_e32 v7, v6, v7
	s_delay_alu instid0(VALU_DEP_1) | instskip(NEXT) | instid1(VALU_DEP_4)
	v_cndmask_b32_e32 v6, v6, v7, vcc_lo
	v_cmp_eq_u32_e32 vcc_lo, 0, v8
	ds_swizzle_b32 v7, v6 offset:swizzle(BROADCAST,32,15)
	s_waitcnt lgkmcnt(0)
	v_add_f32_e32 v7, v6, v7
	s_delay_alu instid0(VALU_DEP_1)
	v_cndmask_b32_e32 v6, v7, v6, vcc_lo
	v_cmpx_eq_u32_e32 31, v0
	s_cbranch_execz .LBB246_2
; %bb.1:
	ds_store_b32 v5, v6
.LBB246_2:
	s_or_b32 exec_lo, exec_lo, s2
	s_load_b32 s1, s[0:1], 0x8
	v_add_nc_u32_e32 v5, -1, v4
	v_cmp_eq_u32_e64 s0, 0, v0
	s_waitcnt vmcnt(0) lgkmcnt(0)
	s_waitcnt_vscnt null, 0x0
	; wave barrier
	s_waitcnt lgkmcnt(0)
	buffer_gl0_inv
	v_add_f32_e32 v6, s1, v6
	v_cmp_gt_i32_e32 vcc_lo, 0, v5
	v_cndmask_b32_e32 v5, v5, v4, vcc_lo
	v_cmp_eq_u32_e32 vcc_lo, 0, v4
	s_delay_alu instid0(VALU_DEP_2) | instskip(SKIP_4) | instid1(VALU_DEP_1)
	v_lshlrev_b32_e32 v5, 2, v5
	s_or_b32 s0, s0, vcc_lo
	ds_bpermute_b32 v5, v5, v6
	s_waitcnt lgkmcnt(0)
	v_cndmask_b32_e64 v4, v5, s1, s0
	v_add_f32_e32 v5, v3, v4
	global_store_b64 v[1:2], v[4:5], off
	s_nop 0
	s_sendmsg sendmsg(MSG_DEALLOC_VGPRS)
	s_endpgm
	.section	.rodata,"a",@progbits
	.p2align	6, 0x0
	.amdhsa_kernel _Z27exclusive_scan_array_kernelILj32ELj2ELN6hipcub18BlockScanAlgorithmE0EfEvPT2_S2_
		.amdhsa_group_segment_fixed_size 4
		.amdhsa_private_segment_fixed_size 0
		.amdhsa_kernarg_size 12
		.amdhsa_user_sgpr_count 15
		.amdhsa_user_sgpr_dispatch_ptr 0
		.amdhsa_user_sgpr_queue_ptr 0
		.amdhsa_user_sgpr_kernarg_segment_ptr 1
		.amdhsa_user_sgpr_dispatch_id 0
		.amdhsa_user_sgpr_private_segment_size 0
		.amdhsa_wavefront_size32 1
		.amdhsa_uses_dynamic_stack 0
		.amdhsa_enable_private_segment 0
		.amdhsa_system_sgpr_workgroup_id_x 1
		.amdhsa_system_sgpr_workgroup_id_y 0
		.amdhsa_system_sgpr_workgroup_id_z 0
		.amdhsa_system_sgpr_workgroup_info 0
		.amdhsa_system_vgpr_workitem_id 0
		.amdhsa_next_free_vgpr 9
		.amdhsa_next_free_sgpr 16
		.amdhsa_reserve_vcc 1
		.amdhsa_float_round_mode_32 0
		.amdhsa_float_round_mode_16_64 0
		.amdhsa_float_denorm_mode_32 3
		.amdhsa_float_denorm_mode_16_64 3
		.amdhsa_dx10_clamp 1
		.amdhsa_ieee_mode 1
		.amdhsa_fp16_overflow 0
		.amdhsa_workgroup_processor_mode 1
		.amdhsa_memory_ordered 1
		.amdhsa_forward_progress 0
		.amdhsa_shared_vgpr_count 0
		.amdhsa_exception_fp_ieee_invalid_op 0
		.amdhsa_exception_fp_denorm_src 0
		.amdhsa_exception_fp_ieee_div_zero 0
		.amdhsa_exception_fp_ieee_overflow 0
		.amdhsa_exception_fp_ieee_underflow 0
		.amdhsa_exception_fp_ieee_inexact 0
		.amdhsa_exception_int_div_zero 0
	.end_amdhsa_kernel
	.section	.text._Z27exclusive_scan_array_kernelILj32ELj2ELN6hipcub18BlockScanAlgorithmE0EfEvPT2_S2_,"axG",@progbits,_Z27exclusive_scan_array_kernelILj32ELj2ELN6hipcub18BlockScanAlgorithmE0EfEvPT2_S2_,comdat
.Lfunc_end246:
	.size	_Z27exclusive_scan_array_kernelILj32ELj2ELN6hipcub18BlockScanAlgorithmE0EfEvPT2_S2_, .Lfunc_end246-_Z27exclusive_scan_array_kernelILj32ELj2ELN6hipcub18BlockScanAlgorithmE0EfEvPT2_S2_
                                        ; -- End function
	.section	.AMDGPU.csdata,"",@progbits
; Kernel info:
; codeLenInByte = 360
; NumSgprs: 18
; NumVgprs: 9
; ScratchSize: 0
; MemoryBound: 0
; FloatMode: 240
; IeeeMode: 1
; LDSByteSize: 4 bytes/workgroup (compile time only)
; SGPRBlocks: 2
; VGPRBlocks: 1
; NumSGPRsForWavesPerEU: 18
; NumVGPRsForWavesPerEU: 9
; Occupancy: 16
; WaveLimiterHint : 0
; COMPUTE_PGM_RSRC2:SCRATCH_EN: 0
; COMPUTE_PGM_RSRC2:USER_SGPR: 15
; COMPUTE_PGM_RSRC2:TRAP_HANDLER: 0
; COMPUTE_PGM_RSRC2:TGID_X_EN: 1
; COMPUTE_PGM_RSRC2:TGID_Y_EN: 0
; COMPUTE_PGM_RSRC2:TGID_Z_EN: 0
; COMPUTE_PGM_RSRC2:TIDIG_COMP_CNT: 0
	.section	.text._Z27exclusive_scan_array_kernelILj6ELj32ELN6hipcub18BlockScanAlgorithmE0EfEvPT2_S2_,"axG",@progbits,_Z27exclusive_scan_array_kernelILj6ELj32ELN6hipcub18BlockScanAlgorithmE0EfEvPT2_S2_,comdat
	.protected	_Z27exclusive_scan_array_kernelILj6ELj32ELN6hipcub18BlockScanAlgorithmE0EfEvPT2_S2_ ; -- Begin function _Z27exclusive_scan_array_kernelILj6ELj32ELN6hipcub18BlockScanAlgorithmE0EfEvPT2_S2_
	.globl	_Z27exclusive_scan_array_kernelILj6ELj32ELN6hipcub18BlockScanAlgorithmE0EfEvPT2_S2_
	.p2align	8
	.type	_Z27exclusive_scan_array_kernelILj6ELj32ELN6hipcub18BlockScanAlgorithmE0EfEvPT2_S2_,@function
_Z27exclusive_scan_array_kernelILj6ELj32ELN6hipcub18BlockScanAlgorithmE0EfEvPT2_S2_: ; @_Z27exclusive_scan_array_kernelILj6ELj32ELN6hipcub18BlockScanAlgorithmE0EfEvPT2_S2_
; %bb.0:
	s_load_b64 s[2:3], s[0:1], 0x0
	s_mul_i32 s15, s15, 6
	v_mov_b32_e32 v35, 0
	v_add_lshl_u32 v34, s15, v0, 5
	s_delay_alu instid0(VALU_DEP_1) | instskip(SKIP_1) | instid1(VALU_DEP_1)
	v_lshlrev_b64 v[1:2], 2, v[34:35]
	s_waitcnt lgkmcnt(0)
	v_add_co_u32 v33, vcc_lo, s2, v1
	s_delay_alu instid0(VALU_DEP_2)
	v_add_co_ci_u32_e32 v34, vcc_lo, s3, v2, vcc_lo
	s_mov_b32 s2, exec_lo
	s_clause 0x7
	global_load_b128 v[29:32], v[33:34], off
	global_load_b128 v[25:28], v[33:34], off offset:16
	global_load_b128 v[21:24], v[33:34], off offset:32
	;; [unrolled: 1-line block ×7, first 2 shown]
	s_waitcnt vmcnt(7)
	v_add_f32_e32 v36, v29, v30
	s_delay_alu instid0(VALU_DEP_1) | instskip(NEXT) | instid1(VALU_DEP_1)
	v_add_f32_e32 v36, v36, v31
	v_add_f32_e32 v36, v36, v32
	s_waitcnt vmcnt(6)
	s_delay_alu instid0(VALU_DEP_1) | instskip(NEXT) | instid1(VALU_DEP_1)
	v_add_f32_e32 v36, v36, v25
	v_add_f32_e32 v36, v36, v26
	s_delay_alu instid0(VALU_DEP_1) | instskip(NEXT) | instid1(VALU_DEP_1)
	v_add_f32_e32 v36, v36, v27
	v_add_f32_e32 v36, v36, v28
	s_waitcnt vmcnt(5)
	s_delay_alu instid0(VALU_DEP_1) | instskip(NEXT) | instid1(VALU_DEP_1)
	v_add_f32_e32 v36, v36, v21
	;; [unrolled: 7-line block ×7, first 2 shown]
	v_add_f32_e32 v36, v36, v2
	s_delay_alu instid0(VALU_DEP_1) | instskip(NEXT) | instid1(VALU_DEP_1)
	v_add_f32_e32 v36, v36, v3
	v_add_f32_e32 v36, v36, v4
	v_mbcnt_lo_u32_b32 v4, -1, 0
	s_delay_alu instid0(VALU_DEP_2) | instskip(NEXT) | instid1(VALU_DEP_1)
	v_mov_b32_dpp v37, v36 row_shr:1 row_mask:0xf bank_mask:0xf
	v_dual_add_f32 v37, v36, v37 :: v_dual_and_b32 v38, 7, v4
	s_delay_alu instid0(VALU_DEP_1) | instskip(NEXT) | instid1(VALU_DEP_2)
	v_cmp_eq_u32_e32 vcc_lo, 0, v38
	v_cndmask_b32_e32 v36, v37, v36, vcc_lo
	v_cmp_lt_u32_e32 vcc_lo, 1, v38
	s_delay_alu instid0(VALU_DEP_2) | instskip(NEXT) | instid1(VALU_DEP_1)
	v_mov_b32_dpp v37, v36 row_shr:2 row_mask:0xf bank_mask:0xf
	v_add_f32_e32 v37, v36, v37
	s_delay_alu instid0(VALU_DEP_1) | instskip(SKIP_1) | instid1(VALU_DEP_2)
	v_cndmask_b32_e32 v36, v36, v37, vcc_lo
	v_cmp_lt_u32_e32 vcc_lo, 3, v38
	v_mov_b32_dpp v37, v36 row_shr:4 row_mask:0xf bank_mask:0xf
	s_delay_alu instid0(VALU_DEP_1) | instskip(NEXT) | instid1(VALU_DEP_1)
	v_add_f32_e32 v37, v36, v37
	v_cndmask_b32_e32 v36, v36, v37, vcc_lo
	v_cmpx_eq_u32_e32 5, v0
	s_cbranch_execz .LBB247_2
; %bb.1:
	ds_store_b32 v35, v36
.LBB247_2:
	s_or_b32 exec_lo, exec_lo, s2
	s_load_b32 s1, s[0:1], 0x8
	v_add_nc_u32_e32 v35, -1, v4
	v_and_b32_e32 v37, 24, v4
	v_cmp_eq_u32_e64 s0, 0, v0
	s_waitcnt vmcnt(0) lgkmcnt(0)
	s_waitcnt_vscnt null, 0x0
	; wave barrier
	s_waitcnt lgkmcnt(0)
	buffer_gl0_inv
	v_cmp_lt_i32_e32 vcc_lo, v35, v37
	v_cndmask_b32_e32 v35, v35, v4, vcc_lo
	v_cmp_eq_u32_e32 vcc_lo, 0, v4
	s_delay_alu instid0(VALU_DEP_2)
	v_lshlrev_b32_e32 v35, 2, v35
	s_or_b32 s0, s0, vcc_lo
	v_add_f32_e32 v36, s1, v36
	ds_bpermute_b32 v35, v35, v36
	s_waitcnt lgkmcnt(0)
	v_cndmask_b32_e64 v35, v35, s1, s0
	s_delay_alu instid0(VALU_DEP_1) | instskip(NEXT) | instid1(VALU_DEP_1)
	v_add_f32_e32 v36, v29, v35
	v_add_f32_e32 v37, v30, v36
	s_delay_alu instid0(VALU_DEP_1) | instskip(NEXT) | instid1(VALU_DEP_1)
	v_add_f32_e32 v38, v37, v31
	v_add_f32_e32 v29, v38, v32
	;; [unrolled: 3-line block ×5, first 2 shown]
	s_delay_alu instid0(VALU_DEP_1) | instskip(SKIP_4) | instid1(VALU_DEP_1)
	v_add_f32_e32 v28, v27, v23
	s_clause 0x1
	global_store_b128 v[33:34], v[35:38], off
	global_store_b128 v[33:34], v[29:32], off offset:16
	v_add_f32_e32 v21, v28, v24
	v_add_f32_e32 v22, v21, v13
	s_delay_alu instid0(VALU_DEP_1) | instskip(NEXT) | instid1(VALU_DEP_1)
	v_add_f32_e32 v23, v22, v14
	v_add_f32_e32 v24, v23, v15
	s_delay_alu instid0(VALU_DEP_1) | instskip(NEXT) | instid1(VALU_DEP_1)
	;; [unrolled: 3-line block ×9, first 2 shown]
	v_add_f32_e32 v2, v1, v2
	v_add_f32_e32 v3, v2, v3
	s_clause 0x5
	global_store_b128 v[33:34], v[25:28], off offset:32
	global_store_b128 v[33:34], v[21:24], off offset:48
	;; [unrolled: 1-line block ×6, first 2 shown]
	s_nop 0
	s_sendmsg sendmsg(MSG_DEALLOC_VGPRS)
	s_endpgm
	.section	.rodata,"a",@progbits
	.p2align	6, 0x0
	.amdhsa_kernel _Z27exclusive_scan_array_kernelILj6ELj32ELN6hipcub18BlockScanAlgorithmE0EfEvPT2_S2_
		.amdhsa_group_segment_fixed_size 4
		.amdhsa_private_segment_fixed_size 0
		.amdhsa_kernarg_size 12
		.amdhsa_user_sgpr_count 15
		.amdhsa_user_sgpr_dispatch_ptr 0
		.amdhsa_user_sgpr_queue_ptr 0
		.amdhsa_user_sgpr_kernarg_segment_ptr 1
		.amdhsa_user_sgpr_dispatch_id 0
		.amdhsa_user_sgpr_private_segment_size 0
		.amdhsa_wavefront_size32 1
		.amdhsa_uses_dynamic_stack 0
		.amdhsa_enable_private_segment 0
		.amdhsa_system_sgpr_workgroup_id_x 1
		.amdhsa_system_sgpr_workgroup_id_y 0
		.amdhsa_system_sgpr_workgroup_id_z 0
		.amdhsa_system_sgpr_workgroup_info 0
		.amdhsa_system_vgpr_workitem_id 0
		.amdhsa_next_free_vgpr 39
		.amdhsa_next_free_sgpr 16
		.amdhsa_reserve_vcc 1
		.amdhsa_float_round_mode_32 0
		.amdhsa_float_round_mode_16_64 0
		.amdhsa_float_denorm_mode_32 3
		.amdhsa_float_denorm_mode_16_64 3
		.amdhsa_dx10_clamp 1
		.amdhsa_ieee_mode 1
		.amdhsa_fp16_overflow 0
		.amdhsa_workgroup_processor_mode 1
		.amdhsa_memory_ordered 1
		.amdhsa_forward_progress 0
		.amdhsa_shared_vgpr_count 0
		.amdhsa_exception_fp_ieee_invalid_op 0
		.amdhsa_exception_fp_denorm_src 0
		.amdhsa_exception_fp_ieee_div_zero 0
		.amdhsa_exception_fp_ieee_overflow 0
		.amdhsa_exception_fp_ieee_underflow 0
		.amdhsa_exception_fp_ieee_inexact 0
		.amdhsa_exception_int_div_zero 0
	.end_amdhsa_kernel
	.section	.text._Z27exclusive_scan_array_kernelILj6ELj32ELN6hipcub18BlockScanAlgorithmE0EfEvPT2_S2_,"axG",@progbits,_Z27exclusive_scan_array_kernelILj6ELj32ELN6hipcub18BlockScanAlgorithmE0EfEvPT2_S2_,comdat
.Lfunc_end247:
	.size	_Z27exclusive_scan_array_kernelILj6ELj32ELN6hipcub18BlockScanAlgorithmE0EfEvPT2_S2_, .Lfunc_end247-_Z27exclusive_scan_array_kernelILj6ELj32ELN6hipcub18BlockScanAlgorithmE0EfEvPT2_S2_
                                        ; -- End function
	.section	.AMDGPU.csdata,"",@progbits
; Kernel info:
; codeLenInByte = 816
; NumSgprs: 18
; NumVgprs: 39
; ScratchSize: 0
; MemoryBound: 0
; FloatMode: 240
; IeeeMode: 1
; LDSByteSize: 4 bytes/workgroup (compile time only)
; SGPRBlocks: 2
; VGPRBlocks: 4
; NumSGPRsForWavesPerEU: 18
; NumVGPRsForWavesPerEU: 39
; Occupancy: 16
; WaveLimiterHint : 0
; COMPUTE_PGM_RSRC2:SCRATCH_EN: 0
; COMPUTE_PGM_RSRC2:USER_SGPR: 15
; COMPUTE_PGM_RSRC2:TRAP_HANDLER: 0
; COMPUTE_PGM_RSRC2:TGID_X_EN: 1
; COMPUTE_PGM_RSRC2:TGID_Y_EN: 0
; COMPUTE_PGM_RSRC2:TGID_Z_EN: 0
; COMPUTE_PGM_RSRC2:TIDIG_COMP_CNT: 0
	.section	.text._Z34exclusive_scan_reduce_array_kernelILj16ELj5ELN6hipcub18BlockScanAlgorithmE1E12hip_bfloat16EvPT2_S4_S3_,"axG",@progbits,_Z34exclusive_scan_reduce_array_kernelILj16ELj5ELN6hipcub18BlockScanAlgorithmE1E12hip_bfloat16EvPT2_S4_S3_,comdat
	.protected	_Z34exclusive_scan_reduce_array_kernelILj16ELj5ELN6hipcub18BlockScanAlgorithmE1E12hip_bfloat16EvPT2_S4_S3_ ; -- Begin function _Z34exclusive_scan_reduce_array_kernelILj16ELj5ELN6hipcub18BlockScanAlgorithmE1E12hip_bfloat16EvPT2_S4_S3_
	.globl	_Z34exclusive_scan_reduce_array_kernelILj16ELj5ELN6hipcub18BlockScanAlgorithmE1E12hip_bfloat16EvPT2_S4_S3_
	.p2align	8
	.type	_Z34exclusive_scan_reduce_array_kernelILj16ELj5ELN6hipcub18BlockScanAlgorithmE1E12hip_bfloat16EvPT2_S4_S3_,@function
_Z34exclusive_scan_reduce_array_kernelILj16ELj5ELN6hipcub18BlockScanAlgorithmE1E12hip_bfloat16EvPT2_S4_S3_: ; @_Z34exclusive_scan_reduce_array_kernelILj16ELj5ELN6hipcub18BlockScanAlgorithmE1E12hip_bfloat16EvPT2_S4_S3_
; %bb.0:
	s_mov_b32 s2, s15
	s_load_b128 s[4:7], s[0:1], 0x0
	v_lshl_or_b32 v1, s2, 4, v0
	s_delay_alu instid0(VALU_DEP_1) | instskip(NEXT) | instid1(VALU_DEP_1)
	v_lshl_add_u32 v8, v1, 2, v1
	v_dual_mov_b32 v9, 0 :: v_dual_add_nc_u32 v10, 2, v8
	s_delay_alu instid0(VALU_DEP_1) | instskip(SKIP_3) | instid1(VALU_DEP_4)
	v_dual_mov_b32 v2, v9 :: v_dual_add_nc_u32 v1, 1, v8
	v_dual_mov_b32 v4, v9 :: v_dual_add_nc_u32 v3, 3, v8
	v_lshlrev_b64 v[5:6], 1, v[8:9]
	v_add_nc_u32_e32 v8, 4, v8
	v_lshlrev_b64 v[11:12], 1, v[1:2]
	s_delay_alu instid0(VALU_DEP_4) | instskip(NEXT) | instid1(VALU_DEP_3)
	v_lshlrev_b64 v[1:2], 1, v[3:4]
	v_lshlrev_b64 v[7:8], 1, v[8:9]
	s_waitcnt lgkmcnt(0)
	v_add_co_u32 v3, vcc_lo, s4, v5
	v_add_co_ci_u32_e32 v4, vcc_lo, s5, v6, vcc_lo
	s_delay_alu instid0(VALU_DEP_4)
	v_add_co_u32 v1, vcc_lo, s4, v1
	v_add_co_ci_u32_e32 v2, vcc_lo, s5, v2, vcc_lo
	v_add_co_u32 v5, vcc_lo, s4, v7
	v_add_co_ci_u32_e32 v6, vcc_lo, s5, v8, vcc_lo
	v_add_co_u32 v7, vcc_lo, s4, v11
	v_mov_b32_e32 v11, v9
	v_add_co_ci_u32_e32 v8, vcc_lo, s5, v12, vcc_lo
	s_clause 0x3
	global_load_u16 v13, v[1:2], off
	global_load_u16 v15, v[5:6], off
	;; [unrolled: 1-line block ×4, first 2 shown]
	v_lshlrev_b64 v[9:10], 1, v[10:11]
	s_delay_alu instid0(VALU_DEP_1) | instskip(NEXT) | instid1(VALU_DEP_2)
	v_add_co_u32 v9, vcc_lo, s4, v9
	v_add_co_ci_u32_e32 v10, vcc_lo, s5, v10, vcc_lo
	global_load_u16 v12, v[9:10], off
	s_waitcnt vmcnt(2)
	v_lshlrev_b32_e32 v14, 16, v14
	s_waitcnt vmcnt(1)
	v_lshlrev_b32_e32 v11, 16, v16
	s_delay_alu instid0(VALU_DEP_1) | instskip(NEXT) | instid1(VALU_DEP_1)
	v_add_f32_e32 v16, v14, v11
	v_and_b32_e32 v17, 0x7f800000, v16
	s_delay_alu instid0(VALU_DEP_1) | instskip(SKIP_1) | instid1(SALU_CYCLE_1)
	v_cmp_ne_u32_e32 vcc_lo, 0x7f800000, v17
                                        ; implicit-def: $vgpr17
	s_and_saveexec_b32 s3, vcc_lo
	s_xor_b32 s3, exec_lo, s3
; %bb.1:
	v_bfe_u32 v17, v16, 16, 1
	s_delay_alu instid0(VALU_DEP_1)
	v_add3_u32 v17, v16, v17, 0x7fff
                                        ; implicit-def: $vgpr16
; %bb.2:
	s_and_not1_saveexec_b32 s3, s3
; %bb.3:
	v_and_b32_e32 v17, 0xffff, v16
	v_or_b32_e32 v18, 0x10000, v16
	s_delay_alu instid0(VALU_DEP_2) | instskip(NEXT) | instid1(VALU_DEP_2)
	v_cmp_eq_u32_e32 vcc_lo, 0, v17
	v_cndmask_b32_e32 v17, v18, v16, vcc_lo
; %bb.4:
	s_or_b32 exec_lo, exec_lo, s3
	s_delay_alu instid0(VALU_DEP_1) | instskip(SKIP_2) | instid1(VALU_DEP_1)
	v_and_b32_e32 v16, 0xffff0000, v17
	s_waitcnt vmcnt(0)
	v_lshlrev_b32_e32 v12, 16, v12
	v_add_f32_e32 v16, v16, v12
	s_delay_alu instid0(VALU_DEP_1) | instskip(NEXT) | instid1(VALU_DEP_1)
	v_and_b32_e32 v17, 0x7f800000, v16
	v_cmp_ne_u32_e32 vcc_lo, 0x7f800000, v17
                                        ; implicit-def: $vgpr17
	s_and_saveexec_b32 s3, vcc_lo
	s_delay_alu instid0(SALU_CYCLE_1)
	s_xor_b32 s3, exec_lo, s3
; %bb.5:
	v_bfe_u32 v17, v16, 16, 1
	s_delay_alu instid0(VALU_DEP_1)
	v_add3_u32 v17, v16, v17, 0x7fff
                                        ; implicit-def: $vgpr16
; %bb.6:
	s_and_not1_saveexec_b32 s3, s3
; %bb.7:
	v_and_b32_e32 v17, 0xffff, v16
	v_or_b32_e32 v18, 0x10000, v16
	s_delay_alu instid0(VALU_DEP_2) | instskip(NEXT) | instid1(VALU_DEP_2)
	v_cmp_eq_u32_e32 vcc_lo, 0, v17
	v_cndmask_b32_e32 v17, v18, v16, vcc_lo
; %bb.8:
	s_or_b32 exec_lo, exec_lo, s3
	s_delay_alu instid0(VALU_DEP_1) | instskip(SKIP_1) | instid1(VALU_DEP_1)
	v_and_b32_e32 v16, 0xffff0000, v17
	v_lshlrev_b32_e32 v13, 16, v13
	v_add_f32_e32 v16, v16, v13
	s_delay_alu instid0(VALU_DEP_1) | instskip(NEXT) | instid1(VALU_DEP_1)
	v_and_b32_e32 v17, 0x7f800000, v16
	v_cmp_ne_u32_e32 vcc_lo, 0x7f800000, v17
                                        ; implicit-def: $vgpr17
	s_and_saveexec_b32 s3, vcc_lo
	s_delay_alu instid0(SALU_CYCLE_1)
	s_xor_b32 s3, exec_lo, s3
; %bb.9:
	v_bfe_u32 v17, v16, 16, 1
	s_delay_alu instid0(VALU_DEP_1)
	v_add3_u32 v17, v16, v17, 0x7fff
                                        ; implicit-def: $vgpr16
; %bb.10:
	s_and_not1_saveexec_b32 s3, s3
; %bb.11:
	v_and_b32_e32 v17, 0xffff, v16
	v_or_b32_e32 v18, 0x10000, v16
	s_delay_alu instid0(VALU_DEP_2) | instskip(NEXT) | instid1(VALU_DEP_2)
	v_cmp_eq_u32_e32 vcc_lo, 0, v17
	v_cndmask_b32_e32 v17, v18, v16, vcc_lo
; %bb.12:
	s_or_b32 exec_lo, exec_lo, s3
	s_delay_alu instid0(VALU_DEP_1) | instskip(SKIP_1) | instid1(VALU_DEP_1)
	v_and_b32_e32 v16, 0xffff0000, v17
	v_lshlrev_b32_e32 v15, 16, v15
	v_add_f32_e32 v15, v16, v15
	s_delay_alu instid0(VALU_DEP_1) | instskip(NEXT) | instid1(VALU_DEP_1)
	v_and_b32_e32 v16, 0x7f800000, v15
	v_cmp_ne_u32_e32 vcc_lo, 0x7f800000, v16
                                        ; implicit-def: $vgpr16
	s_and_saveexec_b32 s3, vcc_lo
	s_delay_alu instid0(SALU_CYCLE_1)
	s_xor_b32 s3, exec_lo, s3
; %bb.13:
	v_bfe_u32 v16, v15, 16, 1
	s_delay_alu instid0(VALU_DEP_1)
	v_add3_u32 v16, v15, v16, 0x7fff
                                        ; implicit-def: $vgpr15
; %bb.14:
	s_and_not1_saveexec_b32 s3, s3
; %bb.15:
	v_and_b32_e32 v16, 0xffff, v15
	v_or_b32_e32 v17, 0x10000, v15
	s_delay_alu instid0(VALU_DEP_2) | instskip(NEXT) | instid1(VALU_DEP_2)
	v_cmp_eq_u32_e32 vcc_lo, 0, v16
	v_cndmask_b32_e32 v16, v17, v15, vcc_lo
; %bb.16:
	s_or_b32 exec_lo, exec_lo, s3
	s_delay_alu instid0(VALU_DEP_1) | instskip(SKIP_2) | instid1(VALU_DEP_2)
	v_lshrrev_b32_e32 v18, 16, v16
	v_and_b32_e32 v17, 0xffff0000, v16
	s_mov_b32 s3, exec_lo
                                        ; implicit-def: $vgpr19
	v_mov_b32_dpp v15, v18 row_shr:1 row_mask:0xf bank_mask:0xf
	s_delay_alu instid0(VALU_DEP_1) | instskip(NEXT) | instid1(VALU_DEP_1)
	v_lshlrev_b32_e32 v15, 16, v15
	v_add_f32_e32 v15, v17, v15
	s_delay_alu instid0(VALU_DEP_1) | instskip(NEXT) | instid1(VALU_DEP_1)
	v_and_b32_e32 v16, 0x7f800000, v15
	v_cmpx_ne_u32_e32 0x7f800000, v16
	s_xor_b32 s3, exec_lo, s3
; %bb.17:
	v_bfe_u32 v16, v15, 16, 1
	s_delay_alu instid0(VALU_DEP_1)
	v_add3_u32 v19, v15, v16, 0x7fff
                                        ; implicit-def: $vgpr15
; %bb.18:
	s_and_not1_saveexec_b32 s3, s3
; %bb.19:
	v_and_b32_e32 v16, 0xffff, v15
	v_or_b32_e32 v19, 0x10000, v15
	s_delay_alu instid0(VALU_DEP_2) | instskip(NEXT) | instid1(VALU_DEP_2)
	v_cmp_eq_u32_e32 vcc_lo, 0, v16
	v_cndmask_b32_e32 v19, v19, v15, vcc_lo
; %bb.20:
	s_or_b32 exec_lo, exec_lo, s3
	v_mbcnt_lo_u32_b32 v15, -1, 0
	s_delay_alu instid0(VALU_DEP_2) | instskip(SKIP_1) | instid1(VALU_DEP_3)
	v_lshrrev_b32_e32 v20, 16, v19
	v_and_b32_e32 v19, 0xffff0000, v19
	v_and_b32_e32 v16, 15, v15
	s_delay_alu instid0(VALU_DEP_1) | instskip(NEXT) | instid1(VALU_DEP_3)
	v_cmp_eq_u32_e32 vcc_lo, 0, v16
	v_dual_cndmask_b32 v17, v19, v17 :: v_dual_cndmask_b32 v18, v20, v18
	s_delay_alu instid0(VALU_DEP_1) | instskip(NEXT) | instid1(VALU_DEP_1)
	v_mov_b32_dpp v20, v18 row_shr:2 row_mask:0xf bank_mask:0xf
	v_lshlrev_b32_e32 v19, 16, v20
	s_delay_alu instid0(VALU_DEP_1) | instskip(NEXT) | instid1(VALU_DEP_1)
	v_add_f32_e32 v20, v17, v19
	v_and_b32_e32 v19, 0x7f800000, v20
	s_delay_alu instid0(VALU_DEP_1) | instskip(SKIP_1) | instid1(SALU_CYCLE_1)
	v_cmp_ne_u32_e32 vcc_lo, 0x7f800000, v19
                                        ; implicit-def: $vgpr19
	s_and_saveexec_b32 s3, vcc_lo
	s_xor_b32 s3, exec_lo, s3
; %bb.21:
	v_bfe_u32 v19, v20, 16, 1
	s_delay_alu instid0(VALU_DEP_1)
	v_add3_u32 v19, v20, v19, 0x7fff
                                        ; implicit-def: $vgpr20
; %bb.22:
	s_and_not1_saveexec_b32 s3, s3
; %bb.23:
	v_and_b32_e32 v19, 0xffff, v20
	v_or_b32_e32 v21, 0x10000, v20
	s_delay_alu instid0(VALU_DEP_2) | instskip(NEXT) | instid1(VALU_DEP_2)
	v_cmp_eq_u32_e32 vcc_lo, 0, v19
	v_cndmask_b32_e32 v19, v21, v20, vcc_lo
; %bb.24:
	s_or_b32 exec_lo, exec_lo, s3
	s_delay_alu instid0(VALU_DEP_1) | instskip(SKIP_1) | instid1(VALU_DEP_2)
	v_lshrrev_b32_e32 v20, 16, v19
	v_cmp_lt_u32_e32 vcc_lo, 1, v16
	v_dual_cndmask_b32 v18, v18, v20 :: v_dual_and_b32 v19, 0xffff0000, v19
	s_delay_alu instid0(VALU_DEP_1) | instskip(NEXT) | instid1(VALU_DEP_2)
	v_cndmask_b32_e32 v17, v17, v19, vcc_lo
	v_mov_b32_dpp v20, v18 row_shr:4 row_mask:0xf bank_mask:0xf
	s_delay_alu instid0(VALU_DEP_1) | instskip(NEXT) | instid1(VALU_DEP_1)
	v_lshlrev_b32_e32 v19, 16, v20
	v_add_f32_e32 v20, v17, v19
	s_delay_alu instid0(VALU_DEP_1) | instskip(NEXT) | instid1(VALU_DEP_1)
	v_and_b32_e32 v19, 0x7f800000, v20
	v_cmp_ne_u32_e32 vcc_lo, 0x7f800000, v19
                                        ; implicit-def: $vgpr19
	s_and_saveexec_b32 s3, vcc_lo
	s_delay_alu instid0(SALU_CYCLE_1)
	s_xor_b32 s3, exec_lo, s3
; %bb.25:
	v_bfe_u32 v19, v20, 16, 1
	s_delay_alu instid0(VALU_DEP_1)
	v_add3_u32 v19, v20, v19, 0x7fff
                                        ; implicit-def: $vgpr20
; %bb.26:
	s_and_not1_saveexec_b32 s3, s3
; %bb.27:
	v_and_b32_e32 v19, 0xffff, v20
	v_or_b32_e32 v21, 0x10000, v20
	s_delay_alu instid0(VALU_DEP_2) | instskip(NEXT) | instid1(VALU_DEP_2)
	v_cmp_eq_u32_e32 vcc_lo, 0, v19
	v_cndmask_b32_e32 v19, v21, v20, vcc_lo
; %bb.28:
	s_or_b32 exec_lo, exec_lo, s3
	s_delay_alu instid0(VALU_DEP_1) | instskip(SKIP_1) | instid1(VALU_DEP_2)
	v_lshrrev_b32_e32 v20, 16, v19
	v_cmp_lt_u32_e32 vcc_lo, 3, v16
	v_dual_cndmask_b32 v18, v18, v20 :: v_dual_and_b32 v19, 0xffff0000, v19
	s_delay_alu instid0(VALU_DEP_1) | instskip(NEXT) | instid1(VALU_DEP_2)
	v_cndmask_b32_e32 v17, v17, v19, vcc_lo
	v_mov_b32_dpp v20, v18 row_shr:8 row_mask:0xf bank_mask:0xf
	s_delay_alu instid0(VALU_DEP_1) | instskip(NEXT) | instid1(VALU_DEP_1)
	v_lshlrev_b32_e32 v19, 16, v20
	v_add_f32_e32 v17, v17, v19
	s_delay_alu instid0(VALU_DEP_1) | instskip(NEXT) | instid1(VALU_DEP_1)
	v_and_b32_e32 v19, 0x7f800000, v17
	v_cmp_ne_u32_e32 vcc_lo, 0x7f800000, v19
                                        ; implicit-def: $vgpr19
	s_and_saveexec_b32 s3, vcc_lo
	s_delay_alu instid0(SALU_CYCLE_1)
	s_xor_b32 s3, exec_lo, s3
; %bb.29:
	v_bfe_u32 v19, v17, 16, 1
	s_delay_alu instid0(VALU_DEP_1)
	v_add3_u32 v19, v17, v19, 0x7fff
                                        ; implicit-def: $vgpr17
; %bb.30:
	s_and_not1_saveexec_b32 s3, s3
; %bb.31:
	v_and_b32_e32 v19, 0xffff, v17
	v_or_b32_e32 v20, 0x10000, v17
	s_delay_alu instid0(VALU_DEP_2) | instskip(NEXT) | instid1(VALU_DEP_2)
	v_cmp_eq_u32_e32 vcc_lo, 0, v19
	v_cndmask_b32_e32 v19, v20, v17, vcc_lo
; %bb.32:
	s_or_b32 exec_lo, exec_lo, s3
	s_delay_alu instid0(VALU_DEP_1) | instskip(SKIP_2) | instid1(VALU_DEP_2)
	v_lshrrev_b32_e32 v17, 16, v19
	v_cmp_lt_u32_e32 vcc_lo, 7, v16
	s_mov_b32 s3, exec_lo
	v_cndmask_b32_e32 v16, v18, v17, vcc_lo
	v_cmpx_eq_u32_e32 15, v0
	s_cbranch_execz .LBB248_34
; %bb.33:
	v_mov_b32_e32 v17, 0
	ds_store_b16 v17, v16
.LBB248_34:
	s_or_b32 exec_lo, exec_lo, s3
	s_load_b32 s1, s[0:1], 0x10
	v_lshlrev_b32_e32 v16, 16, v16
	s_waitcnt vmcnt(0) lgkmcnt(0)
	s_waitcnt_vscnt null, 0x0
	; wave barrier
	s_waitcnt lgkmcnt(0)
	buffer_gl0_inv
	s_lshl_b32 s0, s1, 16
	s_delay_alu instid0(SALU_CYCLE_1) | instskip(NEXT) | instid1(VALU_DEP_1)
	v_add_f32_e32 v16, s0, v16
	v_and_b32_e32 v17, 0x7f800000, v16
	s_delay_alu instid0(VALU_DEP_1) | instskip(SKIP_1) | instid1(SALU_CYCLE_1)
	v_cmp_ne_u32_e32 vcc_lo, 0x7f800000, v17
                                        ; implicit-def: $vgpr17
	s_and_saveexec_b32 s0, vcc_lo
	s_xor_b32 s0, exec_lo, s0
; %bb.35:
	v_bfe_u32 v17, v16, 16, 1
	s_delay_alu instid0(VALU_DEP_1)
	v_add3_u32 v17, v16, v17, 0x7fff
                                        ; implicit-def: $vgpr16
; %bb.36:
	s_and_not1_saveexec_b32 s0, s0
; %bb.37:
	v_and_b32_e32 v17, 0xffff, v16
	v_or_b32_e32 v18, 0x10000, v16
	s_delay_alu instid0(VALU_DEP_2) | instskip(NEXT) | instid1(VALU_DEP_2)
	v_cmp_eq_u32_e32 vcc_lo, 0, v17
	v_cndmask_b32_e32 v17, v18, v16, vcc_lo
; %bb.38:
	s_or_b32 exec_lo, exec_lo, s0
	v_add_nc_u32_e32 v16, -1, v15
	v_and_b32_e32 v18, 16, v15
	s_delay_alu instid0(VALU_DEP_3) | instskip(SKIP_1) | instid1(VALU_DEP_3)
	v_lshrrev_b32_e32 v17, 16, v17
	v_cmp_eq_u32_e64 s0, 0, v15
	v_cmp_lt_i32_e32 vcc_lo, v16, v18
	v_cndmask_b32_e32 v16, v16, v15, vcc_lo
	v_cmp_eq_u32_e32 vcc_lo, 0, v0
	s_delay_alu instid0(VALU_DEP_2) | instskip(SKIP_4) | instid1(VALU_DEP_1)
	v_lshlrev_b32_e32 v16, 2, v16
	s_or_b32 s0, vcc_lo, s0
	ds_bpermute_b32 v16, v16, v17
	s_waitcnt lgkmcnt(0)
	v_cndmask_b32_e64 v0, v16, s1, s0
	v_lshlrev_b32_e32 v15, 16, v0
	s_delay_alu instid0(VALU_DEP_1) | instskip(NEXT) | instid1(VALU_DEP_1)
	v_add_f32_e32 v15, v14, v15
	v_and_b32_e32 v14, 0x7f800000, v15
	s_delay_alu instid0(VALU_DEP_1) | instskip(NEXT) | instid1(VALU_DEP_1)
	v_cmp_ne_u32_e64 s0, 0x7f800000, v14
                                        ; implicit-def: $vgpr14
	s_and_saveexec_b32 s1, s0
	s_delay_alu instid0(SALU_CYCLE_1)
	s_xor_b32 s0, exec_lo, s1
; %bb.39:
	v_bfe_u32 v14, v15, 16, 1
	s_delay_alu instid0(VALU_DEP_1)
	v_add3_u32 v14, v15, v14, 0x7fff
                                        ; implicit-def: $vgpr15
; %bb.40:
	s_and_not1_saveexec_b32 s1, s0
; %bb.41:
	v_and_b32_e32 v14, 0xffff, v15
	v_or_b32_e32 v16, 0x10000, v15
	s_delay_alu instid0(VALU_DEP_2) | instskip(NEXT) | instid1(VALU_DEP_1)
	v_cmp_eq_u32_e64 s0, 0, v14
	v_cndmask_b32_e64 v14, v16, v15, s0
; %bb.42:
	s_or_b32 exec_lo, exec_lo, s1
	s_delay_alu instid0(VALU_DEP_1) | instskip(NEXT) | instid1(VALU_DEP_1)
	v_and_b32_e32 v15, 0xffff0000, v14
	v_add_f32_e32 v15, v15, v11
	s_delay_alu instid0(VALU_DEP_1) | instskip(NEXT) | instid1(VALU_DEP_1)
	v_and_b32_e32 v11, 0x7f800000, v15
	v_cmp_ne_u32_e64 s0, 0x7f800000, v11
                                        ; implicit-def: $vgpr11
	s_delay_alu instid0(VALU_DEP_1) | instskip(NEXT) | instid1(SALU_CYCLE_1)
	s_and_saveexec_b32 s1, s0
	s_xor_b32 s0, exec_lo, s1
; %bb.43:
	v_bfe_u32 v11, v15, 16, 1
	s_delay_alu instid0(VALU_DEP_1)
	v_add3_u32 v11, v15, v11, 0x7fff
                                        ; implicit-def: $vgpr15
; %bb.44:
	s_and_not1_saveexec_b32 s1, s0
; %bb.45:
	v_and_b32_e32 v11, 0xffff, v15
	v_or_b32_e32 v16, 0x10000, v15
	s_delay_alu instid0(VALU_DEP_2) | instskip(NEXT) | instid1(VALU_DEP_1)
	v_cmp_eq_u32_e64 s0, 0, v11
	v_cndmask_b32_e64 v11, v16, v15, s0
; %bb.46:
	s_or_b32 exec_lo, exec_lo, s1
	s_delay_alu instid0(VALU_DEP_1) | instskip(NEXT) | instid1(VALU_DEP_1)
	v_and_b32_e32 v15, 0xffff0000, v11
	v_add_f32_e32 v15, v15, v12
	s_delay_alu instid0(VALU_DEP_1) | instskip(NEXT) | instid1(VALU_DEP_1)
	v_and_b32_e32 v12, 0x7f800000, v15
	v_cmp_ne_u32_e64 s0, 0x7f800000, v12
                                        ; implicit-def: $vgpr12
	s_delay_alu instid0(VALU_DEP_1) | instskip(NEXT) | instid1(SALU_CYCLE_1)
	s_and_saveexec_b32 s1, s0
	s_xor_b32 s0, exec_lo, s1
; %bb.47:
	v_bfe_u32 v12, v15, 16, 1
	s_delay_alu instid0(VALU_DEP_1)
	v_add3_u32 v12, v15, v12, 0x7fff
                                        ; implicit-def: $vgpr15
; %bb.48:
	s_and_not1_saveexec_b32 s1, s0
; %bb.49:
	v_and_b32_e32 v12, 0xffff, v15
	v_or_b32_e32 v16, 0x10000, v15
	s_delay_alu instid0(VALU_DEP_2) | instskip(NEXT) | instid1(VALU_DEP_1)
	v_cmp_eq_u32_e64 s0, 0, v12
	v_cndmask_b32_e64 v12, v16, v15, s0
; %bb.50:
	s_or_b32 exec_lo, exec_lo, s1
	s_delay_alu instid0(VALU_DEP_1) | instskip(NEXT) | instid1(VALU_DEP_1)
	v_and_b32_e32 v15, 0xffff0000, v12
	v_add_f32_e32 v15, v15, v13
	s_delay_alu instid0(VALU_DEP_1) | instskip(NEXT) | instid1(VALU_DEP_1)
	v_and_b32_e32 v13, 0x7f800000, v15
	v_cmp_ne_u32_e64 s0, 0x7f800000, v13
                                        ; implicit-def: $vgpr13
	s_delay_alu instid0(VALU_DEP_1) | instskip(NEXT) | instid1(SALU_CYCLE_1)
	s_and_saveexec_b32 s1, s0
	s_xor_b32 s0, exec_lo, s1
; %bb.51:
	v_bfe_u32 v13, v15, 16, 1
	s_delay_alu instid0(VALU_DEP_1)
	v_add3_u32 v13, v15, v13, 0x7fff
                                        ; implicit-def: $vgpr15
; %bb.52:
	s_and_not1_saveexec_b32 s1, s0
; %bb.53:
	v_and_b32_e32 v13, 0xffff, v15
	v_or_b32_e32 v16, 0x10000, v15
	s_delay_alu instid0(VALU_DEP_2) | instskip(NEXT) | instid1(VALU_DEP_1)
	v_cmp_eq_u32_e64 s0, 0, v13
	v_cndmask_b32_e64 v13, v16, v15, s0
; %bb.54:
	s_or_b32 exec_lo, exec_lo, s1
	s_clause 0x4
	global_store_b16 v[3:4], v0, off
	global_store_d16_hi_b16 v[7:8], v14, off
	global_store_d16_hi_b16 v[9:10], v11, off
	;; [unrolled: 1-line block ×4, first 2 shown]
	s_and_saveexec_b32 s0, vcc_lo
	s_cbranch_execz .LBB248_56
; %bb.55:
	v_mov_b32_e32 v0, 0
	s_mov_b32 s3, 0
	s_delay_alu instid0(SALU_CYCLE_1) | instskip(NEXT) | instid1(SALU_CYCLE_1)
	s_lshl_b64 s[0:1], s[2:3], 1
	s_add_u32 s0, s6, s0
	ds_load_u16 v1, v0
	s_addc_u32 s1, s7, s1
	s_waitcnt lgkmcnt(0)
	global_store_b16 v0, v1, s[0:1]
.LBB248_56:
	s_nop 0
	s_sendmsg sendmsg(MSG_DEALLOC_VGPRS)
	s_endpgm
	.section	.rodata,"a",@progbits
	.p2align	6, 0x0
	.amdhsa_kernel _Z34exclusive_scan_reduce_array_kernelILj16ELj5ELN6hipcub18BlockScanAlgorithmE1E12hip_bfloat16EvPT2_S4_S3_
		.amdhsa_group_segment_fixed_size 2
		.amdhsa_private_segment_fixed_size 0
		.amdhsa_kernarg_size 20
		.amdhsa_user_sgpr_count 15
		.amdhsa_user_sgpr_dispatch_ptr 0
		.amdhsa_user_sgpr_queue_ptr 0
		.amdhsa_user_sgpr_kernarg_segment_ptr 1
		.amdhsa_user_sgpr_dispatch_id 0
		.amdhsa_user_sgpr_private_segment_size 0
		.amdhsa_wavefront_size32 1
		.amdhsa_uses_dynamic_stack 0
		.amdhsa_enable_private_segment 0
		.amdhsa_system_sgpr_workgroup_id_x 1
		.amdhsa_system_sgpr_workgroup_id_y 0
		.amdhsa_system_sgpr_workgroup_id_z 0
		.amdhsa_system_sgpr_workgroup_info 0
		.amdhsa_system_vgpr_workitem_id 0
		.amdhsa_next_free_vgpr 22
		.amdhsa_next_free_sgpr 16
		.amdhsa_reserve_vcc 1
		.amdhsa_float_round_mode_32 0
		.amdhsa_float_round_mode_16_64 0
		.amdhsa_float_denorm_mode_32 3
		.amdhsa_float_denorm_mode_16_64 3
		.amdhsa_dx10_clamp 1
		.amdhsa_ieee_mode 1
		.amdhsa_fp16_overflow 0
		.amdhsa_workgroup_processor_mode 1
		.amdhsa_memory_ordered 1
		.amdhsa_forward_progress 0
		.amdhsa_shared_vgpr_count 0
		.amdhsa_exception_fp_ieee_invalid_op 0
		.amdhsa_exception_fp_denorm_src 0
		.amdhsa_exception_fp_ieee_div_zero 0
		.amdhsa_exception_fp_ieee_overflow 0
		.amdhsa_exception_fp_ieee_underflow 0
		.amdhsa_exception_fp_ieee_inexact 0
		.amdhsa_exception_int_div_zero 0
	.end_amdhsa_kernel
	.section	.text._Z34exclusive_scan_reduce_array_kernelILj16ELj5ELN6hipcub18BlockScanAlgorithmE1E12hip_bfloat16EvPT2_S4_S3_,"axG",@progbits,_Z34exclusive_scan_reduce_array_kernelILj16ELj5ELN6hipcub18BlockScanAlgorithmE1E12hip_bfloat16EvPT2_S4_S3_,comdat
.Lfunc_end248:
	.size	_Z34exclusive_scan_reduce_array_kernelILj16ELj5ELN6hipcub18BlockScanAlgorithmE1E12hip_bfloat16EvPT2_S4_S3_, .Lfunc_end248-_Z34exclusive_scan_reduce_array_kernelILj16ELj5ELN6hipcub18BlockScanAlgorithmE1E12hip_bfloat16EvPT2_S4_S3_
                                        ; -- End function
	.section	.AMDGPU.csdata,"",@progbits
; Kernel info:
; codeLenInByte = 2076
; NumSgprs: 18
; NumVgprs: 22
; ScratchSize: 0
; MemoryBound: 0
; FloatMode: 240
; IeeeMode: 1
; LDSByteSize: 2 bytes/workgroup (compile time only)
; SGPRBlocks: 2
; VGPRBlocks: 2
; NumSGPRsForWavesPerEU: 18
; NumVGPRsForWavesPerEU: 22
; Occupancy: 16
; WaveLimiterHint : 0
; COMPUTE_PGM_RSRC2:SCRATCH_EN: 0
; COMPUTE_PGM_RSRC2:USER_SGPR: 15
; COMPUTE_PGM_RSRC2:TRAP_HANDLER: 0
; COMPUTE_PGM_RSRC2:TGID_X_EN: 1
; COMPUTE_PGM_RSRC2:TGID_Y_EN: 0
; COMPUTE_PGM_RSRC2:TGID_Z_EN: 0
; COMPUTE_PGM_RSRC2:TIDIG_COMP_CNT: 0
	.section	.text._Z34exclusive_scan_reduce_array_kernelILj65ELj5ELN6hipcub18BlockScanAlgorithmE1E6__halfEvPT2_S4_S3_,"axG",@progbits,_Z34exclusive_scan_reduce_array_kernelILj65ELj5ELN6hipcub18BlockScanAlgorithmE1E6__halfEvPT2_S4_S3_,comdat
	.protected	_Z34exclusive_scan_reduce_array_kernelILj65ELj5ELN6hipcub18BlockScanAlgorithmE1E6__halfEvPT2_S4_S3_ ; -- Begin function _Z34exclusive_scan_reduce_array_kernelILj65ELj5ELN6hipcub18BlockScanAlgorithmE1E6__halfEvPT2_S4_S3_
	.globl	_Z34exclusive_scan_reduce_array_kernelILj65ELj5ELN6hipcub18BlockScanAlgorithmE1E6__halfEvPT2_S4_S3_
	.p2align	8
	.type	_Z34exclusive_scan_reduce_array_kernelILj65ELj5ELN6hipcub18BlockScanAlgorithmE1E6__halfEvPT2_S4_S3_,@function
_Z34exclusive_scan_reduce_array_kernelILj65ELj5ELN6hipcub18BlockScanAlgorithmE1E6__halfEvPT2_S4_S3_: ; @_Z34exclusive_scan_reduce_array_kernelILj65ELj5ELN6hipcub18BlockScanAlgorithmE1E6__halfEvPT2_S4_S3_
; %bb.0:
	s_mov_b32 s2, s15
	s_load_b128 s[4:7], s[0:1], 0x0
	v_mad_u64_u32 v[1:2], null, 0x41, s2, v[0:1]
	s_load_b32 s1, s[0:1], 0x10
	s_mov_b32 s0, exec_lo
	s_delay_alu instid0(VALU_DEP_1) | instskip(NEXT) | instid1(VALU_DEP_1)
	v_lshl_add_u32 v1, v1, 2, v1
	v_dual_mov_b32 v2, 0 :: v_dual_add_nc_u32 v3, 1, v1
	s_delay_alu instid0(VALU_DEP_1) | instskip(SKIP_3) | instid1(VALU_DEP_4)
	v_dual_mov_b32 v4, v2 :: v_dual_add_nc_u32 v5, 2, v1
	v_lshlrev_b64 v[9:10], 1, v[1:2]
	v_dual_mov_b32 v6, v2 :: v_dual_add_nc_u32 v7, 3, v1
	v_dual_mov_b32 v8, v2 :: v_dual_add_nc_u32 v1, 4, v1
	v_lshlrev_b64 v[3:4], 1, v[3:4]
	s_delay_alu instid0(VALU_DEP_3) | instskip(NEXT) | instid1(VALU_DEP_3)
	v_lshlrev_b64 v[5:6], 1, v[5:6]
	v_lshlrev_b64 v[7:8], 1, v[7:8]
	s_delay_alu instid0(VALU_DEP_4)
	v_lshlrev_b64 v[14:15], 1, v[1:2]
	s_waitcnt lgkmcnt(0)
	v_add_co_u32 v1, vcc_lo, s4, v9
	v_add_co_ci_u32_e32 v2, vcc_lo, s5, v10, vcc_lo
	v_add_co_u32 v3, vcc_lo, s4, v3
	v_add_co_ci_u32_e32 v4, vcc_lo, s5, v4, vcc_lo
	;; [unrolled: 2-line block ×3, first 2 shown]
	s_clause 0x1
	global_load_u16 v11, v[1:2], off
	global_load_u16 v12, v[3:4], off
	v_add_co_u32 v7, vcc_lo, s4, v7
	v_add_co_ci_u32_e32 v8, vcc_lo, s5, v8, vcc_lo
	global_load_u16 v13, v[5:6], off
	v_add_co_u32 v9, vcc_lo, s4, v14
	v_add_co_ci_u32_e32 v10, vcc_lo, s5, v15, vcc_lo
	s_clause 0x1
	global_load_u16 v14, v[7:8], off
	global_load_u16 v16, v[9:10], off
	s_waitcnt vmcnt(3)
	v_add_f16_e32 v15, v11, v12
	s_waitcnt vmcnt(2)
	s_delay_alu instid0(VALU_DEP_1) | instskip(SKIP_1) | instid1(VALU_DEP_1)
	v_add_f16_e32 v15, v15, v13
	s_waitcnt vmcnt(1)
	v_add_f16_e32 v17, v15, v14
	v_lshlrev_b32_e32 v15, 1, v0
	s_waitcnt vmcnt(0)
	s_delay_alu instid0(VALU_DEP_2)
	v_add_f16_e32 v16, v17, v16
	ds_store_b16 v15, v16
	s_waitcnt lgkmcnt(0)
	s_barrier
	buffer_gl0_inv
	v_cmpx_gt_u32_e32 32, v0
	s_cbranch_execz .LBB249_2
; %bb.1:
	v_mul_u32_u24_e32 v17, 3, v0
	v_mbcnt_lo_u32_b32 v23, -1, 0
	s_delay_alu instid0(VALU_DEP_1) | instskip(NEXT) | instid1(VALU_DEP_3)
	v_add_nc_u32_e32 v25, -1, v23
	v_lshlrev_b32_e32 v17, 1, v17
	ds_load_u16 v18, v17
	ds_load_u16 v19, v17 offset:2
	ds_load_u16 v20, v17 offset:4
	s_waitcnt lgkmcnt(1)
	v_add_f16_e32 v21, v18, v19
	s_waitcnt lgkmcnt(0)
	s_delay_alu instid0(VALU_DEP_1) | instskip(NEXT) | instid1(VALU_DEP_1)
	v_add_f16_e32 v21, v21, v20
	v_and_b32_e32 v22, 0xffff, v21
	s_delay_alu instid0(VALU_DEP_1) | instskip(NEXT) | instid1(VALU_DEP_1)
	v_mov_b32_dpp v22, v22 row_shr:1 row_mask:0xf bank_mask:0xf
	v_add_f16_e32 v22, v21, v22
	v_and_b32_e32 v24, 15, v23
	s_delay_alu instid0(VALU_DEP_1) | instskip(NEXT) | instid1(VALU_DEP_3)
	v_cmp_eq_u32_e32 vcc_lo, 0, v24
	v_cndmask_b32_e32 v21, v22, v21, vcc_lo
	v_cmp_lt_u32_e32 vcc_lo, 1, v24
	s_delay_alu instid0(VALU_DEP_2) | instskip(NEXT) | instid1(VALU_DEP_1)
	v_and_b32_e32 v22, 0xffff, v21
	v_mov_b32_dpp v22, v22 row_shr:2 row_mask:0xf bank_mask:0xf
	s_delay_alu instid0(VALU_DEP_1) | instskip(NEXT) | instid1(VALU_DEP_1)
	v_add_f16_e32 v22, v21, v22
	v_cndmask_b32_e32 v21, v21, v22, vcc_lo
	v_cmp_lt_u32_e32 vcc_lo, 3, v24
	s_delay_alu instid0(VALU_DEP_2) | instskip(NEXT) | instid1(VALU_DEP_1)
	v_and_b32_e32 v22, 0xffff, v21
	v_mov_b32_dpp v22, v22 row_shr:4 row_mask:0xf bank_mask:0xf
	s_delay_alu instid0(VALU_DEP_1) | instskip(NEXT) | instid1(VALU_DEP_1)
	v_add_f16_e32 v22, v21, v22
	v_cndmask_b32_e32 v21, v21, v22, vcc_lo
	v_cmp_lt_u32_e32 vcc_lo, 7, v24
	v_and_b32_e32 v24, 16, v23
	s_delay_alu instid0(VALU_DEP_3) | instskip(NEXT) | instid1(VALU_DEP_1)
	v_and_b32_e32 v22, 0xffff, v21
	v_mov_b32_dpp v22, v22 row_shr:8 row_mask:0xf bank_mask:0xf
	s_delay_alu instid0(VALU_DEP_1) | instskip(NEXT) | instid1(VALU_DEP_1)
	v_add_f16_e32 v22, v21, v22
	v_cndmask_b32_e32 v21, v21, v22, vcc_lo
	v_cmp_eq_u32_e32 vcc_lo, 0, v24
	s_delay_alu instid0(VALU_DEP_2) | instskip(SKIP_3) | instid1(VALU_DEP_1)
	v_and_b32_e32 v22, 0xffff, v21
	ds_swizzle_b32 v22, v22 offset:swizzle(BROADCAST,32,15)
	s_waitcnt lgkmcnt(0)
	v_add_f16_e32 v22, v21, v22
	v_cndmask_b32_e32 v21, v22, v21, vcc_lo
	v_cmp_gt_i32_e32 vcc_lo, 0, v25
	v_cndmask_b32_e32 v22, v25, v23, vcc_lo
	v_cmp_eq_u32_e32 vcc_lo, 0, v0
	s_delay_alu instid0(VALU_DEP_2) | instskip(SKIP_4) | instid1(VALU_DEP_1)
	v_lshlrev_b32_e32 v22, 2, v22
	v_and_b32_e32 v21, 0xffff, v21
	ds_bpermute_b32 v21, v22, v21
	s_waitcnt lgkmcnt(0)
	v_add_f16_e32 v18, v18, v21
	v_cndmask_b32_e32 v16, v18, v16, vcc_lo
	s_delay_alu instid0(VALU_DEP_1) | instskip(NEXT) | instid1(VALU_DEP_1)
	v_add_f16_e32 v18, v19, v16
	v_add_f16_e32 v19, v20, v18
	ds_store_b16 v17, v16
	ds_store_b16 v17, v18 offset:2
	ds_store_b16 v17, v19 offset:4
.LBB249_2:
	s_or_b32 exec_lo, exec_lo, s0
	v_cmp_eq_u32_e32 vcc_lo, 0, v0
	v_cmp_ne_u32_e64 s0, 0, v0
	v_mov_b32_e32 v0, s1
	s_waitcnt lgkmcnt(0)
	s_barrier
	buffer_gl0_inv
	s_and_saveexec_b32 s3, s0
	s_cbranch_execz .LBB249_4
; %bb.3:
	v_add_nc_u32_e32 v0, -2, v15
	ds_load_u16 v0, v0
	s_waitcnt lgkmcnt(0)
	v_add_f16_e32 v0, s1, v0
.LBB249_4:
	s_or_b32 exec_lo, exec_lo, s3
	s_delay_alu instid0(VALU_DEP_1) | instskip(NEXT) | instid1(VALU_DEP_1)
	v_add_f16_e32 v11, v11, v0
	v_add_f16_e32 v12, v11, v12
	s_delay_alu instid0(VALU_DEP_1) | instskip(NEXT) | instid1(VALU_DEP_1)
	v_add_f16_e32 v13, v12, v13
	v_add_f16_e32 v14, v13, v14
	s_clause 0x4
	global_store_b16 v[1:2], v0, off
	global_store_b16 v[3:4], v11, off
	global_store_b16 v[5:6], v12, off
	global_store_b16 v[7:8], v13, off
	global_store_b16 v[9:10], v14, off
	s_and_saveexec_b32 s0, vcc_lo
	s_cbranch_execz .LBB249_6
; %bb.5:
	v_mov_b32_e32 v0, 0
	s_mov_b32 s3, 0
	s_delay_alu instid0(SALU_CYCLE_1) | instskip(NEXT) | instid1(SALU_CYCLE_1)
	s_lshl_b64 s[0:1], s[2:3], 1
	s_add_u32 s0, s6, s0
	ds_load_u16 v1, v0 offset:128
	s_addc_u32 s1, s7, s1
	s_waitcnt lgkmcnt(0)
	global_store_b16 v0, v1, s[0:1]
.LBB249_6:
	s_nop 0
	s_sendmsg sendmsg(MSG_DEALLOC_VGPRS)
	s_endpgm
	.section	.rodata,"a",@progbits
	.p2align	6, 0x0
	.amdhsa_kernel _Z34exclusive_scan_reduce_array_kernelILj65ELj5ELN6hipcub18BlockScanAlgorithmE1E6__halfEvPT2_S4_S3_
		.amdhsa_group_segment_fixed_size 192
		.amdhsa_private_segment_fixed_size 0
		.amdhsa_kernarg_size 20
		.amdhsa_user_sgpr_count 15
		.amdhsa_user_sgpr_dispatch_ptr 0
		.amdhsa_user_sgpr_queue_ptr 0
		.amdhsa_user_sgpr_kernarg_segment_ptr 1
		.amdhsa_user_sgpr_dispatch_id 0
		.amdhsa_user_sgpr_private_segment_size 0
		.amdhsa_wavefront_size32 1
		.amdhsa_uses_dynamic_stack 0
		.amdhsa_enable_private_segment 0
		.amdhsa_system_sgpr_workgroup_id_x 1
		.amdhsa_system_sgpr_workgroup_id_y 0
		.amdhsa_system_sgpr_workgroup_id_z 0
		.amdhsa_system_sgpr_workgroup_info 0
		.amdhsa_system_vgpr_workitem_id 0
		.amdhsa_next_free_vgpr 26
		.amdhsa_next_free_sgpr 16
		.amdhsa_reserve_vcc 1
		.amdhsa_float_round_mode_32 0
		.amdhsa_float_round_mode_16_64 0
		.amdhsa_float_denorm_mode_32 3
		.amdhsa_float_denorm_mode_16_64 3
		.amdhsa_dx10_clamp 1
		.amdhsa_ieee_mode 1
		.amdhsa_fp16_overflow 0
		.amdhsa_workgroup_processor_mode 1
		.amdhsa_memory_ordered 1
		.amdhsa_forward_progress 0
		.amdhsa_shared_vgpr_count 0
		.amdhsa_exception_fp_ieee_invalid_op 0
		.amdhsa_exception_fp_denorm_src 0
		.amdhsa_exception_fp_ieee_div_zero 0
		.amdhsa_exception_fp_ieee_overflow 0
		.amdhsa_exception_fp_ieee_underflow 0
		.amdhsa_exception_fp_ieee_inexact 0
		.amdhsa_exception_int_div_zero 0
	.end_amdhsa_kernel
	.section	.text._Z34exclusive_scan_reduce_array_kernelILj65ELj5ELN6hipcub18BlockScanAlgorithmE1E6__halfEvPT2_S4_S3_,"axG",@progbits,_Z34exclusive_scan_reduce_array_kernelILj65ELj5ELN6hipcub18BlockScanAlgorithmE1E6__halfEvPT2_S4_S3_,comdat
.Lfunc_end249:
	.size	_Z34exclusive_scan_reduce_array_kernelILj65ELj5ELN6hipcub18BlockScanAlgorithmE1E6__halfEvPT2_S4_S3_, .Lfunc_end249-_Z34exclusive_scan_reduce_array_kernelILj65ELj5ELN6hipcub18BlockScanAlgorithmE1E6__halfEvPT2_S4_S3_
                                        ; -- End function
	.section	.AMDGPU.csdata,"",@progbits
; Kernel info:
; codeLenInByte = 860
; NumSgprs: 18
; NumVgprs: 26
; ScratchSize: 0
; MemoryBound: 0
; FloatMode: 240
; IeeeMode: 1
; LDSByteSize: 192 bytes/workgroup (compile time only)
; SGPRBlocks: 2
; VGPRBlocks: 3
; NumSGPRsForWavesPerEU: 18
; NumVGPRsForWavesPerEU: 26
; Occupancy: 16
; WaveLimiterHint : 0
; COMPUTE_PGM_RSRC2:SCRATCH_EN: 0
; COMPUTE_PGM_RSRC2:USER_SGPR: 15
; COMPUTE_PGM_RSRC2:TRAP_HANDLER: 0
; COMPUTE_PGM_RSRC2:TGID_X_EN: 1
; COMPUTE_PGM_RSRC2:TGID_Y_EN: 0
; COMPUTE_PGM_RSRC2:TGID_Z_EN: 0
; COMPUTE_PGM_RSRC2:TIDIG_COMP_CNT: 0
	.section	.text._Z34exclusive_scan_reduce_array_kernelILj255ELj15ELN6hipcub18BlockScanAlgorithmE1EfEvPT2_S3_S2_,"axG",@progbits,_Z34exclusive_scan_reduce_array_kernelILj255ELj15ELN6hipcub18BlockScanAlgorithmE1EfEvPT2_S3_S2_,comdat
	.protected	_Z34exclusive_scan_reduce_array_kernelILj255ELj15ELN6hipcub18BlockScanAlgorithmE1EfEvPT2_S3_S2_ ; -- Begin function _Z34exclusive_scan_reduce_array_kernelILj255ELj15ELN6hipcub18BlockScanAlgorithmE1EfEvPT2_S3_S2_
	.globl	_Z34exclusive_scan_reduce_array_kernelILj255ELj15ELN6hipcub18BlockScanAlgorithmE1EfEvPT2_S3_S2_
	.p2align	8
	.type	_Z34exclusive_scan_reduce_array_kernelILj255ELj15ELN6hipcub18BlockScanAlgorithmE1EfEvPT2_S3_S2_,@function
_Z34exclusive_scan_reduce_array_kernelILj255ELj15ELN6hipcub18BlockScanAlgorithmE1EfEvPT2_S3_S2_: ; @_Z34exclusive_scan_reduce_array_kernelILj255ELj15ELN6hipcub18BlockScanAlgorithmE1EfEvPT2_S3_S2_
; %bb.0:
	s_mov_b32 s2, s15
	s_load_b128 s[4:7], s[0:1], 0x0
	v_mad_u64_u32 v[1:2], null, 0xff, s2, v[0:1]
	v_lshrrev_b32_e32 v47, 5, v0
	s_mov_b32 s3, exec_lo
	s_delay_alu instid0(VALU_DEP_1) | instskip(NEXT) | instid1(VALU_DEP_3)
	v_add_lshl_u32 v47, v47, v0, 2
	v_mul_lo_u32 v27, v1, 15
	s_delay_alu instid0(VALU_DEP_1) | instskip(NEXT) | instid1(VALU_DEP_1)
	v_dual_mov_b32 v28, 0 :: v_dual_add_nc_u32 v1, 1, v27
	v_dual_mov_b32 v2, v28 :: v_dual_add_nc_u32 v3, 2, v27
	v_lshlrev_b64 v[9:10], 2, v[27:28]
	v_dual_mov_b32 v4, v28 :: v_dual_add_nc_u32 v5, 3, v27
	s_delay_alu instid0(VALU_DEP_3) | instskip(SKIP_1) | instid1(VALU_DEP_3)
	v_lshlrev_b64 v[11:12], 2, v[1:2]
	v_dual_mov_b32 v6, v28 :: v_dual_add_nc_u32 v7, 4, v27
	v_lshlrev_b64 v[13:14], 2, v[3:4]
	s_waitcnt lgkmcnt(0)
	v_add_co_u32 v1, vcc_lo, s4, v9
	v_mov_b32_e32 v8, v28
	v_add_co_ci_u32_e32 v2, vcc_lo, s5, v10, vcc_lo
	v_lshlrev_b64 v[15:16], 2, v[5:6]
	v_add_co_u32 v3, vcc_lo, s4, v11
	v_add_nc_u32_e32 v11, 5, v27
	v_add_co_ci_u32_e32 v4, vcc_lo, s5, v12, vcc_lo
	v_lshlrev_b64 v[17:18], 2, v[7:8]
	v_add_co_u32 v5, vcc_lo, s4, v13
	v_add_co_ci_u32_e32 v6, vcc_lo, s5, v14, vcc_lo
	v_add_co_u32 v7, vcc_lo, s4, v15
	v_add_co_ci_u32_e32 v8, vcc_lo, s5, v16, vcc_lo
	v_add_co_u32 v9, vcc_lo, s4, v17
	v_dual_mov_b32 v12, v28 :: v_dual_add_nc_u32 v13, 6, v27
	v_add_co_ci_u32_e32 v10, vcc_lo, s5, v18, vcc_lo
	s_clause 0x4
	global_load_b32 v31, v[1:2], off
	global_load_b32 v32, v[3:4], off
	global_load_b32 v33, v[5:6], off
	global_load_b32 v34, v[7:8], off
	global_load_b32 v35, v[9:10], off
	v_dual_mov_b32 v14, v28 :: v_dual_add_nc_u32 v15, 7, v27
	v_lshlrev_b64 v[11:12], 2, v[11:12]
	v_dual_mov_b32 v16, v28 :: v_dual_add_nc_u32 v17, 8, v27
	s_delay_alu instid0(VALU_DEP_3) | instskip(SKIP_1) | instid1(VALU_DEP_4)
	v_lshlrev_b64 v[13:14], 2, v[13:14]
	v_dual_mov_b32 v18, v28 :: v_dual_add_nc_u32 v19, 9, v27
	v_add_co_u32 v11, vcc_lo, s4, v11
	s_delay_alu instid0(VALU_DEP_4)
	v_lshlrev_b64 v[15:16], 2, v[15:16]
	v_add_co_ci_u32_e32 v12, vcc_lo, s5, v12, vcc_lo
	v_add_co_u32 v13, vcc_lo, s4, v13
	v_add_co_ci_u32_e32 v14, vcc_lo, s5, v14, vcc_lo
	v_dual_mov_b32 v20, v28 :: v_dual_add_nc_u32 v21, 10, v27
	v_add_co_u32 v15, vcc_lo, s4, v15
	global_load_b32 v36, v[11:12], off
	v_lshlrev_b64 v[17:18], 2, v[17:18]
	v_add_co_ci_u32_e32 v16, vcc_lo, s5, v16, vcc_lo
	v_lshlrev_b64 v[19:20], 2, v[19:20]
	s_clause 0x1
	global_load_b32 v37, v[13:14], off
	global_load_b32 v38, v[15:16], off
	v_add_co_u32 v17, vcc_lo, s4, v17
	v_dual_mov_b32 v22, v28 :: v_dual_add_nc_u32 v23, 11, v27
	v_add_co_ci_u32_e32 v18, vcc_lo, s5, v18, vcc_lo
	v_add_co_u32 v19, vcc_lo, s4, v19
	v_dual_mov_b32 v24, v28 :: v_dual_add_nc_u32 v25, 12, v27
	v_add_co_ci_u32_e32 v20, vcc_lo, s5, v20, vcc_lo
	v_lshlrev_b64 v[21:22], 2, v[21:22]
	v_dual_mov_b32 v26, v28 :: v_dual_add_nc_u32 v29, 13, v27
	s_clause 0x1
	global_load_b32 v39, v[17:18], off
	global_load_b32 v40, v[19:20], off
	v_lshlrev_b64 v[23:24], 2, v[23:24]
	v_dual_mov_b32 v30, v28 :: v_dual_add_nc_u32 v27, 14, v27
	v_add_co_u32 v21, vcc_lo, s4, v21
	v_lshlrev_b64 v[25:26], 2, v[25:26]
	v_add_co_ci_u32_e32 v22, vcc_lo, s5, v22, vcc_lo
	v_add_co_u32 v23, vcc_lo, s4, v23
	v_add_co_ci_u32_e32 v24, vcc_lo, s5, v24, vcc_lo
	s_delay_alu instid0(VALU_DEP_4)
	v_add_co_u32 v25, vcc_lo, s4, v25
	global_load_b32 v41, v[21:22], off
	v_lshlrev_b64 v[29:30], 2, v[29:30]
	v_add_co_ci_u32_e32 v26, vcc_lo, s5, v26, vcc_lo
	v_lshlrev_b64 v[45:46], 2, v[27:28]
	s_clause 0x1
	global_load_b32 v43, v[23:24], off
	global_load_b32 v44, v[25:26], off
	v_add_co_u32 v27, vcc_lo, s4, v29
	v_add_co_ci_u32_e32 v28, vcc_lo, s5, v30, vcc_lo
	v_add_co_u32 v29, vcc_lo, s4, v45
	v_add_co_ci_u32_e32 v30, vcc_lo, s5, v46, vcc_lo
	s_clause 0x1
	global_load_b32 v42, v[27:28], off
	global_load_b32 v45, v[29:30], off
	s_waitcnt vmcnt(13)
	v_add_f32_e32 v46, v31, v32
	s_waitcnt vmcnt(12)
	s_delay_alu instid0(VALU_DEP_1) | instskip(SKIP_1) | instid1(VALU_DEP_1)
	v_add_f32_e32 v46, v33, v46
	s_waitcnt vmcnt(11)
	v_add_f32_e32 v46, v34, v46
	s_waitcnt vmcnt(10)
	s_delay_alu instid0(VALU_DEP_1) | instskip(SKIP_1) | instid1(VALU_DEP_1)
	v_add_f32_e32 v46, v35, v46
	;; [unrolled: 5-line block ×6, first 2 shown]
	s_waitcnt vmcnt(1)
	v_add_f32_e32 v46, v42, v46
	s_waitcnt vmcnt(0)
	s_delay_alu instid0(VALU_DEP_1)
	v_add_f32_e32 v45, v45, v46
	ds_store_b32 v47, v45
	s_waitcnt lgkmcnt(0)
	s_barrier
	buffer_gl0_inv
	v_cmpx_gt_u32_e32 32, v0
	s_cbranch_execz .LBB250_2
; %bb.1:
	v_and_b32_e32 v46, 0xfc, v0
	v_mbcnt_lo_u32_b32 v56, -1, 0
	s_delay_alu instid0(VALU_DEP_2)
	v_lshl_or_b32 v54, v0, 5, v46
	ds_load_2addr_b32 v[46:47], v54 offset1:1
	ds_load_2addr_b32 v[48:49], v54 offset0:2 offset1:3
	ds_load_2addr_b32 v[50:51], v54 offset0:4 offset1:5
	;; [unrolled: 1-line block ×3, first 2 shown]
	v_and_b32_e32 v59, 16, v56
	v_and_b32_e32 v58, 15, v56
	s_delay_alu instid0(VALU_DEP_1) | instskip(SKIP_3) | instid1(VALU_DEP_1)
	v_cmp_eq_u32_e32 vcc_lo, 0, v58
	s_waitcnt lgkmcnt(3)
	v_add_f32_e32 v55, v46, v47
	s_waitcnt lgkmcnt(2)
	v_add_f32_e32 v55, v55, v48
	s_delay_alu instid0(VALU_DEP_1) | instskip(SKIP_1) | instid1(VALU_DEP_1)
	v_add_f32_e32 v55, v55, v49
	s_waitcnt lgkmcnt(1)
	v_add_f32_e32 v55, v55, v50
	s_delay_alu instid0(VALU_DEP_1) | instskip(SKIP_1) | instid1(VALU_DEP_1)
	v_add_f32_e32 v55, v55, v51
	s_waitcnt lgkmcnt(0)
	v_add_f32_e32 v55, v55, v52
	s_delay_alu instid0(VALU_DEP_1) | instskip(NEXT) | instid1(VALU_DEP_1)
	v_add_f32_e32 v55, v55, v53
	v_mov_b32_dpp v57, v55 row_shr:1 row_mask:0xf bank_mask:0xf
	s_delay_alu instid0(VALU_DEP_1) | instskip(NEXT) | instid1(VALU_DEP_1)
	v_add_f32_e32 v57, v55, v57
	v_cndmask_b32_e32 v55, v57, v55, vcc_lo
	v_cmp_lt_u32_e32 vcc_lo, 1, v58
	s_delay_alu instid0(VALU_DEP_2) | instskip(NEXT) | instid1(VALU_DEP_1)
	v_mov_b32_dpp v57, v55 row_shr:2 row_mask:0xf bank_mask:0xf
	v_add_f32_e32 v57, v55, v57
	s_delay_alu instid0(VALU_DEP_1) | instskip(SKIP_1) | instid1(VALU_DEP_2)
	v_cndmask_b32_e32 v55, v55, v57, vcc_lo
	v_cmp_lt_u32_e32 vcc_lo, 3, v58
	v_mov_b32_dpp v57, v55 row_shr:4 row_mask:0xf bank_mask:0xf
	s_delay_alu instid0(VALU_DEP_1) | instskip(NEXT) | instid1(VALU_DEP_1)
	v_add_f32_e32 v57, v55, v57
	v_cndmask_b32_e32 v55, v55, v57, vcc_lo
	v_cmp_lt_u32_e32 vcc_lo, 7, v58
	v_add_nc_u32_e32 v58, -1, v56
	s_delay_alu instid0(VALU_DEP_3) | instskip(NEXT) | instid1(VALU_DEP_1)
	v_mov_b32_dpp v57, v55 row_shr:8 row_mask:0xf bank_mask:0xf
	v_add_f32_e32 v57, v55, v57
	s_delay_alu instid0(VALU_DEP_1) | instskip(NEXT) | instid1(VALU_DEP_4)
	v_cndmask_b32_e32 v55, v55, v57, vcc_lo
	v_cmp_gt_i32_e32 vcc_lo, 0, v58
	ds_swizzle_b32 v57, v55 offset:swizzle(BROADCAST,32,15)
	v_cndmask_b32_e32 v56, v58, v56, vcc_lo
	v_cmp_eq_u32_e32 vcc_lo, 0, v59
	s_waitcnt lgkmcnt(0)
	s_delay_alu instid0(VALU_DEP_2) | instskip(NEXT) | instid1(VALU_DEP_1)
	v_dual_add_f32 v57, v55, v57 :: v_dual_lshlrev_b32 v56, 2, v56
	v_cndmask_b32_e32 v55, v57, v55, vcc_lo
	v_cmp_eq_u32_e32 vcc_lo, 0, v0
	ds_bpermute_b32 v55, v56, v55
	s_waitcnt lgkmcnt(0)
	v_add_f32_e32 v46, v46, v55
	s_delay_alu instid0(VALU_DEP_1) | instskip(NEXT) | instid1(VALU_DEP_1)
	v_cndmask_b32_e32 v45, v46, v45, vcc_lo
	v_add_f32_e32 v46, v47, v45
	s_delay_alu instid0(VALU_DEP_1) | instskip(NEXT) | instid1(VALU_DEP_1)
	v_add_f32_e32 v47, v48, v46
	v_add_f32_e32 v48, v49, v47
	s_delay_alu instid0(VALU_DEP_1) | instskip(NEXT) | instid1(VALU_DEP_1)
	v_add_f32_e32 v49, v50, v48
	;; [unrolled: 3-line block ×3, first 2 shown]
	v_add_f32_e32 v52, v53, v51
	ds_store_2addr_b32 v54, v45, v46 offset1:1
	ds_store_2addr_b32 v54, v47, v48 offset0:2 offset1:3
	ds_store_2addr_b32 v54, v49, v50 offset0:4 offset1:5
	;; [unrolled: 1-line block ×3, first 2 shown]
.LBB250_2:
	s_or_b32 exec_lo, exec_lo, s3
	s_load_b32 s1, s[0:1], 0x10
	v_cmp_eq_u32_e32 vcc_lo, 0, v0
	s_mov_b32 s3, exec_lo
	s_waitcnt lgkmcnt(0)
	s_barrier
	buffer_gl0_inv
	v_mov_b32_e32 v45, s1
	v_cmpx_ne_u32_e32 0, v0
	s_cbranch_execz .LBB250_4
; %bb.3:
	v_add_nc_u32_e32 v0, -1, v0
	s_delay_alu instid0(VALU_DEP_1) | instskip(NEXT) | instid1(VALU_DEP_1)
	v_lshrrev_b32_e32 v45, 5, v0
	v_add_lshl_u32 v0, v45, v0, 2
	ds_load_b32 v0, v0
	s_waitcnt lgkmcnt(0)
	v_add_f32_e32 v45, s1, v0
.LBB250_4:
	s_or_b32 exec_lo, exec_lo, s3
	s_delay_alu instid0(VALU_DEP_1) | instskip(NEXT) | instid1(VALU_DEP_1)
	v_add_f32_e32 v0, v31, v45
	v_add_f32_e32 v31, v32, v0
	s_delay_alu instid0(VALU_DEP_1) | instskip(NEXT) | instid1(VALU_DEP_1)
	v_add_f32_e32 v32, v33, v31
	v_add_f32_e32 v33, v34, v32
	;; [unrolled: 3-line block ×5, first 2 shown]
	s_clause 0x7
	global_store_b32 v[1:2], v45, off
	global_store_b32 v[3:4], v0, off
	global_store_b32 v[5:6], v31, off
	global_store_b32 v[7:8], v32, off
	global_store_b32 v[9:10], v33, off
	global_store_b32 v[11:12], v34, off
	global_store_b32 v[13:14], v35, off
	global_store_b32 v[15:16], v36, off
	v_add_f32_e32 v40, v41, v39
	s_delay_alu instid0(VALU_DEP_1) | instskip(NEXT) | instid1(VALU_DEP_1)
	v_add_f32_e32 v41, v43, v40
	v_add_f32_e32 v43, v44, v41
	s_delay_alu instid0(VALU_DEP_1)
	v_add_f32_e32 v0, v42, v43
	s_clause 0x6
	global_store_b32 v[17:18], v37, off
	global_store_b32 v[19:20], v38, off
	;; [unrolled: 1-line block ×7, first 2 shown]
	s_and_saveexec_b32 s0, vcc_lo
	s_cbranch_execz .LBB250_6
; %bb.5:
	v_mov_b32_e32 v0, 0
	s_mov_b32 s3, 0
	s_delay_alu instid0(SALU_CYCLE_1) | instskip(NEXT) | instid1(SALU_CYCLE_1)
	s_lshl_b64 s[0:1], s[2:3], 2
	s_add_u32 s0, s6, s0
	ds_load_b32 v1, v0 offset:1044
	s_addc_u32 s1, s7, s1
	s_waitcnt lgkmcnt(0)
	global_store_b32 v0, v1, s[0:1]
.LBB250_6:
	s_nop 0
	s_sendmsg sendmsg(MSG_DEALLOC_VGPRS)
	s_endpgm
	.section	.rodata,"a",@progbits
	.p2align	6, 0x0
	.amdhsa_kernel _Z34exclusive_scan_reduce_array_kernelILj255ELj15ELN6hipcub18BlockScanAlgorithmE1EfEvPT2_S3_S2_
		.amdhsa_group_segment_fixed_size 1056
		.amdhsa_private_segment_fixed_size 0
		.amdhsa_kernarg_size 20
		.amdhsa_user_sgpr_count 15
		.amdhsa_user_sgpr_dispatch_ptr 0
		.amdhsa_user_sgpr_queue_ptr 0
		.amdhsa_user_sgpr_kernarg_segment_ptr 1
		.amdhsa_user_sgpr_dispatch_id 0
		.amdhsa_user_sgpr_private_segment_size 0
		.amdhsa_wavefront_size32 1
		.amdhsa_uses_dynamic_stack 0
		.amdhsa_enable_private_segment 0
		.amdhsa_system_sgpr_workgroup_id_x 1
		.amdhsa_system_sgpr_workgroup_id_y 0
		.amdhsa_system_sgpr_workgroup_id_z 0
		.amdhsa_system_sgpr_workgroup_info 0
		.amdhsa_system_vgpr_workitem_id 0
		.amdhsa_next_free_vgpr 60
		.amdhsa_next_free_sgpr 16
		.amdhsa_reserve_vcc 1
		.amdhsa_float_round_mode_32 0
		.amdhsa_float_round_mode_16_64 0
		.amdhsa_float_denorm_mode_32 3
		.amdhsa_float_denorm_mode_16_64 3
		.amdhsa_dx10_clamp 1
		.amdhsa_ieee_mode 1
		.amdhsa_fp16_overflow 0
		.amdhsa_workgroup_processor_mode 1
		.amdhsa_memory_ordered 1
		.amdhsa_forward_progress 0
		.amdhsa_shared_vgpr_count 0
		.amdhsa_exception_fp_ieee_invalid_op 0
		.amdhsa_exception_fp_denorm_src 0
		.amdhsa_exception_fp_ieee_div_zero 0
		.amdhsa_exception_fp_ieee_overflow 0
		.amdhsa_exception_fp_ieee_underflow 0
		.amdhsa_exception_fp_ieee_inexact 0
		.amdhsa_exception_int_div_zero 0
	.end_amdhsa_kernel
	.section	.text._Z34exclusive_scan_reduce_array_kernelILj255ELj15ELN6hipcub18BlockScanAlgorithmE1EfEvPT2_S3_S2_,"axG",@progbits,_Z34exclusive_scan_reduce_array_kernelILj255ELj15ELN6hipcub18BlockScanAlgorithmE1EfEvPT2_S3_S2_,comdat
.Lfunc_end250:
	.size	_Z34exclusive_scan_reduce_array_kernelILj255ELj15ELN6hipcub18BlockScanAlgorithmE1EfEvPT2_S3_S2_, .Lfunc_end250-_Z34exclusive_scan_reduce_array_kernelILj255ELj15ELN6hipcub18BlockScanAlgorithmE1EfEvPT2_S3_S2_
                                        ; -- End function
	.section	.AMDGPU.csdata,"",@progbits
; Kernel info:
; codeLenInByte = 1540
; NumSgprs: 18
; NumVgprs: 60
; ScratchSize: 0
; MemoryBound: 0
; FloatMode: 240
; IeeeMode: 1
; LDSByteSize: 1056 bytes/workgroup (compile time only)
; SGPRBlocks: 2
; VGPRBlocks: 7
; NumSGPRsForWavesPerEU: 18
; NumVGPRsForWavesPerEU: 60
; Occupancy: 16
; WaveLimiterHint : 0
; COMPUTE_PGM_RSRC2:SCRATCH_EN: 0
; COMPUTE_PGM_RSRC2:USER_SGPR: 15
; COMPUTE_PGM_RSRC2:TRAP_HANDLER: 0
; COMPUTE_PGM_RSRC2:TGID_X_EN: 1
; COMPUTE_PGM_RSRC2:TGID_Y_EN: 0
; COMPUTE_PGM_RSRC2:TGID_Z_EN: 0
; COMPUTE_PGM_RSRC2:TIDIG_COMP_CNT: 0
	.section	.text._Z34exclusive_scan_reduce_array_kernelILj162ELj7ELN6hipcub18BlockScanAlgorithmE1EfEvPT2_S3_S2_,"axG",@progbits,_Z34exclusive_scan_reduce_array_kernelILj162ELj7ELN6hipcub18BlockScanAlgorithmE1EfEvPT2_S3_S2_,comdat
	.protected	_Z34exclusive_scan_reduce_array_kernelILj162ELj7ELN6hipcub18BlockScanAlgorithmE1EfEvPT2_S3_S2_ ; -- Begin function _Z34exclusive_scan_reduce_array_kernelILj162ELj7ELN6hipcub18BlockScanAlgorithmE1EfEvPT2_S3_S2_
	.globl	_Z34exclusive_scan_reduce_array_kernelILj162ELj7ELN6hipcub18BlockScanAlgorithmE1EfEvPT2_S3_S2_
	.p2align	8
	.type	_Z34exclusive_scan_reduce_array_kernelILj162ELj7ELN6hipcub18BlockScanAlgorithmE1EfEvPT2_S3_S2_,@function
_Z34exclusive_scan_reduce_array_kernelILj162ELj7ELN6hipcub18BlockScanAlgorithmE1EfEvPT2_S3_S2_: ; @_Z34exclusive_scan_reduce_array_kernelILj162ELj7ELN6hipcub18BlockScanAlgorithmE1EfEvPT2_S3_S2_
; %bb.0:
	s_mov_b32 s2, s15
	s_load_b128 s[4:7], s[0:1], 0x0
	v_mad_u64_u32 v[1:2], null, 0xa2, s2, v[0:1]
	s_mov_b32 s3, exec_lo
	s_delay_alu instid0(VALU_DEP_1) | instskip(NEXT) | instid1(VALU_DEP_1)
	v_mul_lo_u32 v11, v1, 7
	v_dual_mov_b32 v12, 0 :: v_dual_add_nc_u32 v1, 1, v11
	s_delay_alu instid0(VALU_DEP_1) | instskip(SKIP_2) | instid1(VALU_DEP_3)
	v_dual_mov_b32 v2, v12 :: v_dual_add_nc_u32 v3, 2, v11
	v_lshlrev_b64 v[9:10], 2, v[11:12]
	v_dual_mov_b32 v4, v12 :: v_dual_add_nc_u32 v5, 3, v11
	v_lshlrev_b64 v[13:14], 2, v[1:2]
	v_dual_mov_b32 v6, v12 :: v_dual_add_nc_u32 v7, 4, v11
	s_waitcnt lgkmcnt(0)
	s_delay_alu instid0(VALU_DEP_4)
	v_add_co_u32 v1, vcc_lo, s4, v9
	v_lshlrev_b64 v[15:16], 2, v[3:4]
	v_add_co_ci_u32_e32 v2, vcc_lo, s5, v10, vcc_lo
	v_mov_b32_e32 v8, v12
	v_add_co_u32 v3, vcc_lo, s4, v13
	v_add_nc_u32_e32 v13, 5, v11
	v_lshlrev_b64 v[17:18], 2, v[5:6]
	v_add_co_ci_u32_e32 v4, vcc_lo, s5, v14, vcc_lo
	v_add_co_u32 v5, vcc_lo, s4, v15
	v_lshlrev_b64 v[19:20], 2, v[7:8]
	v_add_co_ci_u32_e32 v6, vcc_lo, s5, v16, vcc_lo
	s_clause 0x1
	global_load_b32 v15, v[1:2], off
	global_load_b32 v16, v[3:4], off
	v_dual_mov_b32 v14, v12 :: v_dual_add_nc_u32 v11, 6, v11
	v_add_co_u32 v7, vcc_lo, s4, v17
	v_add_co_ci_u32_e32 v8, vcc_lo, s5, v18, vcc_lo
	v_add_co_u32 v9, vcc_lo, s4, v19
	global_load_b32 v17, v[5:6], off
	v_lshlrev_b64 v[13:14], 2, v[13:14]
	v_add_co_ci_u32_e32 v10, vcc_lo, s5, v20, vcc_lo
	v_lshlrev_b64 v[20:21], 2, v[11:12]
	s_clause 0x1
	global_load_b32 v18, v[7:8], off
	global_load_b32 v19, v[9:10], off
	v_add_co_u32 v11, vcc_lo, s4, v13
	v_add_co_ci_u32_e32 v12, vcc_lo, s5, v14, vcc_lo
	v_add_co_u32 v13, vcc_lo, s4, v20
	v_add_co_ci_u32_e32 v14, vcc_lo, s5, v21, vcc_lo
	s_clause 0x1
	global_load_b32 v20, v[11:12], off
	global_load_b32 v22, v[13:14], off
	s_waitcnt vmcnt(5)
	v_add_f32_e32 v21, v15, v16
	s_waitcnt vmcnt(4)
	s_delay_alu instid0(VALU_DEP_1) | instskip(SKIP_1) | instid1(VALU_DEP_1)
	v_add_f32_e32 v21, v17, v21
	s_waitcnt vmcnt(3)
	v_add_f32_e32 v21, v18, v21
	s_waitcnt vmcnt(2)
	s_delay_alu instid0(VALU_DEP_1) | instskip(SKIP_1) | instid1(VALU_DEP_1)
	v_add_f32_e32 v21, v19, v21
	s_waitcnt vmcnt(1)
	v_add_f32_e32 v23, v20, v21
	s_waitcnt vmcnt(0)
	s_delay_alu instid0(VALU_DEP_1)
	v_dual_add_f32 v22, v22, v23 :: v_dual_lshlrev_b32 v21, 2, v0
	ds_store_b32 v21, v22
	s_waitcnt lgkmcnt(0)
	s_barrier
	buffer_gl0_inv
	v_cmpx_gt_u32_e32 32, v0
	s_cbranch_execz .LBB251_2
; %bb.1:
	v_mul_u32_u24_e32 v23, 6, v0
	v_mbcnt_lo_u32_b32 v31, -1, 0
	s_delay_alu instid0(VALU_DEP_2) | instskip(NEXT) | instid1(VALU_DEP_2)
	v_lshlrev_b32_e32 v29, 2, v23
	v_and_b32_e32 v34, 16, v31
	ds_load_2addr_b32 v[23:24], v29 offset1:1
	ds_load_2addr_b32 v[25:26], v29 offset0:2 offset1:3
	ds_load_2addr_b32 v[27:28], v29 offset0:4 offset1:5
	v_and_b32_e32 v33, 15, v31
	s_delay_alu instid0(VALU_DEP_1) | instskip(SKIP_3) | instid1(VALU_DEP_1)
	v_cmp_eq_u32_e32 vcc_lo, 0, v33
	s_waitcnt lgkmcnt(2)
	v_add_f32_e32 v30, v23, v24
	s_waitcnt lgkmcnt(1)
	v_add_f32_e32 v30, v30, v25
	s_delay_alu instid0(VALU_DEP_1) | instskip(SKIP_1) | instid1(VALU_DEP_1)
	v_add_f32_e32 v30, v30, v26
	s_waitcnt lgkmcnt(0)
	v_add_f32_e32 v30, v30, v27
	s_delay_alu instid0(VALU_DEP_1) | instskip(NEXT) | instid1(VALU_DEP_1)
	v_add_f32_e32 v30, v30, v28
	v_mov_b32_dpp v32, v30 row_shr:1 row_mask:0xf bank_mask:0xf
	s_delay_alu instid0(VALU_DEP_1) | instskip(NEXT) | instid1(VALU_DEP_1)
	v_add_f32_e32 v32, v30, v32
	v_cndmask_b32_e32 v30, v32, v30, vcc_lo
	v_cmp_lt_u32_e32 vcc_lo, 1, v33
	s_delay_alu instid0(VALU_DEP_2) | instskip(NEXT) | instid1(VALU_DEP_1)
	v_mov_b32_dpp v32, v30 row_shr:2 row_mask:0xf bank_mask:0xf
	v_add_f32_e32 v32, v30, v32
	s_delay_alu instid0(VALU_DEP_1) | instskip(SKIP_1) | instid1(VALU_DEP_2)
	v_cndmask_b32_e32 v30, v30, v32, vcc_lo
	v_cmp_lt_u32_e32 vcc_lo, 3, v33
	v_mov_b32_dpp v32, v30 row_shr:4 row_mask:0xf bank_mask:0xf
	s_delay_alu instid0(VALU_DEP_1) | instskip(NEXT) | instid1(VALU_DEP_1)
	v_add_f32_e32 v32, v30, v32
	v_cndmask_b32_e32 v30, v30, v32, vcc_lo
	v_cmp_lt_u32_e32 vcc_lo, 7, v33
	v_add_nc_u32_e32 v33, -1, v31
	s_delay_alu instid0(VALU_DEP_3) | instskip(NEXT) | instid1(VALU_DEP_1)
	v_mov_b32_dpp v32, v30 row_shr:8 row_mask:0xf bank_mask:0xf
	v_add_f32_e32 v32, v30, v32
	s_delay_alu instid0(VALU_DEP_1) | instskip(NEXT) | instid1(VALU_DEP_4)
	v_cndmask_b32_e32 v30, v30, v32, vcc_lo
	v_cmp_gt_i32_e32 vcc_lo, 0, v33
	ds_swizzle_b32 v32, v30 offset:swizzle(BROADCAST,32,15)
	v_cndmask_b32_e32 v31, v33, v31, vcc_lo
	v_cmp_eq_u32_e32 vcc_lo, 0, v34
	s_waitcnt lgkmcnt(0)
	s_delay_alu instid0(VALU_DEP_2) | instskip(NEXT) | instid1(VALU_DEP_1)
	v_dual_add_f32 v32, v30, v32 :: v_dual_lshlrev_b32 v31, 2, v31
	v_cndmask_b32_e32 v30, v32, v30, vcc_lo
	v_cmp_eq_u32_e32 vcc_lo, 0, v0
	ds_bpermute_b32 v30, v31, v30
	s_waitcnt lgkmcnt(0)
	v_add_f32_e32 v23, v23, v30
	s_delay_alu instid0(VALU_DEP_1) | instskip(NEXT) | instid1(VALU_DEP_1)
	v_cndmask_b32_e32 v22, v23, v22, vcc_lo
	v_add_f32_e32 v23, v24, v22
	s_delay_alu instid0(VALU_DEP_1) | instskip(NEXT) | instid1(VALU_DEP_1)
	v_add_f32_e32 v24, v25, v23
	v_add_f32_e32 v25, v26, v24
	s_delay_alu instid0(VALU_DEP_1) | instskip(NEXT) | instid1(VALU_DEP_1)
	v_add_f32_e32 v26, v27, v25
	v_add_f32_e32 v27, v28, v26
	ds_store_2addr_b32 v29, v22, v23 offset1:1
	ds_store_2addr_b32 v29, v24, v25 offset0:2 offset1:3
	ds_store_2addr_b32 v29, v26, v27 offset0:4 offset1:5
.LBB251_2:
	s_or_b32 exec_lo, exec_lo, s3
	s_load_b32 s1, s[0:1], 0x10
	v_cmp_eq_u32_e32 vcc_lo, 0, v0
	v_cmp_ne_u32_e64 s0, 0, v0
	s_waitcnt lgkmcnt(0)
	s_barrier
	buffer_gl0_inv
	v_mov_b32_e32 v0, s1
	s_and_saveexec_b32 s3, s0
	s_cbranch_execz .LBB251_4
; %bb.3:
	v_add_nc_u32_e32 v0, -4, v21
	ds_load_b32 v0, v0
	s_waitcnt lgkmcnt(0)
	v_add_f32_e32 v0, s1, v0
.LBB251_4:
	s_or_b32 exec_lo, exec_lo, s3
	s_delay_alu instid0(VALU_DEP_1) | instskip(NEXT) | instid1(VALU_DEP_1)
	v_add_f32_e32 v15, v15, v0
	v_add_f32_e32 v16, v16, v15
	s_delay_alu instid0(VALU_DEP_1) | instskip(NEXT) | instid1(VALU_DEP_1)
	v_add_f32_e32 v17, v17, v16
	v_add_f32_e32 v18, v18, v17
	;; [unrolled: 3-line block ×3, first 2 shown]
	s_clause 0x6
	global_store_b32 v[1:2], v0, off
	global_store_b32 v[3:4], v15, off
	;; [unrolled: 1-line block ×7, first 2 shown]
	s_and_saveexec_b32 s0, vcc_lo
	s_cbranch_execz .LBB251_6
; %bb.5:
	v_mov_b32_e32 v0, 0
	s_mov_b32 s3, 0
	s_delay_alu instid0(SALU_CYCLE_1) | instskip(NEXT) | instid1(SALU_CYCLE_1)
	s_lshl_b64 s[0:1], s[2:3], 2
	s_add_u32 s0, s6, s0
	ds_load_b32 v1, v0 offset:644
	s_addc_u32 s1, s7, s1
	s_waitcnt lgkmcnt(0)
	global_store_b32 v0, v1, s[0:1]
.LBB251_6:
	s_nop 0
	s_sendmsg sendmsg(MSG_DEALLOC_VGPRS)
	s_endpgm
	.section	.rodata,"a",@progbits
	.p2align	6, 0x0
	.amdhsa_kernel _Z34exclusive_scan_reduce_array_kernelILj162ELj7ELN6hipcub18BlockScanAlgorithmE1EfEvPT2_S3_S2_
		.amdhsa_group_segment_fixed_size 768
		.amdhsa_private_segment_fixed_size 0
		.amdhsa_kernarg_size 20
		.amdhsa_user_sgpr_count 15
		.amdhsa_user_sgpr_dispatch_ptr 0
		.amdhsa_user_sgpr_queue_ptr 0
		.amdhsa_user_sgpr_kernarg_segment_ptr 1
		.amdhsa_user_sgpr_dispatch_id 0
		.amdhsa_user_sgpr_private_segment_size 0
		.amdhsa_wavefront_size32 1
		.amdhsa_uses_dynamic_stack 0
		.amdhsa_enable_private_segment 0
		.amdhsa_system_sgpr_workgroup_id_x 1
		.amdhsa_system_sgpr_workgroup_id_y 0
		.amdhsa_system_sgpr_workgroup_id_z 0
		.amdhsa_system_sgpr_workgroup_info 0
		.amdhsa_system_vgpr_workitem_id 0
		.amdhsa_next_free_vgpr 35
		.amdhsa_next_free_sgpr 16
		.amdhsa_reserve_vcc 1
		.amdhsa_float_round_mode_32 0
		.amdhsa_float_round_mode_16_64 0
		.amdhsa_float_denorm_mode_32 3
		.amdhsa_float_denorm_mode_16_64 3
		.amdhsa_dx10_clamp 1
		.amdhsa_ieee_mode 1
		.amdhsa_fp16_overflow 0
		.amdhsa_workgroup_processor_mode 1
		.amdhsa_memory_ordered 1
		.amdhsa_forward_progress 0
		.amdhsa_shared_vgpr_count 0
		.amdhsa_exception_fp_ieee_invalid_op 0
		.amdhsa_exception_fp_denorm_src 0
		.amdhsa_exception_fp_ieee_div_zero 0
		.amdhsa_exception_fp_ieee_overflow 0
		.amdhsa_exception_fp_ieee_underflow 0
		.amdhsa_exception_fp_ieee_inexact 0
		.amdhsa_exception_int_div_zero 0
	.end_amdhsa_kernel
	.section	.text._Z34exclusive_scan_reduce_array_kernelILj162ELj7ELN6hipcub18BlockScanAlgorithmE1EfEvPT2_S3_S2_,"axG",@progbits,_Z34exclusive_scan_reduce_array_kernelILj162ELj7ELN6hipcub18BlockScanAlgorithmE1EfEvPT2_S3_S2_,comdat
.Lfunc_end251:
	.size	_Z34exclusive_scan_reduce_array_kernelILj162ELj7ELN6hipcub18BlockScanAlgorithmE1EfEvPT2_S3_S2_, .Lfunc_end251-_Z34exclusive_scan_reduce_array_kernelILj162ELj7ELN6hipcub18BlockScanAlgorithmE1EfEvPT2_S3_S2_
                                        ; -- End function
	.section	.AMDGPU.csdata,"",@progbits
; Kernel info:
; codeLenInByte = 964
; NumSgprs: 18
; NumVgprs: 35
; ScratchSize: 0
; MemoryBound: 0
; FloatMode: 240
; IeeeMode: 1
; LDSByteSize: 768 bytes/workgroup (compile time only)
; SGPRBlocks: 2
; VGPRBlocks: 4
; NumSGPRsForWavesPerEU: 18
; NumVGPRsForWavesPerEU: 35
; Occupancy: 15
; WaveLimiterHint : 0
; COMPUTE_PGM_RSRC2:SCRATCH_EN: 0
; COMPUTE_PGM_RSRC2:USER_SGPR: 15
; COMPUTE_PGM_RSRC2:TRAP_HANDLER: 0
; COMPUTE_PGM_RSRC2:TGID_X_EN: 1
; COMPUTE_PGM_RSRC2:TGID_Y_EN: 0
; COMPUTE_PGM_RSRC2:TGID_Z_EN: 0
; COMPUTE_PGM_RSRC2:TIDIG_COMP_CNT: 0
	.section	.text._Z34exclusive_scan_reduce_array_kernelILj65ELj5ELN6hipcub18BlockScanAlgorithmE1EfEvPT2_S3_S2_,"axG",@progbits,_Z34exclusive_scan_reduce_array_kernelILj65ELj5ELN6hipcub18BlockScanAlgorithmE1EfEvPT2_S3_S2_,comdat
	.protected	_Z34exclusive_scan_reduce_array_kernelILj65ELj5ELN6hipcub18BlockScanAlgorithmE1EfEvPT2_S3_S2_ ; -- Begin function _Z34exclusive_scan_reduce_array_kernelILj65ELj5ELN6hipcub18BlockScanAlgorithmE1EfEvPT2_S3_S2_
	.globl	_Z34exclusive_scan_reduce_array_kernelILj65ELj5ELN6hipcub18BlockScanAlgorithmE1EfEvPT2_S3_S2_
	.p2align	8
	.type	_Z34exclusive_scan_reduce_array_kernelILj65ELj5ELN6hipcub18BlockScanAlgorithmE1EfEvPT2_S3_S2_,@function
_Z34exclusive_scan_reduce_array_kernelILj65ELj5ELN6hipcub18BlockScanAlgorithmE1EfEvPT2_S3_S2_: ; @_Z34exclusive_scan_reduce_array_kernelILj65ELj5ELN6hipcub18BlockScanAlgorithmE1EfEvPT2_S3_S2_
; %bb.0:
	s_mov_b32 s2, s15
	s_load_b128 s[4:7], s[0:1], 0x0
	v_mad_u64_u32 v[1:2], null, 0x41, s2, v[0:1]
	s_mov_b32 s3, exec_lo
	s_delay_alu instid0(VALU_DEP_1) | instskip(NEXT) | instid1(VALU_DEP_1)
	v_lshl_add_u32 v1, v1, 2, v1
	v_dual_mov_b32 v2, 0 :: v_dual_add_nc_u32 v3, 1, v1
	s_delay_alu instid0(VALU_DEP_1) | instskip(SKIP_3) | instid1(VALU_DEP_4)
	v_dual_mov_b32 v4, v2 :: v_dual_add_nc_u32 v5, 2, v1
	v_lshlrev_b64 v[9:10], 2, v[1:2]
	v_dual_mov_b32 v6, v2 :: v_dual_add_nc_u32 v7, 3, v1
	v_dual_mov_b32 v8, v2 :: v_dual_add_nc_u32 v1, 4, v1
	v_lshlrev_b64 v[3:4], 2, v[3:4]
	s_delay_alu instid0(VALU_DEP_3) | instskip(NEXT) | instid1(VALU_DEP_3)
	v_lshlrev_b64 v[5:6], 2, v[5:6]
	v_lshlrev_b64 v[7:8], 2, v[7:8]
	s_delay_alu instid0(VALU_DEP_4)
	v_lshlrev_b64 v[14:15], 2, v[1:2]
	s_waitcnt lgkmcnt(0)
	v_add_co_u32 v1, vcc_lo, s4, v9
	v_add_co_ci_u32_e32 v2, vcc_lo, s5, v10, vcc_lo
	v_add_co_u32 v3, vcc_lo, s4, v3
	v_add_co_ci_u32_e32 v4, vcc_lo, s5, v4, vcc_lo
	;; [unrolled: 2-line block ×3, first 2 shown]
	s_clause 0x1
	global_load_b32 v11, v[1:2], off
	global_load_b32 v12, v[3:4], off
	v_add_co_u32 v7, vcc_lo, s4, v7
	v_add_co_ci_u32_e32 v8, vcc_lo, s5, v8, vcc_lo
	global_load_b32 v13, v[5:6], off
	v_add_co_u32 v9, vcc_lo, s4, v14
	v_add_co_ci_u32_e32 v10, vcc_lo, s5, v15, vcc_lo
	s_clause 0x1
	global_load_b32 v14, v[7:8], off
	global_load_b32 v16, v[9:10], off
	s_waitcnt vmcnt(3)
	v_add_f32_e32 v15, v11, v12
	s_waitcnt vmcnt(2)
	s_delay_alu instid0(VALU_DEP_1) | instskip(SKIP_1) | instid1(VALU_DEP_1)
	v_add_f32_e32 v15, v13, v15
	s_waitcnt vmcnt(1)
	v_add_f32_e32 v17, v14, v15
	s_waitcnt vmcnt(0)
	s_delay_alu instid0(VALU_DEP_1)
	v_dual_add_f32 v16, v16, v17 :: v_dual_lshlrev_b32 v15, 2, v0
	ds_store_b32 v15, v16
	s_waitcnt lgkmcnt(0)
	s_barrier
	buffer_gl0_inv
	v_cmpx_gt_u32_e32 32, v0
	s_cbranch_execz .LBB252_2
; %bb.1:
	v_mul_u32_u24_e32 v17, 3, v0
	v_mbcnt_lo_u32_b32 v22, -1, 0
	s_delay_alu instid0(VALU_DEP_2) | instskip(NEXT) | instid1(VALU_DEP_2)
	v_lshlrev_b32_e32 v19, 2, v17
	v_and_b32_e32 v25, 16, v22
	ds_load_2addr_b32 v[17:18], v19 offset1:1
	ds_load_b32 v20, v19 offset:8
	v_and_b32_e32 v24, 15, v22
	s_delay_alu instid0(VALU_DEP_1) | instskip(SKIP_3) | instid1(VALU_DEP_1)
	v_cmp_eq_u32_e32 vcc_lo, 0, v24
	s_waitcnt lgkmcnt(1)
	v_add_f32_e32 v21, v17, v18
	s_waitcnt lgkmcnt(0)
	v_add_f32_e32 v21, v21, v20
	s_delay_alu instid0(VALU_DEP_1) | instskip(NEXT) | instid1(VALU_DEP_1)
	v_mov_b32_dpp v23, v21 row_shr:1 row_mask:0xf bank_mask:0xf
	v_add_f32_e32 v23, v21, v23
	s_delay_alu instid0(VALU_DEP_1) | instskip(SKIP_1) | instid1(VALU_DEP_2)
	v_cndmask_b32_e32 v21, v23, v21, vcc_lo
	v_cmp_lt_u32_e32 vcc_lo, 1, v24
	v_mov_b32_dpp v23, v21 row_shr:2 row_mask:0xf bank_mask:0xf
	s_delay_alu instid0(VALU_DEP_1) | instskip(NEXT) | instid1(VALU_DEP_1)
	v_add_f32_e32 v23, v21, v23
	v_cndmask_b32_e32 v21, v21, v23, vcc_lo
	v_cmp_lt_u32_e32 vcc_lo, 3, v24
	s_delay_alu instid0(VALU_DEP_2) | instskip(NEXT) | instid1(VALU_DEP_1)
	v_mov_b32_dpp v23, v21 row_shr:4 row_mask:0xf bank_mask:0xf
	v_add_f32_e32 v23, v21, v23
	s_delay_alu instid0(VALU_DEP_1) | instskip(SKIP_2) | instid1(VALU_DEP_3)
	v_cndmask_b32_e32 v21, v21, v23, vcc_lo
	v_cmp_lt_u32_e32 vcc_lo, 7, v24
	v_add_nc_u32_e32 v24, -1, v22
	v_mov_b32_dpp v23, v21 row_shr:8 row_mask:0xf bank_mask:0xf
	s_delay_alu instid0(VALU_DEP_1) | instskip(NEXT) | instid1(VALU_DEP_1)
	v_add_f32_e32 v23, v21, v23
	v_cndmask_b32_e32 v21, v21, v23, vcc_lo
	s_delay_alu instid0(VALU_DEP_4) | instskip(SKIP_4) | instid1(VALU_DEP_2)
	v_cmp_gt_i32_e32 vcc_lo, 0, v24
	ds_swizzle_b32 v23, v21 offset:swizzle(BROADCAST,32,15)
	v_cndmask_b32_e32 v22, v24, v22, vcc_lo
	v_cmp_eq_u32_e32 vcc_lo, 0, v25
	s_waitcnt lgkmcnt(0)
	v_dual_add_f32 v23, v21, v23 :: v_dual_lshlrev_b32 v22, 2, v22
	s_delay_alu instid0(VALU_DEP_1) | instskip(SKIP_4) | instid1(VALU_DEP_1)
	v_cndmask_b32_e32 v21, v23, v21, vcc_lo
	v_cmp_eq_u32_e32 vcc_lo, 0, v0
	ds_bpermute_b32 v21, v22, v21
	s_waitcnt lgkmcnt(0)
	v_add_f32_e32 v17, v17, v21
	v_cndmask_b32_e32 v16, v17, v16, vcc_lo
	s_delay_alu instid0(VALU_DEP_1) | instskip(NEXT) | instid1(VALU_DEP_1)
	v_add_f32_e32 v17, v18, v16
	v_add_f32_e32 v18, v20, v17
	ds_store_2addr_b32 v19, v16, v17 offset1:1
	ds_store_b32 v19, v18 offset:8
.LBB252_2:
	s_or_b32 exec_lo, exec_lo, s3
	s_load_b32 s1, s[0:1], 0x10
	v_cmp_eq_u32_e32 vcc_lo, 0, v0
	v_cmp_ne_u32_e64 s0, 0, v0
	s_waitcnt lgkmcnt(0)
	s_barrier
	buffer_gl0_inv
	v_mov_b32_e32 v0, s1
	s_and_saveexec_b32 s3, s0
	s_cbranch_execz .LBB252_4
; %bb.3:
	v_add_nc_u32_e32 v0, -4, v15
	ds_load_b32 v0, v0
	s_waitcnt lgkmcnt(0)
	v_add_f32_e32 v0, s1, v0
.LBB252_4:
	s_or_b32 exec_lo, exec_lo, s3
	s_delay_alu instid0(VALU_DEP_1) | instskip(NEXT) | instid1(VALU_DEP_1)
	v_add_f32_e32 v11, v11, v0
	v_add_f32_e32 v12, v12, v11
	s_delay_alu instid0(VALU_DEP_1) | instskip(NEXT) | instid1(VALU_DEP_1)
	v_add_f32_e32 v13, v13, v12
	v_add_f32_e32 v14, v14, v13
	s_clause 0x4
	global_store_b32 v[1:2], v0, off
	global_store_b32 v[3:4], v11, off
	;; [unrolled: 1-line block ×5, first 2 shown]
	s_and_saveexec_b32 s0, vcc_lo
	s_cbranch_execz .LBB252_6
; %bb.5:
	v_mov_b32_e32 v0, 0
	s_mov_b32 s3, 0
	s_delay_alu instid0(SALU_CYCLE_1) | instskip(NEXT) | instid1(SALU_CYCLE_1)
	s_lshl_b64 s[0:1], s[2:3], 2
	s_add_u32 s0, s6, s0
	ds_load_b32 v1, v0 offset:256
	s_addc_u32 s1, s7, s1
	s_waitcnt lgkmcnt(0)
	global_store_b32 v0, v1, s[0:1]
.LBB252_6:
	s_nop 0
	s_sendmsg sendmsg(MSG_DEALLOC_VGPRS)
	s_endpgm
	.section	.rodata,"a",@progbits
	.p2align	6, 0x0
	.amdhsa_kernel _Z34exclusive_scan_reduce_array_kernelILj65ELj5ELN6hipcub18BlockScanAlgorithmE1EfEvPT2_S3_S2_
		.amdhsa_group_segment_fixed_size 384
		.amdhsa_private_segment_fixed_size 0
		.amdhsa_kernarg_size 20
		.amdhsa_user_sgpr_count 15
		.amdhsa_user_sgpr_dispatch_ptr 0
		.amdhsa_user_sgpr_queue_ptr 0
		.amdhsa_user_sgpr_kernarg_segment_ptr 1
		.amdhsa_user_sgpr_dispatch_id 0
		.amdhsa_user_sgpr_private_segment_size 0
		.amdhsa_wavefront_size32 1
		.amdhsa_uses_dynamic_stack 0
		.amdhsa_enable_private_segment 0
		.amdhsa_system_sgpr_workgroup_id_x 1
		.amdhsa_system_sgpr_workgroup_id_y 0
		.amdhsa_system_sgpr_workgroup_id_z 0
		.amdhsa_system_sgpr_workgroup_info 0
		.amdhsa_system_vgpr_workitem_id 0
		.amdhsa_next_free_vgpr 26
		.amdhsa_next_free_sgpr 16
		.amdhsa_reserve_vcc 1
		.amdhsa_float_round_mode_32 0
		.amdhsa_float_round_mode_16_64 0
		.amdhsa_float_denorm_mode_32 3
		.amdhsa_float_denorm_mode_16_64 3
		.amdhsa_dx10_clamp 1
		.amdhsa_ieee_mode 1
		.amdhsa_fp16_overflow 0
		.amdhsa_workgroup_processor_mode 1
		.amdhsa_memory_ordered 1
		.amdhsa_forward_progress 0
		.amdhsa_shared_vgpr_count 0
		.amdhsa_exception_fp_ieee_invalid_op 0
		.amdhsa_exception_fp_denorm_src 0
		.amdhsa_exception_fp_ieee_div_zero 0
		.amdhsa_exception_fp_ieee_overflow 0
		.amdhsa_exception_fp_ieee_underflow 0
		.amdhsa_exception_fp_ieee_inexact 0
		.amdhsa_exception_int_div_zero 0
	.end_amdhsa_kernel
	.section	.text._Z34exclusive_scan_reduce_array_kernelILj65ELj5ELN6hipcub18BlockScanAlgorithmE1EfEvPT2_S3_S2_,"axG",@progbits,_Z34exclusive_scan_reduce_array_kernelILj65ELj5ELN6hipcub18BlockScanAlgorithmE1EfEvPT2_S3_S2_,comdat
.Lfunc_end252:
	.size	_Z34exclusive_scan_reduce_array_kernelILj65ELj5ELN6hipcub18BlockScanAlgorithmE1EfEvPT2_S3_S2_, .Lfunc_end252-_Z34exclusive_scan_reduce_array_kernelILj65ELj5ELN6hipcub18BlockScanAlgorithmE1EfEvPT2_S3_S2_
                                        ; -- End function
	.section	.AMDGPU.csdata,"",@progbits
; Kernel info:
; codeLenInByte = 788
; NumSgprs: 18
; NumVgprs: 26
; ScratchSize: 0
; MemoryBound: 0
; FloatMode: 240
; IeeeMode: 1
; LDSByteSize: 384 bytes/workgroup (compile time only)
; SGPRBlocks: 2
; VGPRBlocks: 3
; NumSGPRsForWavesPerEU: 18
; NumVGPRsForWavesPerEU: 26
; Occupancy: 16
; WaveLimiterHint : 0
; COMPUTE_PGM_RSRC2:SCRATCH_EN: 0
; COMPUTE_PGM_RSRC2:USER_SGPR: 15
; COMPUTE_PGM_RSRC2:TRAP_HANDLER: 0
; COMPUTE_PGM_RSRC2:TGID_X_EN: 1
; COMPUTE_PGM_RSRC2:TGID_Y_EN: 0
; COMPUTE_PGM_RSRC2:TGID_Z_EN: 0
; COMPUTE_PGM_RSRC2:TIDIG_COMP_CNT: 0
	.section	.text._Z34exclusive_scan_reduce_array_kernelILj37ELj2ELN6hipcub18BlockScanAlgorithmE1EfEvPT2_S3_S2_,"axG",@progbits,_Z34exclusive_scan_reduce_array_kernelILj37ELj2ELN6hipcub18BlockScanAlgorithmE1EfEvPT2_S3_S2_,comdat
	.protected	_Z34exclusive_scan_reduce_array_kernelILj37ELj2ELN6hipcub18BlockScanAlgorithmE1EfEvPT2_S3_S2_ ; -- Begin function _Z34exclusive_scan_reduce_array_kernelILj37ELj2ELN6hipcub18BlockScanAlgorithmE1EfEvPT2_S3_S2_
	.globl	_Z34exclusive_scan_reduce_array_kernelILj37ELj2ELN6hipcub18BlockScanAlgorithmE1EfEvPT2_S3_S2_
	.p2align	8
	.type	_Z34exclusive_scan_reduce_array_kernelILj37ELj2ELN6hipcub18BlockScanAlgorithmE1EfEvPT2_S3_S2_,@function
_Z34exclusive_scan_reduce_array_kernelILj37ELj2ELN6hipcub18BlockScanAlgorithmE1EfEvPT2_S3_S2_: ; @_Z34exclusive_scan_reduce_array_kernelILj37ELj2ELN6hipcub18BlockScanAlgorithmE1EfEvPT2_S3_S2_
; %bb.0:
	s_load_b128 s[4:7], s[0:1], 0x0
	s_mul_i32 s3, s15, 37
	v_mov_b32_e32 v2, 0
	v_add_lshl_u32 v1, s3, v0, 1
	v_lshrrev_b32_e32 v5, 5, v0
	s_mov_b32 s2, s15
	s_mov_b32 s3, exec_lo
	s_delay_alu instid0(VALU_DEP_2) | instskip(NEXT) | instid1(VALU_DEP_2)
	v_lshlrev_b64 v[1:2], 2, v[1:2]
	v_add_lshl_u32 v5, v5, v0, 2
	s_waitcnt lgkmcnt(0)
	s_delay_alu instid0(VALU_DEP_2) | instskip(NEXT) | instid1(VALU_DEP_3)
	v_add_co_u32 v1, vcc_lo, s4, v1
	v_add_co_ci_u32_e32 v2, vcc_lo, s5, v2, vcc_lo
	global_load_b64 v[3:4], v[1:2], off
	s_waitcnt vmcnt(0)
	v_add_f32_e32 v4, v3, v4
	ds_store_b32 v5, v4
	s_waitcnt lgkmcnt(0)
	s_barrier
	buffer_gl0_inv
	v_cmpx_gt_u32_e32 32, v0
	s_cbranch_execz .LBB253_2
; %bb.1:
	v_lshrrev_b32_e32 v5, 2, v0
	v_mbcnt_lo_u32_b32 v9, -1, 0
	s_delay_alu instid0(VALU_DEP_2) | instskip(NEXT) | instid1(VALU_DEP_2)
	v_and_b32_e32 v5, 12, v5
	v_and_b32_e32 v12, 16, v9
	;; [unrolled: 1-line block ×3, first 2 shown]
	s_delay_alu instid0(VALU_DEP_3) | instskip(NEXT) | instid1(VALU_DEP_2)
	v_lshl_or_b32 v7, v0, 3, v5
	v_cmp_eq_u32_e32 vcc_lo, 0, v11
	ds_load_2addr_b32 v[5:6], v7 offset1:1
	s_waitcnt lgkmcnt(0)
	v_add_f32_e32 v8, v5, v6
	s_delay_alu instid0(VALU_DEP_1) | instskip(NEXT) | instid1(VALU_DEP_1)
	v_mov_b32_dpp v10, v8 row_shr:1 row_mask:0xf bank_mask:0xf
	v_add_f32_e32 v10, v8, v10
	s_delay_alu instid0(VALU_DEP_1) | instskip(SKIP_1) | instid1(VALU_DEP_2)
	v_cndmask_b32_e32 v8, v10, v8, vcc_lo
	v_cmp_lt_u32_e32 vcc_lo, 1, v11
	v_mov_b32_dpp v10, v8 row_shr:2 row_mask:0xf bank_mask:0xf
	s_delay_alu instid0(VALU_DEP_1) | instskip(NEXT) | instid1(VALU_DEP_1)
	v_add_f32_e32 v10, v8, v10
	v_cndmask_b32_e32 v8, v8, v10, vcc_lo
	v_cmp_lt_u32_e32 vcc_lo, 3, v11
	s_delay_alu instid0(VALU_DEP_2) | instskip(NEXT) | instid1(VALU_DEP_1)
	v_mov_b32_dpp v10, v8 row_shr:4 row_mask:0xf bank_mask:0xf
	v_add_f32_e32 v10, v8, v10
	s_delay_alu instid0(VALU_DEP_1) | instskip(SKIP_2) | instid1(VALU_DEP_3)
	v_cndmask_b32_e32 v8, v8, v10, vcc_lo
	v_cmp_lt_u32_e32 vcc_lo, 7, v11
	v_add_nc_u32_e32 v11, -1, v9
	v_mov_b32_dpp v10, v8 row_shr:8 row_mask:0xf bank_mask:0xf
	s_delay_alu instid0(VALU_DEP_1) | instskip(NEXT) | instid1(VALU_DEP_1)
	v_add_f32_e32 v10, v8, v10
	v_cndmask_b32_e32 v8, v8, v10, vcc_lo
	s_delay_alu instid0(VALU_DEP_4) | instskip(SKIP_4) | instid1(VALU_DEP_2)
	v_cmp_gt_i32_e32 vcc_lo, 0, v11
	ds_swizzle_b32 v10, v8 offset:swizzle(BROADCAST,32,15)
	v_cndmask_b32_e32 v9, v11, v9, vcc_lo
	v_cmp_eq_u32_e32 vcc_lo, 0, v12
	s_waitcnt lgkmcnt(0)
	v_dual_add_f32 v10, v8, v10 :: v_dual_lshlrev_b32 v9, 2, v9
	s_delay_alu instid0(VALU_DEP_1) | instskip(SKIP_4) | instid1(VALU_DEP_1)
	v_cndmask_b32_e32 v8, v10, v8, vcc_lo
	v_cmp_eq_u32_e32 vcc_lo, 0, v0
	ds_bpermute_b32 v8, v9, v8
	s_waitcnt lgkmcnt(0)
	v_add_f32_e32 v5, v5, v8
	v_cndmask_b32_e32 v4, v5, v4, vcc_lo
	s_delay_alu instid0(VALU_DEP_1)
	v_add_f32_e32 v5, v6, v4
	ds_store_2addr_b32 v7, v4, v5 offset1:1
.LBB253_2:
	s_or_b32 exec_lo, exec_lo, s3
	s_load_b32 s1, s[0:1], 0x10
	v_cmp_eq_u32_e32 vcc_lo, 0, v0
	s_mov_b32 s3, exec_lo
	s_waitcnt lgkmcnt(0)
	s_barrier
	buffer_gl0_inv
	v_mov_b32_e32 v4, s1
	v_cmpx_ne_u32_e32 0, v0
	s_cbranch_execz .LBB253_4
; %bb.3:
	v_add_nc_u32_e32 v0, -1, v0
	s_delay_alu instid0(VALU_DEP_1) | instskip(NEXT) | instid1(VALU_DEP_1)
	v_lshrrev_b32_e32 v4, 5, v0
	v_add_lshl_u32 v0, v4, v0, 2
	ds_load_b32 v0, v0
	s_waitcnt lgkmcnt(0)
	v_add_f32_e32 v4, s1, v0
.LBB253_4:
	s_or_b32 exec_lo, exec_lo, s3
	s_delay_alu instid0(VALU_DEP_1)
	v_add_f32_e32 v5, v3, v4
	global_store_b64 v[1:2], v[4:5], off
	s_and_saveexec_b32 s0, vcc_lo
	s_cbranch_execz .LBB253_6
; %bb.5:
	v_mov_b32_e32 v0, 0
	s_mov_b32 s3, 0
	s_delay_alu instid0(SALU_CYCLE_1) | instskip(NEXT) | instid1(SALU_CYCLE_1)
	s_lshl_b64 s[0:1], s[2:3], 2
	s_add_u32 s0, s6, s0
	ds_load_b32 v1, v0 offset:148
	s_addc_u32 s1, s7, s1
	s_waitcnt lgkmcnt(0)
	global_store_b32 v0, v1, s[0:1]
.LBB253_6:
	s_nop 0
	s_sendmsg sendmsg(MSG_DEALLOC_VGPRS)
	s_endpgm
	.section	.rodata,"a",@progbits
	.p2align	6, 0x0
	.amdhsa_kernel _Z34exclusive_scan_reduce_array_kernelILj37ELj2ELN6hipcub18BlockScanAlgorithmE1EfEvPT2_S3_S2_
		.amdhsa_group_segment_fixed_size 264
		.amdhsa_private_segment_fixed_size 0
		.amdhsa_kernarg_size 20
		.amdhsa_user_sgpr_count 15
		.amdhsa_user_sgpr_dispatch_ptr 0
		.amdhsa_user_sgpr_queue_ptr 0
		.amdhsa_user_sgpr_kernarg_segment_ptr 1
		.amdhsa_user_sgpr_dispatch_id 0
		.amdhsa_user_sgpr_private_segment_size 0
		.amdhsa_wavefront_size32 1
		.amdhsa_uses_dynamic_stack 0
		.amdhsa_enable_private_segment 0
		.amdhsa_system_sgpr_workgroup_id_x 1
		.amdhsa_system_sgpr_workgroup_id_y 0
		.amdhsa_system_sgpr_workgroup_id_z 0
		.amdhsa_system_sgpr_workgroup_info 0
		.amdhsa_system_vgpr_workitem_id 0
		.amdhsa_next_free_vgpr 13
		.amdhsa_next_free_sgpr 16
		.amdhsa_reserve_vcc 1
		.amdhsa_float_round_mode_32 0
		.amdhsa_float_round_mode_16_64 0
		.amdhsa_float_denorm_mode_32 3
		.amdhsa_float_denorm_mode_16_64 3
		.amdhsa_dx10_clamp 1
		.amdhsa_ieee_mode 1
		.amdhsa_fp16_overflow 0
		.amdhsa_workgroup_processor_mode 1
		.amdhsa_memory_ordered 1
		.amdhsa_forward_progress 0
		.amdhsa_shared_vgpr_count 0
		.amdhsa_exception_fp_ieee_invalid_op 0
		.amdhsa_exception_fp_denorm_src 0
		.amdhsa_exception_fp_ieee_div_zero 0
		.amdhsa_exception_fp_ieee_overflow 0
		.amdhsa_exception_fp_ieee_underflow 0
		.amdhsa_exception_fp_ieee_inexact 0
		.amdhsa_exception_int_div_zero 0
	.end_amdhsa_kernel
	.section	.text._Z34exclusive_scan_reduce_array_kernelILj37ELj2ELN6hipcub18BlockScanAlgorithmE1EfEvPT2_S3_S2_,"axG",@progbits,_Z34exclusive_scan_reduce_array_kernelILj37ELj2ELN6hipcub18BlockScanAlgorithmE1EfEvPT2_S3_S2_,comdat
.Lfunc_end253:
	.size	_Z34exclusive_scan_reduce_array_kernelILj37ELj2ELN6hipcub18BlockScanAlgorithmE1EfEvPT2_S3_S2_, .Lfunc_end253-_Z34exclusive_scan_reduce_array_kernelILj37ELj2ELN6hipcub18BlockScanAlgorithmE1EfEvPT2_S3_S2_
                                        ; -- End function
	.section	.AMDGPU.csdata,"",@progbits
; Kernel info:
; codeLenInByte = 540
; NumSgprs: 18
; NumVgprs: 13
; ScratchSize: 0
; MemoryBound: 0
; FloatMode: 240
; IeeeMode: 1
; LDSByteSize: 264 bytes/workgroup (compile time only)
; SGPRBlocks: 2
; VGPRBlocks: 1
; NumSGPRsForWavesPerEU: 18
; NumVGPRsForWavesPerEU: 13
; Occupancy: 16
; WaveLimiterHint : 0
; COMPUTE_PGM_RSRC2:SCRATCH_EN: 0
; COMPUTE_PGM_RSRC2:USER_SGPR: 15
; COMPUTE_PGM_RSRC2:TRAP_HANDLER: 0
; COMPUTE_PGM_RSRC2:TGID_X_EN: 1
; COMPUTE_PGM_RSRC2:TGID_Y_EN: 0
; COMPUTE_PGM_RSRC2:TGID_Z_EN: 0
; COMPUTE_PGM_RSRC2:TIDIG_COMP_CNT: 0
	.section	.text._Z34exclusive_scan_reduce_array_kernelILj512ELj4ELN6hipcub18BlockScanAlgorithmE1EjEvPT2_S3_S2_,"axG",@progbits,_Z34exclusive_scan_reduce_array_kernelILj512ELj4ELN6hipcub18BlockScanAlgorithmE1EjEvPT2_S3_S2_,comdat
	.protected	_Z34exclusive_scan_reduce_array_kernelILj512ELj4ELN6hipcub18BlockScanAlgorithmE1EjEvPT2_S3_S2_ ; -- Begin function _Z34exclusive_scan_reduce_array_kernelILj512ELj4ELN6hipcub18BlockScanAlgorithmE1EjEvPT2_S3_S2_
	.globl	_Z34exclusive_scan_reduce_array_kernelILj512ELj4ELN6hipcub18BlockScanAlgorithmE1EjEvPT2_S3_S2_
	.p2align	8
	.type	_Z34exclusive_scan_reduce_array_kernelILj512ELj4ELN6hipcub18BlockScanAlgorithmE1EjEvPT2_S3_S2_,@function
_Z34exclusive_scan_reduce_array_kernelILj512ELj4ELN6hipcub18BlockScanAlgorithmE1EjEvPT2_S3_S2_: ; @_Z34exclusive_scan_reduce_array_kernelILj512ELj4ELN6hipcub18BlockScanAlgorithmE1EjEvPT2_S3_S2_
; %bb.0:
	s_load_b128 s[4:7], s[0:1], 0x0
	v_dual_mov_b32 v2, 0 :: v_dual_lshlrev_b32 v1, 2, v0
	s_mov_b32 s2, s15
	v_lshrrev_b32_e32 v5, 5, v0
	s_mov_b32 s3, exec_lo
	s_delay_alu instid0(VALU_DEP_2) | instskip(NEXT) | instid1(VALU_DEP_2)
	v_lshl_or_b32 v1, s2, 11, v1
	v_add_lshl_u32 v5, v5, v0, 2
	s_delay_alu instid0(VALU_DEP_2) | instskip(SKIP_1) | instid1(VALU_DEP_1)
	v_lshlrev_b64 v[1:2], 2, v[1:2]
	s_waitcnt lgkmcnt(0)
	v_add_co_u32 v8, vcc_lo, s4, v1
	s_delay_alu instid0(VALU_DEP_2) | instskip(SKIP_3) | instid1(VALU_DEP_1)
	v_add_co_ci_u32_e32 v9, vcc_lo, s5, v2, vcc_lo
	global_load_b128 v[1:4], v[8:9], off
	s_waitcnt vmcnt(0)
	v_add_nc_u32_e32 v6, v2, v1
	v_add3_u32 v4, v6, v3, v4
	ds_store_b32 v5, v4
	s_waitcnt lgkmcnt(0)
	s_barrier
	buffer_gl0_inv
	v_cmpx_gt_u32_e32 32, v0
	s_cbranch_execz .LBB254_2
; %bb.1:
	v_lshlrev_b32_e32 v5, 1, v0
	v_mbcnt_lo_u32_b32 v25, -1, 0
	s_delay_alu instid0(VALU_DEP_2) | instskip(NEXT) | instid1(VALU_DEP_2)
	v_and_b32_e32 v5, 0x3fc, v5
	v_and_b32_e32 v26, 15, v25
	v_bfe_i32 v28, v25, 4, 1
	s_delay_alu instid0(VALU_DEP_3) | instskip(NEXT) | instid1(VALU_DEP_3)
	v_lshl_or_b32 v7, v0, 6, v5
	v_cmp_ne_u32_e32 vcc_lo, 0, v26
	ds_load_2addr_b32 v[5:6], v7 offset1:1
	ds_load_2addr_b32 v[10:11], v7 offset0:2 offset1:3
	ds_load_2addr_b32 v[12:13], v7 offset0:4 offset1:5
	ds_load_2addr_b32 v[14:15], v7 offset0:6 offset1:7
	ds_load_2addr_b32 v[16:17], v7 offset0:8 offset1:9
	s_waitcnt lgkmcnt(4)
	v_add_nc_u32_e32 v18, v6, v5
	s_waitcnt lgkmcnt(3)
	s_delay_alu instid0(VALU_DEP_1)
	v_add3_u32 v20, v18, v10, v11
	ds_load_2addr_b32 v[18:19], v7 offset0:10 offset1:11
	s_waitcnt lgkmcnt(3)
	v_add3_u32 v24, v20, v12, v13
	ds_load_2addr_b32 v[20:21], v7 offset0:12 offset1:13
	ds_load_2addr_b32 v[22:23], v7 offset0:14 offset1:15
	s_waitcnt lgkmcnt(4)
	v_add3_u32 v24, v24, v14, v15
	s_waitcnt lgkmcnt(3)
	s_delay_alu instid0(VALU_DEP_1) | instskip(SKIP_1) | instid1(VALU_DEP_1)
	v_add3_u32 v24, v24, v16, v17
	s_waitcnt lgkmcnt(2)
	v_add3_u32 v24, v24, v18, v19
	s_waitcnt lgkmcnt(1)
	s_delay_alu instid0(VALU_DEP_1) | instskip(SKIP_1) | instid1(VALU_DEP_1)
	v_add3_u32 v24, v24, v20, v21
	s_waitcnt lgkmcnt(0)
	v_add3_u32 v24, v24, v22, v23
	s_delay_alu instid0(VALU_DEP_1) | instskip(NEXT) | instid1(VALU_DEP_1)
	v_mov_b32_dpp v27, v24 row_shr:1 row_mask:0xf bank_mask:0xf
	v_cndmask_b32_e32 v27, 0, v27, vcc_lo
	v_cmp_lt_u32_e32 vcc_lo, 1, v26
	s_delay_alu instid0(VALU_DEP_2) | instskip(NEXT) | instid1(VALU_DEP_1)
	v_add_nc_u32_e32 v24, v27, v24
	v_mov_b32_dpp v27, v24 row_shr:2 row_mask:0xf bank_mask:0xf
	s_delay_alu instid0(VALU_DEP_1) | instskip(SKIP_1) | instid1(VALU_DEP_2)
	v_cndmask_b32_e32 v27, 0, v27, vcc_lo
	v_cmp_lt_u32_e32 vcc_lo, 3, v26
	v_add_nc_u32_e32 v24, v24, v27
	s_delay_alu instid0(VALU_DEP_1) | instskip(NEXT) | instid1(VALU_DEP_1)
	v_mov_b32_dpp v27, v24 row_shr:4 row_mask:0xf bank_mask:0xf
	v_cndmask_b32_e32 v27, 0, v27, vcc_lo
	v_cmp_lt_u32_e32 vcc_lo, 7, v26
	s_delay_alu instid0(VALU_DEP_2) | instskip(NEXT) | instid1(VALU_DEP_1)
	v_add_nc_u32_e32 v24, v24, v27
	v_mov_b32_dpp v27, v24 row_shr:8 row_mask:0xf bank_mask:0xf
	s_delay_alu instid0(VALU_DEP_1) | instskip(NEXT) | instid1(VALU_DEP_1)
	v_dual_cndmask_b32 v26, 0, v27 :: v_dual_add_nc_u32 v27, -1, v25
	v_add_nc_u32_e32 v24, v24, v26
	s_delay_alu instid0(VALU_DEP_2) | instskip(SKIP_3) | instid1(VALU_DEP_2)
	v_cmp_gt_i32_e32 vcc_lo, 0, v27
	ds_swizzle_b32 v26, v24 offset:swizzle(BROADCAST,32,15)
	v_cndmask_b32_e32 v25, v27, v25, vcc_lo
	v_cmp_eq_u32_e32 vcc_lo, 0, v0
	v_lshlrev_b32_e32 v25, 2, v25
	s_waitcnt lgkmcnt(0)
	v_and_b32_e32 v26, v28, v26
	s_delay_alu instid0(VALU_DEP_1) | instskip(SKIP_3) | instid1(VALU_DEP_1)
	v_add_nc_u32_e32 v24, v24, v26
	ds_bpermute_b32 v24, v25, v24
	s_waitcnt lgkmcnt(0)
	v_add_nc_u32_e32 v5, v24, v5
	v_cndmask_b32_e32 v4, v5, v4, vcc_lo
	s_delay_alu instid0(VALU_DEP_1) | instskip(NEXT) | instid1(VALU_DEP_1)
	v_add_nc_u32_e32 v5, v4, v6
	v_add_nc_u32_e32 v6, v5, v10
	s_delay_alu instid0(VALU_DEP_1) | instskip(NEXT) | instid1(VALU_DEP_1)
	v_add_nc_u32_e32 v10, v6, v11
	v_add_nc_u32_e32 v11, v10, v12
	;; [unrolled: 3-line block ×7, first 2 shown]
	s_delay_alu instid0(VALU_DEP_1)
	v_add_nc_u32_e32 v22, v21, v23
	ds_store_2addr_b32 v7, v4, v5 offset1:1
	ds_store_2addr_b32 v7, v6, v10 offset0:2 offset1:3
	ds_store_2addr_b32 v7, v11, v12 offset0:4 offset1:5
	;; [unrolled: 1-line block ×7, first 2 shown]
.LBB254_2:
	s_or_b32 exec_lo, exec_lo, s3
	s_load_b32 s1, s[0:1], 0x10
	v_cmp_eq_u32_e32 vcc_lo, 0, v0
	s_mov_b32 s3, exec_lo
	s_waitcnt lgkmcnt(0)
	s_barrier
	buffer_gl0_inv
	v_mov_b32_e32 v4, s1
	v_cmpx_ne_u32_e32 0, v0
	s_cbranch_execz .LBB254_4
; %bb.3:
	v_add_nc_u32_e32 v0, -1, v0
	s_delay_alu instid0(VALU_DEP_1) | instskip(NEXT) | instid1(VALU_DEP_1)
	v_lshrrev_b32_e32 v4, 5, v0
	v_add_lshl_u32 v0, v4, v0, 2
	ds_load_b32 v0, v0
	s_waitcnt lgkmcnt(0)
	v_add_nc_u32_e32 v4, s1, v0
.LBB254_4:
	s_or_b32 exec_lo, exec_lo, s3
	s_delay_alu instid0(VALU_DEP_1) | instskip(NEXT) | instid1(VALU_DEP_1)
	v_add_nc_u32_e32 v5, v4, v1
	v_add_nc_u32_e32 v6, v5, v2
	s_delay_alu instid0(VALU_DEP_1)
	v_add_nc_u32_e32 v7, v6, v3
	global_store_b128 v[8:9], v[4:7], off
	s_and_saveexec_b32 s0, vcc_lo
	s_cbranch_execz .LBB254_6
; %bb.5:
	v_mov_b32_e32 v0, 0
	s_mov_b32 s3, 0
	s_delay_alu instid0(SALU_CYCLE_1) | instskip(NEXT) | instid1(SALU_CYCLE_1)
	s_lshl_b64 s[0:1], s[2:3], 2
	s_add_u32 s0, s6, s0
	ds_load_b32 v1, v0 offset:2104
	s_addc_u32 s1, s7, s1
	s_waitcnt lgkmcnt(0)
	global_store_b32 v0, v1, s[0:1]
.LBB254_6:
	s_nop 0
	s_sendmsg sendmsg(MSG_DEALLOC_VGPRS)
	s_endpgm
	.section	.rodata,"a",@progbits
	.p2align	6, 0x0
	.amdhsa_kernel _Z34exclusive_scan_reduce_array_kernelILj512ELj4ELN6hipcub18BlockScanAlgorithmE1EjEvPT2_S3_S2_
		.amdhsa_group_segment_fixed_size 2112
		.amdhsa_private_segment_fixed_size 0
		.amdhsa_kernarg_size 20
		.amdhsa_user_sgpr_count 15
		.amdhsa_user_sgpr_dispatch_ptr 0
		.amdhsa_user_sgpr_queue_ptr 0
		.amdhsa_user_sgpr_kernarg_segment_ptr 1
		.amdhsa_user_sgpr_dispatch_id 0
		.amdhsa_user_sgpr_private_segment_size 0
		.amdhsa_wavefront_size32 1
		.amdhsa_uses_dynamic_stack 0
		.amdhsa_enable_private_segment 0
		.amdhsa_system_sgpr_workgroup_id_x 1
		.amdhsa_system_sgpr_workgroup_id_y 0
		.amdhsa_system_sgpr_workgroup_id_z 0
		.amdhsa_system_sgpr_workgroup_info 0
		.amdhsa_system_vgpr_workitem_id 0
		.amdhsa_next_free_vgpr 29
		.amdhsa_next_free_sgpr 16
		.amdhsa_reserve_vcc 1
		.amdhsa_float_round_mode_32 0
		.amdhsa_float_round_mode_16_64 0
		.amdhsa_float_denorm_mode_32 3
		.amdhsa_float_denorm_mode_16_64 3
		.amdhsa_dx10_clamp 1
		.amdhsa_ieee_mode 1
		.amdhsa_fp16_overflow 0
		.amdhsa_workgroup_processor_mode 1
		.amdhsa_memory_ordered 1
		.amdhsa_forward_progress 0
		.amdhsa_shared_vgpr_count 0
		.amdhsa_exception_fp_ieee_invalid_op 0
		.amdhsa_exception_fp_denorm_src 0
		.amdhsa_exception_fp_ieee_div_zero 0
		.amdhsa_exception_fp_ieee_overflow 0
		.amdhsa_exception_fp_ieee_underflow 0
		.amdhsa_exception_fp_ieee_inexact 0
		.amdhsa_exception_int_div_zero 0
	.end_amdhsa_kernel
	.section	.text._Z34exclusive_scan_reduce_array_kernelILj512ELj4ELN6hipcub18BlockScanAlgorithmE1EjEvPT2_S3_S2_,"axG",@progbits,_Z34exclusive_scan_reduce_array_kernelILj512ELj4ELN6hipcub18BlockScanAlgorithmE1EjEvPT2_S3_S2_,comdat
.Lfunc_end254:
	.size	_Z34exclusive_scan_reduce_array_kernelILj512ELj4ELN6hipcub18BlockScanAlgorithmE1EjEvPT2_S3_S2_, .Lfunc_end254-_Z34exclusive_scan_reduce_array_kernelILj512ELj4ELN6hipcub18BlockScanAlgorithmE1EjEvPT2_S3_S2_
                                        ; -- End function
	.section	.AMDGPU.csdata,"",@progbits
; Kernel info:
; codeLenInByte = 860
; NumSgprs: 18
; NumVgprs: 29
; ScratchSize: 0
; MemoryBound: 0
; FloatMode: 240
; IeeeMode: 1
; LDSByteSize: 2112 bytes/workgroup (compile time only)
; SGPRBlocks: 2
; VGPRBlocks: 3
; NumSGPRsForWavesPerEU: 18
; NumVGPRsForWavesPerEU: 29
; Occupancy: 16
; WaveLimiterHint : 0
; COMPUTE_PGM_RSRC2:SCRATCH_EN: 0
; COMPUTE_PGM_RSRC2:USER_SGPR: 15
; COMPUTE_PGM_RSRC2:TRAP_HANDLER: 0
; COMPUTE_PGM_RSRC2:TGID_X_EN: 1
; COMPUTE_PGM_RSRC2:TGID_Y_EN: 0
; COMPUTE_PGM_RSRC2:TGID_Z_EN: 0
; COMPUTE_PGM_RSRC2:TIDIG_COMP_CNT: 0
	.section	.text._Z34exclusive_scan_reduce_array_kernelILj256ELj3ELN6hipcub18BlockScanAlgorithmE1EiEvPT2_S3_S2_,"axG",@progbits,_Z34exclusive_scan_reduce_array_kernelILj256ELj3ELN6hipcub18BlockScanAlgorithmE1EiEvPT2_S3_S2_,comdat
	.protected	_Z34exclusive_scan_reduce_array_kernelILj256ELj3ELN6hipcub18BlockScanAlgorithmE1EiEvPT2_S3_S2_ ; -- Begin function _Z34exclusive_scan_reduce_array_kernelILj256ELj3ELN6hipcub18BlockScanAlgorithmE1EiEvPT2_S3_S2_
	.globl	_Z34exclusive_scan_reduce_array_kernelILj256ELj3ELN6hipcub18BlockScanAlgorithmE1EiEvPT2_S3_S2_
	.p2align	8
	.type	_Z34exclusive_scan_reduce_array_kernelILj256ELj3ELN6hipcub18BlockScanAlgorithmE1EiEvPT2_S3_S2_,@function
_Z34exclusive_scan_reduce_array_kernelILj256ELj3ELN6hipcub18BlockScanAlgorithmE1EiEvPT2_S3_S2_: ; @_Z34exclusive_scan_reduce_array_kernelILj256ELj3ELN6hipcub18BlockScanAlgorithmE1EiEvPT2_S3_S2_
; %bb.0:
	s_mov_b32 s2, s15
	s_load_b128 s[4:7], s[0:1], 0x0
	v_lshl_or_b32 v1, s2, 8, v0
	v_lshrrev_b32_e32 v10, 5, v0
	s_mov_b32 s3, exec_lo
	s_delay_alu instid0(VALU_DEP_2) | instskip(SKIP_1) | instid1(VALU_DEP_3)
	v_lshl_add_u32 v1, v1, 1, v1
	v_mov_b32_e32 v2, 0
	v_add_lshl_u32 v10, v10, v0, 2
	s_delay_alu instid0(VALU_DEP_2) | instskip(SKIP_2) | instid1(VALU_DEP_3)
	v_dual_mov_b32 v4, v2 :: v_dual_add_nc_u32 v3, 1, v1
	v_lshlrev_b64 v[5:6], 2, v[1:2]
	v_add_nc_u32_e32 v1, 2, v1
	v_lshlrev_b64 v[3:4], 2, v[3:4]
	s_delay_alu instid0(VALU_DEP_2) | instskip(SKIP_1) | instid1(VALU_DEP_4)
	v_lshlrev_b64 v[7:8], 2, v[1:2]
	s_waitcnt lgkmcnt(0)
	v_add_co_u32 v1, vcc_lo, s4, v5
	v_add_co_ci_u32_e32 v2, vcc_lo, s5, v6, vcc_lo
	s_delay_alu instid0(VALU_DEP_4)
	v_add_co_u32 v3, vcc_lo, s4, v3
	v_add_co_ci_u32_e32 v4, vcc_lo, s5, v4, vcc_lo
	v_add_co_u32 v5, vcc_lo, s4, v7
	v_add_co_ci_u32_e32 v6, vcc_lo, s5, v8, vcc_lo
	s_clause 0x2
	global_load_b32 v7, v[1:2], off
	global_load_b32 v8, v[3:4], off
	global_load_b32 v9, v[5:6], off
	s_waitcnt vmcnt(0)
	v_add3_u32 v9, v8, v7, v9
	ds_store_b32 v10, v9
	s_waitcnt lgkmcnt(0)
	s_barrier
	buffer_gl0_inv
	v_cmpx_gt_u32_e32 32, v0
	s_cbranch_execz .LBB255_2
; %bb.1:
	v_and_b32_e32 v10, 0xfc, v0
	v_mbcnt_lo_u32_b32 v20, -1, 0
	s_delay_alu instid0(VALU_DEP_2) | instskip(NEXT) | instid1(VALU_DEP_2)
	v_lshl_or_b32 v18, v0, 5, v10
	v_add_nc_u32_e32 v23, -1, v20
	ds_load_2addr_b32 v[10:11], v18 offset1:1
	ds_load_2addr_b32 v[12:13], v18 offset0:2 offset1:3
	ds_load_2addr_b32 v[14:15], v18 offset0:4 offset1:5
	;; [unrolled: 1-line block ×3, first 2 shown]
	s_waitcnt lgkmcnt(3)
	v_add_nc_u32_e32 v19, v11, v10
	s_waitcnt lgkmcnt(2)
	s_delay_alu instid0(VALU_DEP_1) | instskip(SKIP_1) | instid1(VALU_DEP_1)
	v_add3_u32 v19, v19, v12, v13
	s_waitcnt lgkmcnt(1)
	v_add3_u32 v19, v19, v14, v15
	s_waitcnt lgkmcnt(0)
	s_delay_alu instid0(VALU_DEP_1) | instskip(NEXT) | instid1(VALU_DEP_1)
	v_add3_u32 v19, v19, v16, v17
	v_mov_b32_dpp v22, v19 row_shr:1 row_mask:0xf bank_mask:0xf
	v_and_b32_e32 v21, 15, v20
	s_delay_alu instid0(VALU_DEP_1) | instskip(NEXT) | instid1(VALU_DEP_3)
	v_cmp_ne_u32_e32 vcc_lo, 0, v21
	v_cndmask_b32_e32 v22, 0, v22, vcc_lo
	v_cmp_lt_u32_e32 vcc_lo, 1, v21
	s_delay_alu instid0(VALU_DEP_2) | instskip(NEXT) | instid1(VALU_DEP_1)
	v_add_nc_u32_e32 v19, v22, v19
	v_mov_b32_dpp v22, v19 row_shr:2 row_mask:0xf bank_mask:0xf
	s_delay_alu instid0(VALU_DEP_1) | instskip(SKIP_1) | instid1(VALU_DEP_2)
	v_cndmask_b32_e32 v22, 0, v22, vcc_lo
	v_cmp_lt_u32_e32 vcc_lo, 3, v21
	v_add_nc_u32_e32 v19, v19, v22
	s_delay_alu instid0(VALU_DEP_1) | instskip(NEXT) | instid1(VALU_DEP_1)
	v_mov_b32_dpp v22, v19 row_shr:4 row_mask:0xf bank_mask:0xf
	v_cndmask_b32_e32 v22, 0, v22, vcc_lo
	v_cmp_lt_u32_e32 vcc_lo, 7, v21
	s_delay_alu instid0(VALU_DEP_2) | instskip(NEXT) | instid1(VALU_DEP_1)
	v_add_nc_u32_e32 v19, v19, v22
	v_mov_b32_dpp v22, v19 row_shr:8 row_mask:0xf bank_mask:0xf
	s_delay_alu instid0(VALU_DEP_1) | instskip(SKIP_2) | instid1(VALU_DEP_3)
	v_cndmask_b32_e32 v21, 0, v22, vcc_lo
	v_bfe_i32 v22, v20, 4, 1
	v_cmp_gt_i32_e32 vcc_lo, 0, v23
	v_add_nc_u32_e32 v19, v19, v21
	v_cndmask_b32_e32 v20, v23, v20, vcc_lo
	v_cmp_eq_u32_e32 vcc_lo, 0, v0
	ds_swizzle_b32 v21, v19 offset:swizzle(BROADCAST,32,15)
	v_lshlrev_b32_e32 v20, 2, v20
	s_waitcnt lgkmcnt(0)
	v_and_b32_e32 v21, v22, v21
	s_delay_alu instid0(VALU_DEP_1) | instskip(SKIP_3) | instid1(VALU_DEP_1)
	v_add_nc_u32_e32 v19, v19, v21
	ds_bpermute_b32 v19, v20, v19
	s_waitcnt lgkmcnt(0)
	v_add_nc_u32_e32 v10, v19, v10
	v_cndmask_b32_e32 v9, v10, v9, vcc_lo
	s_delay_alu instid0(VALU_DEP_1) | instskip(NEXT) | instid1(VALU_DEP_1)
	v_add_nc_u32_e32 v10, v9, v11
	v_add_nc_u32_e32 v11, v10, v12
	s_delay_alu instid0(VALU_DEP_1) | instskip(NEXT) | instid1(VALU_DEP_1)
	v_add_nc_u32_e32 v12, v11, v13
	v_add_nc_u32_e32 v13, v12, v14
	;; [unrolled: 3-line block ×3, first 2 shown]
	s_delay_alu instid0(VALU_DEP_1)
	v_add_nc_u32_e32 v16, v15, v17
	ds_store_2addr_b32 v18, v9, v10 offset1:1
	ds_store_2addr_b32 v18, v11, v12 offset0:2 offset1:3
	ds_store_2addr_b32 v18, v13, v14 offset0:4 offset1:5
	ds_store_2addr_b32 v18, v15, v16 offset0:6 offset1:7
.LBB255_2:
	s_or_b32 exec_lo, exec_lo, s3
	s_load_b32 s1, s[0:1], 0x10
	v_cmp_eq_u32_e32 vcc_lo, 0, v0
	s_mov_b32 s3, exec_lo
	s_waitcnt lgkmcnt(0)
	s_barrier
	buffer_gl0_inv
	v_mov_b32_e32 v9, s1
	v_cmpx_ne_u32_e32 0, v0
	s_cbranch_execz .LBB255_4
; %bb.3:
	v_add_nc_u32_e32 v0, -1, v0
	s_delay_alu instid0(VALU_DEP_1) | instskip(NEXT) | instid1(VALU_DEP_1)
	v_lshrrev_b32_e32 v9, 5, v0
	v_add_lshl_u32 v0, v9, v0, 2
	ds_load_b32 v0, v0
	s_waitcnt lgkmcnt(0)
	v_add_nc_u32_e32 v9, s1, v0
.LBB255_4:
	s_or_b32 exec_lo, exec_lo, s3
	s_delay_alu instid0(VALU_DEP_1) | instskip(NEXT) | instid1(VALU_DEP_1)
	v_add_nc_u32_e32 v0, v9, v7
	v_add_nc_u32_e32 v7, v0, v8
	s_clause 0x2
	global_store_b32 v[1:2], v9, off
	global_store_b32 v[3:4], v0, off
	;; [unrolled: 1-line block ×3, first 2 shown]
	s_and_saveexec_b32 s0, vcc_lo
	s_cbranch_execz .LBB255_6
; %bb.5:
	v_mov_b32_e32 v0, 0
	s_mov_b32 s3, 0
	s_delay_alu instid0(SALU_CYCLE_1) | instskip(NEXT) | instid1(SALU_CYCLE_1)
	s_lshl_b64 s[0:1], s[2:3], 2
	s_add_u32 s0, s6, s0
	ds_load_b32 v1, v0 offset:1048
	s_addc_u32 s1, s7, s1
	s_waitcnt lgkmcnt(0)
	global_store_b32 v0, v1, s[0:1]
.LBB255_6:
	s_nop 0
	s_sendmsg sendmsg(MSG_DEALLOC_VGPRS)
	s_endpgm
	.section	.rodata,"a",@progbits
	.p2align	6, 0x0
	.amdhsa_kernel _Z34exclusive_scan_reduce_array_kernelILj256ELj3ELN6hipcub18BlockScanAlgorithmE1EiEvPT2_S3_S2_
		.amdhsa_group_segment_fixed_size 1056
		.amdhsa_private_segment_fixed_size 0
		.amdhsa_kernarg_size 20
		.amdhsa_user_sgpr_count 15
		.amdhsa_user_sgpr_dispatch_ptr 0
		.amdhsa_user_sgpr_queue_ptr 0
		.amdhsa_user_sgpr_kernarg_segment_ptr 1
		.amdhsa_user_sgpr_dispatch_id 0
		.amdhsa_user_sgpr_private_segment_size 0
		.amdhsa_wavefront_size32 1
		.amdhsa_uses_dynamic_stack 0
		.amdhsa_enable_private_segment 0
		.amdhsa_system_sgpr_workgroup_id_x 1
		.amdhsa_system_sgpr_workgroup_id_y 0
		.amdhsa_system_sgpr_workgroup_id_z 0
		.amdhsa_system_sgpr_workgroup_info 0
		.amdhsa_system_vgpr_workitem_id 0
		.amdhsa_next_free_vgpr 24
		.amdhsa_next_free_sgpr 16
		.amdhsa_reserve_vcc 1
		.amdhsa_float_round_mode_32 0
		.amdhsa_float_round_mode_16_64 0
		.amdhsa_float_denorm_mode_32 3
		.amdhsa_float_denorm_mode_16_64 3
		.amdhsa_dx10_clamp 1
		.amdhsa_ieee_mode 1
		.amdhsa_fp16_overflow 0
		.amdhsa_workgroup_processor_mode 1
		.amdhsa_memory_ordered 1
		.amdhsa_forward_progress 0
		.amdhsa_shared_vgpr_count 0
		.amdhsa_exception_fp_ieee_invalid_op 0
		.amdhsa_exception_fp_denorm_src 0
		.amdhsa_exception_fp_ieee_div_zero 0
		.amdhsa_exception_fp_ieee_overflow 0
		.amdhsa_exception_fp_ieee_underflow 0
		.amdhsa_exception_fp_ieee_inexact 0
		.amdhsa_exception_int_div_zero 0
	.end_amdhsa_kernel
	.section	.text._Z34exclusive_scan_reduce_array_kernelILj256ELj3ELN6hipcub18BlockScanAlgorithmE1EiEvPT2_S3_S2_,"axG",@progbits,_Z34exclusive_scan_reduce_array_kernelILj256ELj3ELN6hipcub18BlockScanAlgorithmE1EiEvPT2_S3_S2_,comdat
.Lfunc_end255:
	.size	_Z34exclusive_scan_reduce_array_kernelILj256ELj3ELN6hipcub18BlockScanAlgorithmE1EiEvPT2_S3_S2_, .Lfunc_end255-_Z34exclusive_scan_reduce_array_kernelILj256ELj3ELN6hipcub18BlockScanAlgorithmE1EiEvPT2_S3_S2_
                                        ; -- End function
	.section	.AMDGPU.csdata,"",@progbits
; Kernel info:
; codeLenInByte = 772
; NumSgprs: 18
; NumVgprs: 24
; ScratchSize: 0
; MemoryBound: 0
; FloatMode: 240
; IeeeMode: 1
; LDSByteSize: 1056 bytes/workgroup (compile time only)
; SGPRBlocks: 2
; VGPRBlocks: 2
; NumSGPRsForWavesPerEU: 18
; NumVGPRsForWavesPerEU: 24
; Occupancy: 16
; WaveLimiterHint : 0
; COMPUTE_PGM_RSRC2:SCRATCH_EN: 0
; COMPUTE_PGM_RSRC2:USER_SGPR: 15
; COMPUTE_PGM_RSRC2:TRAP_HANDLER: 0
; COMPUTE_PGM_RSRC2:TGID_X_EN: 1
; COMPUTE_PGM_RSRC2:TGID_Y_EN: 0
; COMPUTE_PGM_RSRC2:TGID_Z_EN: 0
; COMPUTE_PGM_RSRC2:TIDIG_COMP_CNT: 0
	.section	.text._Z34exclusive_scan_reduce_array_kernelILj32ELj2ELN6hipcub18BlockScanAlgorithmE1EfEvPT2_S3_S2_,"axG",@progbits,_Z34exclusive_scan_reduce_array_kernelILj32ELj2ELN6hipcub18BlockScanAlgorithmE1EfEvPT2_S3_S2_,comdat
	.protected	_Z34exclusive_scan_reduce_array_kernelILj32ELj2ELN6hipcub18BlockScanAlgorithmE1EfEvPT2_S3_S2_ ; -- Begin function _Z34exclusive_scan_reduce_array_kernelILj32ELj2ELN6hipcub18BlockScanAlgorithmE1EfEvPT2_S3_S2_
	.globl	_Z34exclusive_scan_reduce_array_kernelILj32ELj2ELN6hipcub18BlockScanAlgorithmE1EfEvPT2_S3_S2_
	.p2align	8
	.type	_Z34exclusive_scan_reduce_array_kernelILj32ELj2ELN6hipcub18BlockScanAlgorithmE1EfEvPT2_S3_S2_,@function
_Z34exclusive_scan_reduce_array_kernelILj32ELj2ELN6hipcub18BlockScanAlgorithmE1EfEvPT2_S3_S2_: ; @_Z34exclusive_scan_reduce_array_kernelILj32ELj2ELN6hipcub18BlockScanAlgorithmE1EfEvPT2_S3_S2_
; %bb.0:
	s_load_b128 s[4:7], s[0:1], 0x0
	v_lshlrev_b32_e32 v1, 1, v0
	s_mov_b32 s2, s15
	v_mov_b32_e32 v5, 0
	s_mov_b32 s3, exec_lo
	s_delay_alu instid0(VALU_DEP_2) | instskip(NEXT) | instid1(VALU_DEP_1)
	v_lshl_or_b32 v4, s2, 6, v1
	v_lshlrev_b64 v[1:2], 2, v[4:5]
	s_waitcnt lgkmcnt(0)
	s_delay_alu instid0(VALU_DEP_1) | instskip(NEXT) | instid1(VALU_DEP_2)
	v_add_co_u32 v1, vcc_lo, s4, v1
	v_add_co_ci_u32_e32 v2, vcc_lo, s5, v2, vcc_lo
	global_load_b64 v[3:4], v[1:2], off
	s_waitcnt vmcnt(0)
	v_add_f32_e32 v6, v3, v4
	v_mbcnt_lo_u32_b32 v4, -1, 0
	s_delay_alu instid0(VALU_DEP_2) | instskip(NEXT) | instid1(VALU_DEP_1)
	v_mov_b32_dpp v7, v6 row_shr:1 row_mask:0xf bank_mask:0xf
	v_dual_add_f32 v7, v6, v7 :: v_dual_and_b32 v8, 15, v4
	s_delay_alu instid0(VALU_DEP_1) | instskip(NEXT) | instid1(VALU_DEP_2)
	v_cmp_eq_u32_e32 vcc_lo, 0, v8
	v_cndmask_b32_e32 v6, v7, v6, vcc_lo
	v_cmp_lt_u32_e32 vcc_lo, 1, v8
	s_delay_alu instid0(VALU_DEP_2) | instskip(NEXT) | instid1(VALU_DEP_1)
	v_mov_b32_dpp v7, v6 row_shr:2 row_mask:0xf bank_mask:0xf
	v_add_f32_e32 v7, v6, v7
	s_delay_alu instid0(VALU_DEP_1) | instskip(SKIP_1) | instid1(VALU_DEP_2)
	v_cndmask_b32_e32 v6, v6, v7, vcc_lo
	v_cmp_lt_u32_e32 vcc_lo, 3, v8
	v_mov_b32_dpp v7, v6 row_shr:4 row_mask:0xf bank_mask:0xf
	s_delay_alu instid0(VALU_DEP_1) | instskip(NEXT) | instid1(VALU_DEP_1)
	v_add_f32_e32 v7, v6, v7
	v_cndmask_b32_e32 v6, v6, v7, vcc_lo
	v_cmp_lt_u32_e32 vcc_lo, 7, v8
	v_and_b32_e32 v8, 16, v4
	s_delay_alu instid0(VALU_DEP_3) | instskip(NEXT) | instid1(VALU_DEP_1)
	v_mov_b32_dpp v7, v6 row_shr:8 row_mask:0xf bank_mask:0xf
	v_add_f32_e32 v7, v6, v7
	s_delay_alu instid0(VALU_DEP_1) | instskip(NEXT) | instid1(VALU_DEP_4)
	v_cndmask_b32_e32 v6, v6, v7, vcc_lo
	v_cmp_eq_u32_e32 vcc_lo, 0, v8
	ds_swizzle_b32 v7, v6 offset:swizzle(BROADCAST,32,15)
	s_waitcnt lgkmcnt(0)
	v_add_f32_e32 v7, v6, v7
	s_delay_alu instid0(VALU_DEP_1)
	v_cndmask_b32_e32 v6, v7, v6, vcc_lo
	v_cmpx_eq_u32_e32 31, v0
	s_cbranch_execz .LBB256_2
; %bb.1:
	ds_store_b32 v5, v6
.LBB256_2:
	s_or_b32 exec_lo, exec_lo, s3
	s_load_b32 s1, s[0:1], 0x10
	v_add_nc_u32_e32 v5, -1, v4
	v_cmp_eq_u32_e64 s0, 0, v0
	s_waitcnt vmcnt(0) lgkmcnt(0)
	s_waitcnt_vscnt null, 0x0
	; wave barrier
	s_waitcnt lgkmcnt(0)
	buffer_gl0_inv
	v_add_f32_e32 v6, s1, v6
	v_cmp_gt_i32_e32 vcc_lo, 0, v5
	v_cndmask_b32_e32 v5, v5, v4, vcc_lo
	v_cmp_eq_u32_e32 vcc_lo, 0, v4
	s_delay_alu instid0(VALU_DEP_2) | instskip(SKIP_4) | instid1(VALU_DEP_1)
	v_lshlrev_b32_e32 v5, 2, v5
	s_or_b32 s3, s0, vcc_lo
	ds_bpermute_b32 v5, v5, v6
	s_waitcnt lgkmcnt(0)
	v_cndmask_b32_e64 v4, v5, s1, s3
	v_add_f32_e32 v5, v3, v4
	global_store_b64 v[1:2], v[4:5], off
	s_and_saveexec_b32 s1, s0
	s_cbranch_execz .LBB256_4
; %bb.3:
	v_mov_b32_e32 v0, 0
	s_mov_b32 s3, 0
	s_delay_alu instid0(SALU_CYCLE_1) | instskip(NEXT) | instid1(SALU_CYCLE_1)
	s_lshl_b64 s[0:1], s[2:3], 2
	s_add_u32 s0, s6, s0
	ds_load_b32 v1, v0
	s_addc_u32 s1, s7, s1
	s_waitcnt lgkmcnt(0)
	global_store_b32 v0, v1, s[0:1]
.LBB256_4:
	s_nop 0
	s_sendmsg sendmsg(MSG_DEALLOC_VGPRS)
	s_endpgm
	.section	.rodata,"a",@progbits
	.p2align	6, 0x0
	.amdhsa_kernel _Z34exclusive_scan_reduce_array_kernelILj32ELj2ELN6hipcub18BlockScanAlgorithmE1EfEvPT2_S3_S2_
		.amdhsa_group_segment_fixed_size 4
		.amdhsa_private_segment_fixed_size 0
		.amdhsa_kernarg_size 20
		.amdhsa_user_sgpr_count 15
		.amdhsa_user_sgpr_dispatch_ptr 0
		.amdhsa_user_sgpr_queue_ptr 0
		.amdhsa_user_sgpr_kernarg_segment_ptr 1
		.amdhsa_user_sgpr_dispatch_id 0
		.amdhsa_user_sgpr_private_segment_size 0
		.amdhsa_wavefront_size32 1
		.amdhsa_uses_dynamic_stack 0
		.amdhsa_enable_private_segment 0
		.amdhsa_system_sgpr_workgroup_id_x 1
		.amdhsa_system_sgpr_workgroup_id_y 0
		.amdhsa_system_sgpr_workgroup_id_z 0
		.amdhsa_system_sgpr_workgroup_info 0
		.amdhsa_system_vgpr_workitem_id 0
		.amdhsa_next_free_vgpr 9
		.amdhsa_next_free_sgpr 16
		.amdhsa_reserve_vcc 1
		.amdhsa_float_round_mode_32 0
		.amdhsa_float_round_mode_16_64 0
		.amdhsa_float_denorm_mode_32 3
		.amdhsa_float_denorm_mode_16_64 3
		.amdhsa_dx10_clamp 1
		.amdhsa_ieee_mode 1
		.amdhsa_fp16_overflow 0
		.amdhsa_workgroup_processor_mode 1
		.amdhsa_memory_ordered 1
		.amdhsa_forward_progress 0
		.amdhsa_shared_vgpr_count 0
		.amdhsa_exception_fp_ieee_invalid_op 0
		.amdhsa_exception_fp_denorm_src 0
		.amdhsa_exception_fp_ieee_div_zero 0
		.amdhsa_exception_fp_ieee_overflow 0
		.amdhsa_exception_fp_ieee_underflow 0
		.amdhsa_exception_fp_ieee_inexact 0
		.amdhsa_exception_int_div_zero 0
	.end_amdhsa_kernel
	.section	.text._Z34exclusive_scan_reduce_array_kernelILj32ELj2ELN6hipcub18BlockScanAlgorithmE1EfEvPT2_S3_S2_,"axG",@progbits,_Z34exclusive_scan_reduce_array_kernelILj32ELj2ELN6hipcub18BlockScanAlgorithmE1EfEvPT2_S3_S2_,comdat
.Lfunc_end256:
	.size	_Z34exclusive_scan_reduce_array_kernelILj32ELj2ELN6hipcub18BlockScanAlgorithmE1EfEvPT2_S3_S2_, .Lfunc_end256-_Z34exclusive_scan_reduce_array_kernelILj32ELj2ELN6hipcub18BlockScanAlgorithmE1EfEvPT2_S3_S2_
                                        ; -- End function
	.section	.AMDGPU.csdata,"",@progbits
; Kernel info:
; codeLenInByte = 416
; NumSgprs: 18
; NumVgprs: 9
; ScratchSize: 0
; MemoryBound: 0
; FloatMode: 240
; IeeeMode: 1
; LDSByteSize: 4 bytes/workgroup (compile time only)
; SGPRBlocks: 2
; VGPRBlocks: 1
; NumSGPRsForWavesPerEU: 18
; NumVGPRsForWavesPerEU: 9
; Occupancy: 16
; WaveLimiterHint : 0
; COMPUTE_PGM_RSRC2:SCRATCH_EN: 0
; COMPUTE_PGM_RSRC2:USER_SGPR: 15
; COMPUTE_PGM_RSRC2:TRAP_HANDLER: 0
; COMPUTE_PGM_RSRC2:TGID_X_EN: 1
; COMPUTE_PGM_RSRC2:TGID_Y_EN: 0
; COMPUTE_PGM_RSRC2:TGID_Z_EN: 0
; COMPUTE_PGM_RSRC2:TIDIG_COMP_CNT: 0
	.section	.text._Z34exclusive_scan_reduce_array_kernelILj6ELj32ELN6hipcub18BlockScanAlgorithmE1EfEvPT2_S3_S2_,"axG",@progbits,_Z34exclusive_scan_reduce_array_kernelILj6ELj32ELN6hipcub18BlockScanAlgorithmE1EfEvPT2_S3_S2_,comdat
	.protected	_Z34exclusive_scan_reduce_array_kernelILj6ELj32ELN6hipcub18BlockScanAlgorithmE1EfEvPT2_S3_S2_ ; -- Begin function _Z34exclusive_scan_reduce_array_kernelILj6ELj32ELN6hipcub18BlockScanAlgorithmE1EfEvPT2_S3_S2_
	.globl	_Z34exclusive_scan_reduce_array_kernelILj6ELj32ELN6hipcub18BlockScanAlgorithmE1EfEvPT2_S3_S2_
	.p2align	8
	.type	_Z34exclusive_scan_reduce_array_kernelILj6ELj32ELN6hipcub18BlockScanAlgorithmE1EfEvPT2_S3_S2_,@function
_Z34exclusive_scan_reduce_array_kernelILj6ELj32ELN6hipcub18BlockScanAlgorithmE1EfEvPT2_S3_S2_: ; @_Z34exclusive_scan_reduce_array_kernelILj6ELj32ELN6hipcub18BlockScanAlgorithmE1EfEvPT2_S3_S2_
; %bb.0:
	s_load_b128 s[4:7], s[0:1], 0x0
	s_mul_i32 s3, s15, 6
	v_mov_b32_e32 v35, 0
	v_add_lshl_u32 v34, s3, v0, 5
	s_mov_b32 s2, s15
	s_mov_b32 s3, exec_lo
	s_delay_alu instid0(VALU_DEP_1) | instskip(SKIP_1) | instid1(VALU_DEP_1)
	v_lshlrev_b64 v[1:2], 2, v[34:35]
	s_waitcnt lgkmcnt(0)
	v_add_co_u32 v33, vcc_lo, s4, v1
	s_delay_alu instid0(VALU_DEP_2)
	v_add_co_ci_u32_e32 v34, vcc_lo, s5, v2, vcc_lo
	s_clause 0x7
	global_load_b128 v[29:32], v[33:34], off
	global_load_b128 v[25:28], v[33:34], off offset:16
	global_load_b128 v[21:24], v[33:34], off offset:32
	;; [unrolled: 1-line block ×7, first 2 shown]
	s_waitcnt vmcnt(7)
	v_add_f32_e32 v36, v29, v30
	s_delay_alu instid0(VALU_DEP_1) | instskip(NEXT) | instid1(VALU_DEP_1)
	v_add_f32_e32 v36, v36, v31
	v_add_f32_e32 v36, v36, v32
	s_waitcnt vmcnt(6)
	s_delay_alu instid0(VALU_DEP_1) | instskip(NEXT) | instid1(VALU_DEP_1)
	v_add_f32_e32 v36, v36, v25
	v_add_f32_e32 v36, v36, v26
	s_delay_alu instid0(VALU_DEP_1) | instskip(NEXT) | instid1(VALU_DEP_1)
	v_add_f32_e32 v36, v36, v27
	v_add_f32_e32 v36, v36, v28
	s_waitcnt vmcnt(5)
	s_delay_alu instid0(VALU_DEP_1) | instskip(NEXT) | instid1(VALU_DEP_1)
	v_add_f32_e32 v36, v36, v21
	;; [unrolled: 7-line block ×7, first 2 shown]
	v_add_f32_e32 v36, v36, v2
	s_delay_alu instid0(VALU_DEP_1) | instskip(NEXT) | instid1(VALU_DEP_1)
	v_add_f32_e32 v36, v36, v3
	v_add_f32_e32 v36, v36, v4
	v_mbcnt_lo_u32_b32 v4, -1, 0
	s_delay_alu instid0(VALU_DEP_2) | instskip(NEXT) | instid1(VALU_DEP_1)
	v_mov_b32_dpp v37, v36 row_shr:1 row_mask:0xf bank_mask:0xf
	v_dual_add_f32 v37, v36, v37 :: v_dual_and_b32 v38, 7, v4
	s_delay_alu instid0(VALU_DEP_1) | instskip(NEXT) | instid1(VALU_DEP_2)
	v_cmp_eq_u32_e32 vcc_lo, 0, v38
	v_cndmask_b32_e32 v36, v37, v36, vcc_lo
	v_cmp_lt_u32_e32 vcc_lo, 1, v38
	s_delay_alu instid0(VALU_DEP_2) | instskip(NEXT) | instid1(VALU_DEP_1)
	v_mov_b32_dpp v37, v36 row_shr:2 row_mask:0xf bank_mask:0xf
	v_add_f32_e32 v37, v36, v37
	s_delay_alu instid0(VALU_DEP_1) | instskip(SKIP_1) | instid1(VALU_DEP_2)
	v_cndmask_b32_e32 v36, v36, v37, vcc_lo
	v_cmp_lt_u32_e32 vcc_lo, 3, v38
	v_mov_b32_dpp v37, v36 row_shr:4 row_mask:0xf bank_mask:0xf
	s_delay_alu instid0(VALU_DEP_1) | instskip(NEXT) | instid1(VALU_DEP_1)
	v_add_f32_e32 v37, v36, v37
	v_cndmask_b32_e32 v36, v36, v37, vcc_lo
	v_cmpx_eq_u32_e32 5, v0
	s_cbranch_execz .LBB257_2
; %bb.1:
	ds_store_b32 v35, v36
.LBB257_2:
	s_or_b32 exec_lo, exec_lo, s3
	s_load_b32 s1, s[0:1], 0x10
	v_add_nc_u32_e32 v35, -1, v4
	v_and_b32_e32 v37, 24, v4
	v_cmp_eq_u32_e64 s0, 0, v0
	s_waitcnt vmcnt(0) lgkmcnt(0)
	s_waitcnt_vscnt null, 0x0
	; wave barrier
	s_waitcnt lgkmcnt(0)
	buffer_gl0_inv
	v_cmp_lt_i32_e32 vcc_lo, v35, v37
	v_cndmask_b32_e32 v35, v35, v4, vcc_lo
	v_cmp_eq_u32_e32 vcc_lo, 0, v4
	s_delay_alu instid0(VALU_DEP_2)
	v_lshlrev_b32_e32 v35, 2, v35
	s_or_b32 s3, s0, vcc_lo
	v_add_f32_e32 v36, s1, v36
	ds_bpermute_b32 v35, v35, v36
	s_waitcnt lgkmcnt(0)
	v_cndmask_b32_e64 v35, v35, s1, s3
	s_delay_alu instid0(VALU_DEP_1) | instskip(NEXT) | instid1(VALU_DEP_1)
	v_add_f32_e32 v36, v29, v35
	v_add_f32_e32 v37, v30, v36
	s_delay_alu instid0(VALU_DEP_1) | instskip(NEXT) | instid1(VALU_DEP_1)
	v_add_f32_e32 v38, v37, v31
	v_add_f32_e32 v29, v38, v32
	;; [unrolled: 3-line block ×5, first 2 shown]
	s_delay_alu instid0(VALU_DEP_1) | instskip(SKIP_4) | instid1(VALU_DEP_1)
	v_add_f32_e32 v28, v27, v23
	s_clause 0x1
	global_store_b128 v[33:34], v[35:38], off
	global_store_b128 v[33:34], v[29:32], off offset:16
	v_add_f32_e32 v21, v28, v24
	v_add_f32_e32 v22, v21, v13
	s_delay_alu instid0(VALU_DEP_1) | instskip(NEXT) | instid1(VALU_DEP_1)
	v_add_f32_e32 v23, v22, v14
	v_add_f32_e32 v24, v23, v15
	s_delay_alu instid0(VALU_DEP_1) | instskip(NEXT) | instid1(VALU_DEP_1)
	v_add_f32_e32 v13, v24, v16
	v_add_f32_e32 v14, v13, v17
	s_delay_alu instid0(VALU_DEP_1) | instskip(NEXT) | instid1(VALU_DEP_1)
	v_add_f32_e32 v15, v14, v18
	v_add_f32_e32 v16, v15, v19
	s_delay_alu instid0(VALU_DEP_1) | instskip(NEXT) | instid1(VALU_DEP_1)
	v_add_f32_e32 v17, v16, v20
	v_add_f32_e32 v18, v17, v9
	s_delay_alu instid0(VALU_DEP_1) | instskip(NEXT) | instid1(VALU_DEP_1)
	v_add_f32_e32 v19, v18, v10
	v_add_f32_e32 v20, v19, v11
	s_delay_alu instid0(VALU_DEP_1) | instskip(NEXT) | instid1(VALU_DEP_1)
	v_add_f32_e32 v4, v20, v12
	v_add_f32_e32 v5, v4, v5
	s_delay_alu instid0(VALU_DEP_1) | instskip(NEXT) | instid1(VALU_DEP_1)
	v_add_f32_e32 v6, v5, v6
	v_add_f32_e32 v7, v6, v7
	s_delay_alu instid0(VALU_DEP_1) | instskip(NEXT) | instid1(VALU_DEP_1)
	v_add_f32_e32 v0, v7, v8
	v_add_f32_e32 v1, v0, v1
	s_delay_alu instid0(VALU_DEP_1) | instskip(NEXT) | instid1(VALU_DEP_1)
	v_add_f32_e32 v2, v1, v2
	v_add_f32_e32 v3, v2, v3
	s_clause 0x5
	global_store_b128 v[33:34], v[25:28], off offset:32
	global_store_b128 v[33:34], v[21:24], off offset:48
	;; [unrolled: 1-line block ×6, first 2 shown]
	s_and_saveexec_b32 s1, s0
	s_cbranch_execz .LBB257_4
; %bb.3:
	v_mov_b32_e32 v0, 0
	s_mov_b32 s3, 0
	s_delay_alu instid0(SALU_CYCLE_1) | instskip(NEXT) | instid1(SALU_CYCLE_1)
	s_lshl_b64 s[0:1], s[2:3], 2
	s_add_u32 s0, s6, s0
	ds_load_b32 v1, v0
	s_addc_u32 s1, s7, s1
	s_waitcnt lgkmcnt(0)
	global_store_b32 v0, v1, s[0:1]
.LBB257_4:
	s_nop 0
	s_sendmsg sendmsg(MSG_DEALLOC_VGPRS)
	s_endpgm
	.section	.rodata,"a",@progbits
	.p2align	6, 0x0
	.amdhsa_kernel _Z34exclusive_scan_reduce_array_kernelILj6ELj32ELN6hipcub18BlockScanAlgorithmE1EfEvPT2_S3_S2_
		.amdhsa_group_segment_fixed_size 4
		.amdhsa_private_segment_fixed_size 0
		.amdhsa_kernarg_size 20
		.amdhsa_user_sgpr_count 15
		.amdhsa_user_sgpr_dispatch_ptr 0
		.amdhsa_user_sgpr_queue_ptr 0
		.amdhsa_user_sgpr_kernarg_segment_ptr 1
		.amdhsa_user_sgpr_dispatch_id 0
		.amdhsa_user_sgpr_private_segment_size 0
		.amdhsa_wavefront_size32 1
		.amdhsa_uses_dynamic_stack 0
		.amdhsa_enable_private_segment 0
		.amdhsa_system_sgpr_workgroup_id_x 1
		.amdhsa_system_sgpr_workgroup_id_y 0
		.amdhsa_system_sgpr_workgroup_id_z 0
		.amdhsa_system_sgpr_workgroup_info 0
		.amdhsa_system_vgpr_workitem_id 0
		.amdhsa_next_free_vgpr 39
		.amdhsa_next_free_sgpr 16
		.amdhsa_reserve_vcc 1
		.amdhsa_float_round_mode_32 0
		.amdhsa_float_round_mode_16_64 0
		.amdhsa_float_denorm_mode_32 3
		.amdhsa_float_denorm_mode_16_64 3
		.amdhsa_dx10_clamp 1
		.amdhsa_ieee_mode 1
		.amdhsa_fp16_overflow 0
		.amdhsa_workgroup_processor_mode 1
		.amdhsa_memory_ordered 1
		.amdhsa_forward_progress 0
		.amdhsa_shared_vgpr_count 0
		.amdhsa_exception_fp_ieee_invalid_op 0
		.amdhsa_exception_fp_denorm_src 0
		.amdhsa_exception_fp_ieee_div_zero 0
		.amdhsa_exception_fp_ieee_overflow 0
		.amdhsa_exception_fp_ieee_underflow 0
		.amdhsa_exception_fp_ieee_inexact 0
		.amdhsa_exception_int_div_zero 0
	.end_amdhsa_kernel
	.section	.text._Z34exclusive_scan_reduce_array_kernelILj6ELj32ELN6hipcub18BlockScanAlgorithmE1EfEvPT2_S3_S2_,"axG",@progbits,_Z34exclusive_scan_reduce_array_kernelILj6ELj32ELN6hipcub18BlockScanAlgorithmE1EfEvPT2_S3_S2_,comdat
.Lfunc_end257:
	.size	_Z34exclusive_scan_reduce_array_kernelILj6ELj32ELN6hipcub18BlockScanAlgorithmE1EfEvPT2_S3_S2_, .Lfunc_end257-_Z34exclusive_scan_reduce_array_kernelILj6ELj32ELN6hipcub18BlockScanAlgorithmE1EfEvPT2_S3_S2_
                                        ; -- End function
	.section	.AMDGPU.csdata,"",@progbits
; Kernel info:
; codeLenInByte = 872
; NumSgprs: 18
; NumVgprs: 39
; ScratchSize: 0
; MemoryBound: 0
; FloatMode: 240
; IeeeMode: 1
; LDSByteSize: 4 bytes/workgroup (compile time only)
; SGPRBlocks: 2
; VGPRBlocks: 4
; NumSGPRsForWavesPerEU: 18
; NumVGPRsForWavesPerEU: 39
; Occupancy: 16
; WaveLimiterHint : 0
; COMPUTE_PGM_RSRC2:SCRATCH_EN: 0
; COMPUTE_PGM_RSRC2:USER_SGPR: 15
; COMPUTE_PGM_RSRC2:TRAP_HANDLER: 0
; COMPUTE_PGM_RSRC2:TGID_X_EN: 1
; COMPUTE_PGM_RSRC2:TGID_Y_EN: 0
; COMPUTE_PGM_RSRC2:TGID_Z_EN: 0
; COMPUTE_PGM_RSRC2:TIDIG_COMP_CNT: 0
	.section	.text._Z34exclusive_scan_reduce_array_kernelILj16ELj5ELN6hipcub18BlockScanAlgorithmE0E12hip_bfloat16EvPT2_S4_S3_,"axG",@progbits,_Z34exclusive_scan_reduce_array_kernelILj16ELj5ELN6hipcub18BlockScanAlgorithmE0E12hip_bfloat16EvPT2_S4_S3_,comdat
	.protected	_Z34exclusive_scan_reduce_array_kernelILj16ELj5ELN6hipcub18BlockScanAlgorithmE0E12hip_bfloat16EvPT2_S4_S3_ ; -- Begin function _Z34exclusive_scan_reduce_array_kernelILj16ELj5ELN6hipcub18BlockScanAlgorithmE0E12hip_bfloat16EvPT2_S4_S3_
	.globl	_Z34exclusive_scan_reduce_array_kernelILj16ELj5ELN6hipcub18BlockScanAlgorithmE0E12hip_bfloat16EvPT2_S4_S3_
	.p2align	8
	.type	_Z34exclusive_scan_reduce_array_kernelILj16ELj5ELN6hipcub18BlockScanAlgorithmE0E12hip_bfloat16EvPT2_S4_S3_,@function
_Z34exclusive_scan_reduce_array_kernelILj16ELj5ELN6hipcub18BlockScanAlgorithmE0E12hip_bfloat16EvPT2_S4_S3_: ; @_Z34exclusive_scan_reduce_array_kernelILj16ELj5ELN6hipcub18BlockScanAlgorithmE0E12hip_bfloat16EvPT2_S4_S3_
; %bb.0:
	s_mov_b32 s2, s15
	s_load_b128 s[4:7], s[0:1], 0x0
	v_lshl_or_b32 v1, s2, 4, v0
	s_delay_alu instid0(VALU_DEP_1) | instskip(NEXT) | instid1(VALU_DEP_1)
	v_lshl_add_u32 v8, v1, 2, v1
	v_dual_mov_b32 v9, 0 :: v_dual_add_nc_u32 v10, 2, v8
	s_delay_alu instid0(VALU_DEP_1) | instskip(SKIP_3) | instid1(VALU_DEP_4)
	v_dual_mov_b32 v2, v9 :: v_dual_add_nc_u32 v1, 1, v8
	v_dual_mov_b32 v4, v9 :: v_dual_add_nc_u32 v3, 3, v8
	v_lshlrev_b64 v[5:6], 1, v[8:9]
	v_add_nc_u32_e32 v8, 4, v8
	v_lshlrev_b64 v[11:12], 1, v[1:2]
	s_delay_alu instid0(VALU_DEP_4) | instskip(NEXT) | instid1(VALU_DEP_3)
	v_lshlrev_b64 v[1:2], 1, v[3:4]
	v_lshlrev_b64 v[7:8], 1, v[8:9]
	s_waitcnt lgkmcnt(0)
	v_add_co_u32 v3, vcc_lo, s4, v5
	v_add_co_ci_u32_e32 v4, vcc_lo, s5, v6, vcc_lo
	s_delay_alu instid0(VALU_DEP_4)
	v_add_co_u32 v1, vcc_lo, s4, v1
	v_add_co_ci_u32_e32 v2, vcc_lo, s5, v2, vcc_lo
	v_add_co_u32 v5, vcc_lo, s4, v7
	v_add_co_ci_u32_e32 v6, vcc_lo, s5, v8, vcc_lo
	v_add_co_u32 v7, vcc_lo, s4, v11
	v_mov_b32_e32 v11, v9
	v_add_co_ci_u32_e32 v8, vcc_lo, s5, v12, vcc_lo
	s_clause 0x3
	global_load_u16 v13, v[1:2], off
	global_load_u16 v15, v[5:6], off
	;; [unrolled: 1-line block ×4, first 2 shown]
	v_lshlrev_b64 v[9:10], 1, v[10:11]
	s_delay_alu instid0(VALU_DEP_1) | instskip(NEXT) | instid1(VALU_DEP_2)
	v_add_co_u32 v9, vcc_lo, s4, v9
	v_add_co_ci_u32_e32 v10, vcc_lo, s5, v10, vcc_lo
	global_load_u16 v12, v[9:10], off
	s_waitcnt vmcnt(2)
	v_lshlrev_b32_e32 v14, 16, v14
	s_waitcnt vmcnt(1)
	v_lshlrev_b32_e32 v11, 16, v16
	s_delay_alu instid0(VALU_DEP_1) | instskip(NEXT) | instid1(VALU_DEP_1)
	v_add_f32_e32 v16, v14, v11
	v_and_b32_e32 v17, 0x7f800000, v16
	s_delay_alu instid0(VALU_DEP_1) | instskip(SKIP_1) | instid1(SALU_CYCLE_1)
	v_cmp_ne_u32_e32 vcc_lo, 0x7f800000, v17
                                        ; implicit-def: $vgpr17
	s_and_saveexec_b32 s3, vcc_lo
	s_xor_b32 s3, exec_lo, s3
; %bb.1:
	v_bfe_u32 v17, v16, 16, 1
	s_delay_alu instid0(VALU_DEP_1)
	v_add3_u32 v17, v16, v17, 0x7fff
                                        ; implicit-def: $vgpr16
; %bb.2:
	s_and_not1_saveexec_b32 s3, s3
; %bb.3:
	v_and_b32_e32 v17, 0xffff, v16
	v_or_b32_e32 v18, 0x10000, v16
	s_delay_alu instid0(VALU_DEP_2) | instskip(NEXT) | instid1(VALU_DEP_2)
	v_cmp_eq_u32_e32 vcc_lo, 0, v17
	v_cndmask_b32_e32 v17, v18, v16, vcc_lo
; %bb.4:
	s_or_b32 exec_lo, exec_lo, s3
	s_delay_alu instid0(VALU_DEP_1) | instskip(SKIP_2) | instid1(VALU_DEP_1)
	v_and_b32_e32 v16, 0xffff0000, v17
	s_waitcnt vmcnt(0)
	v_lshlrev_b32_e32 v12, 16, v12
	v_add_f32_e32 v16, v16, v12
	s_delay_alu instid0(VALU_DEP_1) | instskip(NEXT) | instid1(VALU_DEP_1)
	v_and_b32_e32 v17, 0x7f800000, v16
	v_cmp_ne_u32_e32 vcc_lo, 0x7f800000, v17
                                        ; implicit-def: $vgpr17
	s_and_saveexec_b32 s3, vcc_lo
	s_delay_alu instid0(SALU_CYCLE_1)
	s_xor_b32 s3, exec_lo, s3
; %bb.5:
	v_bfe_u32 v17, v16, 16, 1
	s_delay_alu instid0(VALU_DEP_1)
	v_add3_u32 v17, v16, v17, 0x7fff
                                        ; implicit-def: $vgpr16
; %bb.6:
	s_and_not1_saveexec_b32 s3, s3
; %bb.7:
	v_and_b32_e32 v17, 0xffff, v16
	v_or_b32_e32 v18, 0x10000, v16
	s_delay_alu instid0(VALU_DEP_2) | instskip(NEXT) | instid1(VALU_DEP_2)
	v_cmp_eq_u32_e32 vcc_lo, 0, v17
	v_cndmask_b32_e32 v17, v18, v16, vcc_lo
; %bb.8:
	s_or_b32 exec_lo, exec_lo, s3
	s_delay_alu instid0(VALU_DEP_1) | instskip(SKIP_1) | instid1(VALU_DEP_1)
	v_and_b32_e32 v16, 0xffff0000, v17
	v_lshlrev_b32_e32 v13, 16, v13
	v_add_f32_e32 v16, v16, v13
	s_delay_alu instid0(VALU_DEP_1) | instskip(NEXT) | instid1(VALU_DEP_1)
	v_and_b32_e32 v17, 0x7f800000, v16
	v_cmp_ne_u32_e32 vcc_lo, 0x7f800000, v17
                                        ; implicit-def: $vgpr17
	s_and_saveexec_b32 s3, vcc_lo
	s_delay_alu instid0(SALU_CYCLE_1)
	s_xor_b32 s3, exec_lo, s3
; %bb.9:
	v_bfe_u32 v17, v16, 16, 1
	s_delay_alu instid0(VALU_DEP_1)
	v_add3_u32 v17, v16, v17, 0x7fff
                                        ; implicit-def: $vgpr16
; %bb.10:
	s_and_not1_saveexec_b32 s3, s3
; %bb.11:
	v_and_b32_e32 v17, 0xffff, v16
	v_or_b32_e32 v18, 0x10000, v16
	s_delay_alu instid0(VALU_DEP_2) | instskip(NEXT) | instid1(VALU_DEP_2)
	v_cmp_eq_u32_e32 vcc_lo, 0, v17
	v_cndmask_b32_e32 v17, v18, v16, vcc_lo
; %bb.12:
	s_or_b32 exec_lo, exec_lo, s3
	s_delay_alu instid0(VALU_DEP_1) | instskip(SKIP_1) | instid1(VALU_DEP_1)
	v_and_b32_e32 v16, 0xffff0000, v17
	v_lshlrev_b32_e32 v15, 16, v15
	v_add_f32_e32 v15, v16, v15
	s_delay_alu instid0(VALU_DEP_1) | instskip(NEXT) | instid1(VALU_DEP_1)
	v_and_b32_e32 v16, 0x7f800000, v15
	v_cmp_ne_u32_e32 vcc_lo, 0x7f800000, v16
                                        ; implicit-def: $vgpr16
	s_and_saveexec_b32 s3, vcc_lo
	s_delay_alu instid0(SALU_CYCLE_1)
	s_xor_b32 s3, exec_lo, s3
; %bb.13:
	v_bfe_u32 v16, v15, 16, 1
	s_delay_alu instid0(VALU_DEP_1)
	v_add3_u32 v16, v15, v16, 0x7fff
                                        ; implicit-def: $vgpr15
; %bb.14:
	s_and_not1_saveexec_b32 s3, s3
; %bb.15:
	v_and_b32_e32 v16, 0xffff, v15
	v_or_b32_e32 v17, 0x10000, v15
	s_delay_alu instid0(VALU_DEP_2) | instskip(NEXT) | instid1(VALU_DEP_2)
	v_cmp_eq_u32_e32 vcc_lo, 0, v16
	v_cndmask_b32_e32 v16, v17, v15, vcc_lo
; %bb.16:
	s_or_b32 exec_lo, exec_lo, s3
	s_delay_alu instid0(VALU_DEP_1) | instskip(SKIP_2) | instid1(VALU_DEP_2)
	v_lshrrev_b32_e32 v18, 16, v16
	v_and_b32_e32 v17, 0xffff0000, v16
	s_mov_b32 s3, exec_lo
                                        ; implicit-def: $vgpr19
	v_mov_b32_dpp v15, v18 row_shr:1 row_mask:0xf bank_mask:0xf
	s_delay_alu instid0(VALU_DEP_1) | instskip(NEXT) | instid1(VALU_DEP_1)
	v_lshlrev_b32_e32 v15, 16, v15
	v_add_f32_e32 v15, v17, v15
	s_delay_alu instid0(VALU_DEP_1) | instskip(NEXT) | instid1(VALU_DEP_1)
	v_and_b32_e32 v16, 0x7f800000, v15
	v_cmpx_ne_u32_e32 0x7f800000, v16
	s_xor_b32 s3, exec_lo, s3
; %bb.17:
	v_bfe_u32 v16, v15, 16, 1
	s_delay_alu instid0(VALU_DEP_1)
	v_add3_u32 v19, v15, v16, 0x7fff
                                        ; implicit-def: $vgpr15
; %bb.18:
	s_and_not1_saveexec_b32 s3, s3
; %bb.19:
	v_and_b32_e32 v16, 0xffff, v15
	v_or_b32_e32 v19, 0x10000, v15
	s_delay_alu instid0(VALU_DEP_2) | instskip(NEXT) | instid1(VALU_DEP_2)
	v_cmp_eq_u32_e32 vcc_lo, 0, v16
	v_cndmask_b32_e32 v19, v19, v15, vcc_lo
; %bb.20:
	s_or_b32 exec_lo, exec_lo, s3
	v_mbcnt_lo_u32_b32 v15, -1, 0
	s_delay_alu instid0(VALU_DEP_2) | instskip(SKIP_1) | instid1(VALU_DEP_3)
	v_lshrrev_b32_e32 v20, 16, v19
	v_and_b32_e32 v19, 0xffff0000, v19
	v_and_b32_e32 v16, 15, v15
	s_delay_alu instid0(VALU_DEP_1) | instskip(NEXT) | instid1(VALU_DEP_3)
	v_cmp_eq_u32_e32 vcc_lo, 0, v16
	v_dual_cndmask_b32 v17, v19, v17 :: v_dual_cndmask_b32 v18, v20, v18
	s_delay_alu instid0(VALU_DEP_1) | instskip(NEXT) | instid1(VALU_DEP_1)
	v_mov_b32_dpp v20, v18 row_shr:2 row_mask:0xf bank_mask:0xf
	v_lshlrev_b32_e32 v19, 16, v20
	s_delay_alu instid0(VALU_DEP_1) | instskip(NEXT) | instid1(VALU_DEP_1)
	v_add_f32_e32 v20, v17, v19
	v_and_b32_e32 v19, 0x7f800000, v20
	s_delay_alu instid0(VALU_DEP_1) | instskip(SKIP_1) | instid1(SALU_CYCLE_1)
	v_cmp_ne_u32_e32 vcc_lo, 0x7f800000, v19
                                        ; implicit-def: $vgpr19
	s_and_saveexec_b32 s3, vcc_lo
	s_xor_b32 s3, exec_lo, s3
; %bb.21:
	v_bfe_u32 v19, v20, 16, 1
	s_delay_alu instid0(VALU_DEP_1)
	v_add3_u32 v19, v20, v19, 0x7fff
                                        ; implicit-def: $vgpr20
; %bb.22:
	s_and_not1_saveexec_b32 s3, s3
; %bb.23:
	v_and_b32_e32 v19, 0xffff, v20
	v_or_b32_e32 v21, 0x10000, v20
	s_delay_alu instid0(VALU_DEP_2) | instskip(NEXT) | instid1(VALU_DEP_2)
	v_cmp_eq_u32_e32 vcc_lo, 0, v19
	v_cndmask_b32_e32 v19, v21, v20, vcc_lo
; %bb.24:
	s_or_b32 exec_lo, exec_lo, s3
	s_delay_alu instid0(VALU_DEP_1) | instskip(SKIP_1) | instid1(VALU_DEP_2)
	v_lshrrev_b32_e32 v20, 16, v19
	v_cmp_lt_u32_e32 vcc_lo, 1, v16
	v_dual_cndmask_b32 v18, v18, v20 :: v_dual_and_b32 v19, 0xffff0000, v19
	s_delay_alu instid0(VALU_DEP_1) | instskip(NEXT) | instid1(VALU_DEP_2)
	v_cndmask_b32_e32 v17, v17, v19, vcc_lo
	v_mov_b32_dpp v20, v18 row_shr:4 row_mask:0xf bank_mask:0xf
	s_delay_alu instid0(VALU_DEP_1) | instskip(NEXT) | instid1(VALU_DEP_1)
	v_lshlrev_b32_e32 v19, 16, v20
	v_add_f32_e32 v20, v17, v19
	s_delay_alu instid0(VALU_DEP_1) | instskip(NEXT) | instid1(VALU_DEP_1)
	v_and_b32_e32 v19, 0x7f800000, v20
	v_cmp_ne_u32_e32 vcc_lo, 0x7f800000, v19
                                        ; implicit-def: $vgpr19
	s_and_saveexec_b32 s3, vcc_lo
	s_delay_alu instid0(SALU_CYCLE_1)
	s_xor_b32 s3, exec_lo, s3
; %bb.25:
	v_bfe_u32 v19, v20, 16, 1
	s_delay_alu instid0(VALU_DEP_1)
	v_add3_u32 v19, v20, v19, 0x7fff
                                        ; implicit-def: $vgpr20
; %bb.26:
	s_and_not1_saveexec_b32 s3, s3
; %bb.27:
	v_and_b32_e32 v19, 0xffff, v20
	v_or_b32_e32 v21, 0x10000, v20
	s_delay_alu instid0(VALU_DEP_2) | instskip(NEXT) | instid1(VALU_DEP_2)
	v_cmp_eq_u32_e32 vcc_lo, 0, v19
	v_cndmask_b32_e32 v19, v21, v20, vcc_lo
; %bb.28:
	s_or_b32 exec_lo, exec_lo, s3
	s_delay_alu instid0(VALU_DEP_1) | instskip(SKIP_1) | instid1(VALU_DEP_2)
	v_lshrrev_b32_e32 v20, 16, v19
	v_cmp_lt_u32_e32 vcc_lo, 3, v16
	v_dual_cndmask_b32 v18, v18, v20 :: v_dual_and_b32 v19, 0xffff0000, v19
	s_delay_alu instid0(VALU_DEP_1) | instskip(NEXT) | instid1(VALU_DEP_2)
	v_cndmask_b32_e32 v17, v17, v19, vcc_lo
	v_mov_b32_dpp v20, v18 row_shr:8 row_mask:0xf bank_mask:0xf
	s_delay_alu instid0(VALU_DEP_1) | instskip(NEXT) | instid1(VALU_DEP_1)
	v_lshlrev_b32_e32 v19, 16, v20
	v_add_f32_e32 v17, v17, v19
	s_delay_alu instid0(VALU_DEP_1) | instskip(NEXT) | instid1(VALU_DEP_1)
	v_and_b32_e32 v19, 0x7f800000, v17
	v_cmp_ne_u32_e32 vcc_lo, 0x7f800000, v19
                                        ; implicit-def: $vgpr19
	s_and_saveexec_b32 s3, vcc_lo
	s_delay_alu instid0(SALU_CYCLE_1)
	s_xor_b32 s3, exec_lo, s3
; %bb.29:
	v_bfe_u32 v19, v17, 16, 1
	s_delay_alu instid0(VALU_DEP_1)
	v_add3_u32 v19, v17, v19, 0x7fff
                                        ; implicit-def: $vgpr17
; %bb.30:
	s_and_not1_saveexec_b32 s3, s3
; %bb.31:
	v_and_b32_e32 v19, 0xffff, v17
	v_or_b32_e32 v20, 0x10000, v17
	s_delay_alu instid0(VALU_DEP_2) | instskip(NEXT) | instid1(VALU_DEP_2)
	v_cmp_eq_u32_e32 vcc_lo, 0, v19
	v_cndmask_b32_e32 v19, v20, v17, vcc_lo
; %bb.32:
	s_or_b32 exec_lo, exec_lo, s3
	s_delay_alu instid0(VALU_DEP_1) | instskip(SKIP_2) | instid1(VALU_DEP_2)
	v_lshrrev_b32_e32 v17, 16, v19
	v_cmp_lt_u32_e32 vcc_lo, 7, v16
	s_mov_b32 s3, exec_lo
	v_cndmask_b32_e32 v16, v18, v17, vcc_lo
	v_cmpx_eq_u32_e32 15, v0
	s_cbranch_execz .LBB258_34
; %bb.33:
	v_mov_b32_e32 v17, 0
	ds_store_b16 v17, v16
.LBB258_34:
	s_or_b32 exec_lo, exec_lo, s3
	s_load_b32 s1, s[0:1], 0x10
	v_lshlrev_b32_e32 v16, 16, v16
	s_waitcnt vmcnt(0) lgkmcnt(0)
	s_waitcnt_vscnt null, 0x0
	; wave barrier
	s_waitcnt lgkmcnt(0)
	buffer_gl0_inv
	s_lshl_b32 s0, s1, 16
	s_delay_alu instid0(SALU_CYCLE_1) | instskip(NEXT) | instid1(VALU_DEP_1)
	v_add_f32_e32 v16, s0, v16
	v_and_b32_e32 v17, 0x7f800000, v16
	s_delay_alu instid0(VALU_DEP_1) | instskip(SKIP_1) | instid1(SALU_CYCLE_1)
	v_cmp_ne_u32_e32 vcc_lo, 0x7f800000, v17
                                        ; implicit-def: $vgpr17
	s_and_saveexec_b32 s0, vcc_lo
	s_xor_b32 s0, exec_lo, s0
; %bb.35:
	v_bfe_u32 v17, v16, 16, 1
	s_delay_alu instid0(VALU_DEP_1)
	v_add3_u32 v17, v16, v17, 0x7fff
                                        ; implicit-def: $vgpr16
; %bb.36:
	s_and_not1_saveexec_b32 s0, s0
; %bb.37:
	v_and_b32_e32 v17, 0xffff, v16
	v_or_b32_e32 v18, 0x10000, v16
	s_delay_alu instid0(VALU_DEP_2) | instskip(NEXT) | instid1(VALU_DEP_2)
	v_cmp_eq_u32_e32 vcc_lo, 0, v17
	v_cndmask_b32_e32 v17, v18, v16, vcc_lo
; %bb.38:
	s_or_b32 exec_lo, exec_lo, s0
	v_add_nc_u32_e32 v16, -1, v15
	v_and_b32_e32 v18, 16, v15
	s_delay_alu instid0(VALU_DEP_3) | instskip(SKIP_1) | instid1(VALU_DEP_3)
	v_lshrrev_b32_e32 v17, 16, v17
	v_cmp_eq_u32_e64 s0, 0, v15
	v_cmp_lt_i32_e32 vcc_lo, v16, v18
	v_cndmask_b32_e32 v16, v16, v15, vcc_lo
	v_cmp_eq_u32_e32 vcc_lo, 0, v0
	s_delay_alu instid0(VALU_DEP_2) | instskip(SKIP_4) | instid1(VALU_DEP_1)
	v_lshlrev_b32_e32 v16, 2, v16
	s_or_b32 s0, vcc_lo, s0
	ds_bpermute_b32 v16, v16, v17
	s_waitcnt lgkmcnt(0)
	v_cndmask_b32_e64 v0, v16, s1, s0
	v_lshlrev_b32_e32 v15, 16, v0
	s_delay_alu instid0(VALU_DEP_1) | instskip(NEXT) | instid1(VALU_DEP_1)
	v_add_f32_e32 v15, v14, v15
	v_and_b32_e32 v14, 0x7f800000, v15
	s_delay_alu instid0(VALU_DEP_1) | instskip(NEXT) | instid1(VALU_DEP_1)
	v_cmp_ne_u32_e64 s0, 0x7f800000, v14
                                        ; implicit-def: $vgpr14
	s_and_saveexec_b32 s1, s0
	s_delay_alu instid0(SALU_CYCLE_1)
	s_xor_b32 s0, exec_lo, s1
; %bb.39:
	v_bfe_u32 v14, v15, 16, 1
	s_delay_alu instid0(VALU_DEP_1)
	v_add3_u32 v14, v15, v14, 0x7fff
                                        ; implicit-def: $vgpr15
; %bb.40:
	s_and_not1_saveexec_b32 s1, s0
; %bb.41:
	v_and_b32_e32 v14, 0xffff, v15
	v_or_b32_e32 v16, 0x10000, v15
	s_delay_alu instid0(VALU_DEP_2) | instskip(NEXT) | instid1(VALU_DEP_1)
	v_cmp_eq_u32_e64 s0, 0, v14
	v_cndmask_b32_e64 v14, v16, v15, s0
; %bb.42:
	s_or_b32 exec_lo, exec_lo, s1
	s_delay_alu instid0(VALU_DEP_1) | instskip(NEXT) | instid1(VALU_DEP_1)
	v_and_b32_e32 v15, 0xffff0000, v14
	v_add_f32_e32 v15, v15, v11
	s_delay_alu instid0(VALU_DEP_1) | instskip(NEXT) | instid1(VALU_DEP_1)
	v_and_b32_e32 v11, 0x7f800000, v15
	v_cmp_ne_u32_e64 s0, 0x7f800000, v11
                                        ; implicit-def: $vgpr11
	s_delay_alu instid0(VALU_DEP_1) | instskip(NEXT) | instid1(SALU_CYCLE_1)
	s_and_saveexec_b32 s1, s0
	s_xor_b32 s0, exec_lo, s1
; %bb.43:
	v_bfe_u32 v11, v15, 16, 1
	s_delay_alu instid0(VALU_DEP_1)
	v_add3_u32 v11, v15, v11, 0x7fff
                                        ; implicit-def: $vgpr15
; %bb.44:
	s_and_not1_saveexec_b32 s1, s0
; %bb.45:
	v_and_b32_e32 v11, 0xffff, v15
	v_or_b32_e32 v16, 0x10000, v15
	s_delay_alu instid0(VALU_DEP_2) | instskip(NEXT) | instid1(VALU_DEP_1)
	v_cmp_eq_u32_e64 s0, 0, v11
	v_cndmask_b32_e64 v11, v16, v15, s0
; %bb.46:
	s_or_b32 exec_lo, exec_lo, s1
	s_delay_alu instid0(VALU_DEP_1) | instskip(NEXT) | instid1(VALU_DEP_1)
	v_and_b32_e32 v15, 0xffff0000, v11
	v_add_f32_e32 v15, v15, v12
	s_delay_alu instid0(VALU_DEP_1) | instskip(NEXT) | instid1(VALU_DEP_1)
	v_and_b32_e32 v12, 0x7f800000, v15
	v_cmp_ne_u32_e64 s0, 0x7f800000, v12
                                        ; implicit-def: $vgpr12
	s_delay_alu instid0(VALU_DEP_1) | instskip(NEXT) | instid1(SALU_CYCLE_1)
	s_and_saveexec_b32 s1, s0
	s_xor_b32 s0, exec_lo, s1
; %bb.47:
	v_bfe_u32 v12, v15, 16, 1
	s_delay_alu instid0(VALU_DEP_1)
	v_add3_u32 v12, v15, v12, 0x7fff
                                        ; implicit-def: $vgpr15
; %bb.48:
	s_and_not1_saveexec_b32 s1, s0
; %bb.49:
	v_and_b32_e32 v12, 0xffff, v15
	v_or_b32_e32 v16, 0x10000, v15
	s_delay_alu instid0(VALU_DEP_2) | instskip(NEXT) | instid1(VALU_DEP_1)
	v_cmp_eq_u32_e64 s0, 0, v12
	v_cndmask_b32_e64 v12, v16, v15, s0
; %bb.50:
	s_or_b32 exec_lo, exec_lo, s1
	s_delay_alu instid0(VALU_DEP_1) | instskip(NEXT) | instid1(VALU_DEP_1)
	v_and_b32_e32 v15, 0xffff0000, v12
	v_add_f32_e32 v15, v15, v13
	s_delay_alu instid0(VALU_DEP_1) | instskip(NEXT) | instid1(VALU_DEP_1)
	v_and_b32_e32 v13, 0x7f800000, v15
	v_cmp_ne_u32_e64 s0, 0x7f800000, v13
                                        ; implicit-def: $vgpr13
	s_delay_alu instid0(VALU_DEP_1) | instskip(NEXT) | instid1(SALU_CYCLE_1)
	s_and_saveexec_b32 s1, s0
	s_xor_b32 s0, exec_lo, s1
; %bb.51:
	v_bfe_u32 v13, v15, 16, 1
	s_delay_alu instid0(VALU_DEP_1)
	v_add3_u32 v13, v15, v13, 0x7fff
                                        ; implicit-def: $vgpr15
; %bb.52:
	s_and_not1_saveexec_b32 s1, s0
; %bb.53:
	v_and_b32_e32 v13, 0xffff, v15
	v_or_b32_e32 v16, 0x10000, v15
	s_delay_alu instid0(VALU_DEP_2) | instskip(NEXT) | instid1(VALU_DEP_1)
	v_cmp_eq_u32_e64 s0, 0, v13
	v_cndmask_b32_e64 v13, v16, v15, s0
; %bb.54:
	s_or_b32 exec_lo, exec_lo, s1
	s_clause 0x4
	global_store_b16 v[3:4], v0, off
	global_store_d16_hi_b16 v[7:8], v14, off
	global_store_d16_hi_b16 v[9:10], v11, off
	;; [unrolled: 1-line block ×4, first 2 shown]
	s_and_saveexec_b32 s0, vcc_lo
	s_cbranch_execz .LBB258_56
; %bb.55:
	v_mov_b32_e32 v0, 0
	s_mov_b32 s3, 0
	s_delay_alu instid0(SALU_CYCLE_1) | instskip(NEXT) | instid1(SALU_CYCLE_1)
	s_lshl_b64 s[0:1], s[2:3], 1
	s_add_u32 s0, s6, s0
	ds_load_u16 v1, v0
	s_addc_u32 s1, s7, s1
	s_waitcnt lgkmcnt(0)
	global_store_b16 v0, v1, s[0:1]
.LBB258_56:
	s_nop 0
	s_sendmsg sendmsg(MSG_DEALLOC_VGPRS)
	s_endpgm
	.section	.rodata,"a",@progbits
	.p2align	6, 0x0
	.amdhsa_kernel _Z34exclusive_scan_reduce_array_kernelILj16ELj5ELN6hipcub18BlockScanAlgorithmE0E12hip_bfloat16EvPT2_S4_S3_
		.amdhsa_group_segment_fixed_size 2
		.amdhsa_private_segment_fixed_size 0
		.amdhsa_kernarg_size 20
		.amdhsa_user_sgpr_count 15
		.amdhsa_user_sgpr_dispatch_ptr 0
		.amdhsa_user_sgpr_queue_ptr 0
		.amdhsa_user_sgpr_kernarg_segment_ptr 1
		.amdhsa_user_sgpr_dispatch_id 0
		.amdhsa_user_sgpr_private_segment_size 0
		.amdhsa_wavefront_size32 1
		.amdhsa_uses_dynamic_stack 0
		.amdhsa_enable_private_segment 0
		.amdhsa_system_sgpr_workgroup_id_x 1
		.amdhsa_system_sgpr_workgroup_id_y 0
		.amdhsa_system_sgpr_workgroup_id_z 0
		.amdhsa_system_sgpr_workgroup_info 0
		.amdhsa_system_vgpr_workitem_id 0
		.amdhsa_next_free_vgpr 22
		.amdhsa_next_free_sgpr 16
		.amdhsa_reserve_vcc 1
		.amdhsa_float_round_mode_32 0
		.amdhsa_float_round_mode_16_64 0
		.amdhsa_float_denorm_mode_32 3
		.amdhsa_float_denorm_mode_16_64 3
		.amdhsa_dx10_clamp 1
		.amdhsa_ieee_mode 1
		.amdhsa_fp16_overflow 0
		.amdhsa_workgroup_processor_mode 1
		.amdhsa_memory_ordered 1
		.amdhsa_forward_progress 0
		.amdhsa_shared_vgpr_count 0
		.amdhsa_exception_fp_ieee_invalid_op 0
		.amdhsa_exception_fp_denorm_src 0
		.amdhsa_exception_fp_ieee_div_zero 0
		.amdhsa_exception_fp_ieee_overflow 0
		.amdhsa_exception_fp_ieee_underflow 0
		.amdhsa_exception_fp_ieee_inexact 0
		.amdhsa_exception_int_div_zero 0
	.end_amdhsa_kernel
	.section	.text._Z34exclusive_scan_reduce_array_kernelILj16ELj5ELN6hipcub18BlockScanAlgorithmE0E12hip_bfloat16EvPT2_S4_S3_,"axG",@progbits,_Z34exclusive_scan_reduce_array_kernelILj16ELj5ELN6hipcub18BlockScanAlgorithmE0E12hip_bfloat16EvPT2_S4_S3_,comdat
.Lfunc_end258:
	.size	_Z34exclusive_scan_reduce_array_kernelILj16ELj5ELN6hipcub18BlockScanAlgorithmE0E12hip_bfloat16EvPT2_S4_S3_, .Lfunc_end258-_Z34exclusive_scan_reduce_array_kernelILj16ELj5ELN6hipcub18BlockScanAlgorithmE0E12hip_bfloat16EvPT2_S4_S3_
                                        ; -- End function
	.section	.AMDGPU.csdata,"",@progbits
; Kernel info:
; codeLenInByte = 2076
; NumSgprs: 18
; NumVgprs: 22
; ScratchSize: 0
; MemoryBound: 0
; FloatMode: 240
; IeeeMode: 1
; LDSByteSize: 2 bytes/workgroup (compile time only)
; SGPRBlocks: 2
; VGPRBlocks: 2
; NumSGPRsForWavesPerEU: 18
; NumVGPRsForWavesPerEU: 22
; Occupancy: 16
; WaveLimiterHint : 0
; COMPUTE_PGM_RSRC2:SCRATCH_EN: 0
; COMPUTE_PGM_RSRC2:USER_SGPR: 15
; COMPUTE_PGM_RSRC2:TRAP_HANDLER: 0
; COMPUTE_PGM_RSRC2:TGID_X_EN: 1
; COMPUTE_PGM_RSRC2:TGID_Y_EN: 0
; COMPUTE_PGM_RSRC2:TGID_Z_EN: 0
; COMPUTE_PGM_RSRC2:TIDIG_COMP_CNT: 0
	.section	.text._Z34exclusive_scan_reduce_array_kernelILj65ELj5ELN6hipcub18BlockScanAlgorithmE0E6__halfEvPT2_S4_S3_,"axG",@progbits,_Z34exclusive_scan_reduce_array_kernelILj65ELj5ELN6hipcub18BlockScanAlgorithmE0E6__halfEvPT2_S4_S3_,comdat
	.protected	_Z34exclusive_scan_reduce_array_kernelILj65ELj5ELN6hipcub18BlockScanAlgorithmE0E6__halfEvPT2_S4_S3_ ; -- Begin function _Z34exclusive_scan_reduce_array_kernelILj65ELj5ELN6hipcub18BlockScanAlgorithmE0E6__halfEvPT2_S4_S3_
	.globl	_Z34exclusive_scan_reduce_array_kernelILj65ELj5ELN6hipcub18BlockScanAlgorithmE0E6__halfEvPT2_S4_S3_
	.p2align	8
	.type	_Z34exclusive_scan_reduce_array_kernelILj65ELj5ELN6hipcub18BlockScanAlgorithmE0E6__halfEvPT2_S4_S3_,@function
_Z34exclusive_scan_reduce_array_kernelILj65ELj5ELN6hipcub18BlockScanAlgorithmE0E6__halfEvPT2_S4_S3_: ; @_Z34exclusive_scan_reduce_array_kernelILj65ELj5ELN6hipcub18BlockScanAlgorithmE0E6__halfEvPT2_S4_S3_
; %bb.0:
	s_mov_b32 s2, s15
	s_load_b128 s[4:7], s[0:1], 0x0
	v_mad_u64_u32 v[1:2], null, 0x41, s2, v[0:1]
	s_load_b32 s0, s[0:1], 0x10
	s_mov_b32 s1, exec_lo
	s_delay_alu instid0(VALU_DEP_1) | instskip(NEXT) | instid1(VALU_DEP_1)
	v_lshl_add_u32 v1, v1, 2, v1
	v_dual_mov_b32 v2, 0 :: v_dual_add_nc_u32 v3, 1, v1
	s_delay_alu instid0(VALU_DEP_1) | instskip(SKIP_3) | instid1(VALU_DEP_4)
	v_dual_mov_b32 v4, v2 :: v_dual_add_nc_u32 v5, 2, v1
	v_lshlrev_b64 v[9:10], 1, v[1:2]
	v_dual_mov_b32 v6, v2 :: v_dual_add_nc_u32 v7, 3, v1
	v_dual_mov_b32 v8, v2 :: v_dual_add_nc_u32 v1, 4, v1
	v_lshlrev_b64 v[3:4], 1, v[3:4]
	s_delay_alu instid0(VALU_DEP_3) | instskip(NEXT) | instid1(VALU_DEP_3)
	v_lshlrev_b64 v[5:6], 1, v[5:6]
	v_lshlrev_b64 v[7:8], 1, v[7:8]
	s_delay_alu instid0(VALU_DEP_4)
	v_lshlrev_b64 v[14:15], 1, v[1:2]
	s_waitcnt lgkmcnt(0)
	v_add_co_u32 v1, vcc_lo, s4, v9
	v_add_co_ci_u32_e32 v2, vcc_lo, s5, v10, vcc_lo
	v_add_co_u32 v3, vcc_lo, s4, v3
	v_add_co_ci_u32_e32 v4, vcc_lo, s5, v4, vcc_lo
	;; [unrolled: 2-line block ×3, first 2 shown]
	s_clause 0x1
	global_load_u16 v11, v[1:2], off
	global_load_u16 v12, v[3:4], off
	v_add_co_u32 v7, vcc_lo, s4, v7
	v_add_co_ci_u32_e32 v8, vcc_lo, s5, v8, vcc_lo
	global_load_u16 v13, v[5:6], off
	v_add_co_u32 v9, vcc_lo, s4, v14
	v_add_co_ci_u32_e32 v10, vcc_lo, s5, v15, vcc_lo
	s_clause 0x1
	global_load_u16 v14, v[7:8], off
	global_load_u16 v15, v[9:10], off
	s_waitcnt vmcnt(3)
	v_add_f16_e32 v16, v11, v12
	s_waitcnt vmcnt(2)
	s_delay_alu instid0(VALU_DEP_1) | instskip(SKIP_1) | instid1(VALU_DEP_1)
	v_add_f16_e32 v16, v16, v13
	s_waitcnt vmcnt(1)
	v_add_f16_e32 v16, v16, v14
	s_waitcnt vmcnt(0)
	s_delay_alu instid0(VALU_DEP_1) | instskip(SKIP_1) | instid1(VALU_DEP_2)
	v_add_f16_e32 v16, v16, v15
	v_mbcnt_lo_u32_b32 v15, -1, 0
	v_and_b32_e32 v17, 0xffff, v16
	s_delay_alu instid0(VALU_DEP_2) | instskip(SKIP_1) | instid1(VALU_DEP_3)
	v_and_b32_e32 v18, 15, v15
	v_and_b32_e32 v19, 16, v15
	v_mov_b32_dpp v17, v17 row_shr:1 row_mask:0xf bank_mask:0xf
	s_delay_alu instid0(VALU_DEP_3) | instskip(NEXT) | instid1(VALU_DEP_2)
	v_cmp_eq_u32_e32 vcc_lo, 0, v18
	v_add_f16_e32 v17, v16, v17
	s_delay_alu instid0(VALU_DEP_1) | instskip(SKIP_1) | instid1(VALU_DEP_2)
	v_cndmask_b32_e32 v16, v17, v16, vcc_lo
	v_cmp_lt_u32_e32 vcc_lo, 1, v18
	v_and_b32_e32 v17, 0xffff, v16
	s_delay_alu instid0(VALU_DEP_1) | instskip(NEXT) | instid1(VALU_DEP_1)
	v_mov_b32_dpp v17, v17 row_shr:2 row_mask:0xf bank_mask:0xf
	v_add_f16_e32 v17, v16, v17
	s_delay_alu instid0(VALU_DEP_1) | instskip(SKIP_1) | instid1(VALU_DEP_2)
	v_cndmask_b32_e32 v16, v16, v17, vcc_lo
	v_cmp_lt_u32_e32 vcc_lo, 3, v18
	v_and_b32_e32 v17, 0xffff, v16
	s_delay_alu instid0(VALU_DEP_1) | instskip(NEXT) | instid1(VALU_DEP_1)
	v_mov_b32_dpp v17, v17 row_shr:4 row_mask:0xf bank_mask:0xf
	v_add_f16_e32 v17, v16, v17
	s_delay_alu instid0(VALU_DEP_1) | instskip(SKIP_2) | instid1(VALU_DEP_3)
	v_cndmask_b32_e32 v16, v16, v17, vcc_lo
	v_cmp_lt_u32_e32 vcc_lo, 7, v18
	v_and_b32_e32 v18, 0x60, v0
	v_and_b32_e32 v17, 0xffff, v16
	s_delay_alu instid0(VALU_DEP_2) | instskip(NEXT) | instid1(VALU_DEP_2)
	v_min_u32_e32 v18, 33, v18
	v_mov_b32_dpp v17, v17 row_shr:8 row_mask:0xf bank_mask:0xf
	s_delay_alu instid0(VALU_DEP_2) | instskip(NEXT) | instid1(VALU_DEP_2)
	v_add_nc_u32_e32 v18, 31, v18
	v_add_f16_e32 v17, v16, v17
	s_delay_alu instid0(VALU_DEP_1) | instskip(SKIP_1) | instid1(VALU_DEP_2)
	v_cndmask_b32_e32 v16, v16, v17, vcc_lo
	v_cmp_eq_u32_e32 vcc_lo, 0, v19
	v_and_b32_e32 v17, 0xffff, v16
	ds_swizzle_b32 v17, v17 offset:swizzle(BROADCAST,32,15)
	s_waitcnt lgkmcnt(0)
	v_add_f16_e32 v20, v16, v17
	v_lshrrev_b32_e32 v17, 5, v0
	s_delay_alu instid0(VALU_DEP_2)
	v_cndmask_b32_e32 v16, v20, v16, vcc_lo
	v_cmpx_eq_u32_e64 v18, v0
	s_cbranch_execz .LBB259_2
; %bb.1:
	s_delay_alu instid0(VALU_DEP_3)
	v_lshlrev_b32_e32 v18, 1, v17
	ds_store_b16 v18, v16
.LBB259_2:
	s_or_b32 exec_lo, exec_lo, s1
	s_delay_alu instid0(SALU_CYCLE_1)
	s_mov_b32 s1, exec_lo
	s_waitcnt lgkmcnt(0)
	s_barrier
	buffer_gl0_inv
	v_cmpx_gt_u32_e32 3, v0
	s_cbranch_execz .LBB259_4
; %bb.3:
	v_and_b32_e32 v21, 3, v15
	s_delay_alu instid0(VALU_DEP_1) | instskip(SKIP_4) | instid1(VALU_DEP_1)
	v_cmp_eq_u32_e32 vcc_lo, 0, v21
	v_lshlrev_b32_e32 v18, 1, v0
	ds_load_u16 v19, v18
	s_waitcnt lgkmcnt(0)
	v_and_b32_e32 v20, 0xffff, v19
	v_mov_b32_dpp v20, v20 row_shr:1 row_mask:0xf bank_mask:0xf
	s_delay_alu instid0(VALU_DEP_1) | instskip(NEXT) | instid1(VALU_DEP_1)
	v_add_f16_e32 v20, v19, v20
	v_cndmask_b32_e32 v19, v20, v19, vcc_lo
	v_cmp_lt_u32_e32 vcc_lo, 1, v21
	s_delay_alu instid0(VALU_DEP_2) | instskip(NEXT) | instid1(VALU_DEP_1)
	v_and_b32_e32 v20, 0xffff, v19
	v_mov_b32_dpp v20, v20 row_shr:2 row_mask:0xf bank_mask:0xf
	s_delay_alu instid0(VALU_DEP_1) | instskip(NEXT) | instid1(VALU_DEP_1)
	v_add_f16_e32 v20, v19, v20
	v_cndmask_b32_e32 v19, v19, v20, vcc_lo
	ds_store_b16 v18, v19
.LBB259_4:
	s_or_b32 exec_lo, exec_lo, s1
	v_mov_b32_e32 v18, s0
	s_mov_b32 s1, exec_lo
	s_waitcnt lgkmcnt(0)
	s_barrier
	buffer_gl0_inv
	v_cmpx_lt_u32_e32 31, v0
	s_cbranch_execz .LBB259_6
; %bb.5:
	v_lshl_add_u32 v17, v17, 1, -2
	ds_load_u16 v17, v17
	s_waitcnt lgkmcnt(0)
	v_add_f16_e32 v18, s0, v17
.LBB259_6:
	s_or_b32 exec_lo, exec_lo, s1
	v_add_nc_u32_e32 v17, -1, v15
	s_delay_alu instid0(VALU_DEP_2) | instskip(SKIP_1) | instid1(VALU_DEP_2)
	v_add_f16_e32 v16, v16, v18
	s_mov_b32 s3, 0
	v_cmp_gt_i32_e32 vcc_lo, 0, v17
	s_delay_alu instid0(VALU_DEP_2) | instskip(SKIP_1) | instid1(VALU_DEP_2)
	v_dual_cndmask_b32 v17, v17, v15 :: v_dual_and_b32 v16, 0xffff, v16
	v_cmp_eq_u32_e32 vcc_lo, 0, v15
	v_lshlrev_b32_e32 v17, 2, v17
	ds_bpermute_b32 v16, v17, v16
	s_waitcnt lgkmcnt(0)
	v_cndmask_b32_e32 v15, v16, v18, vcc_lo
	v_cmp_eq_u32_e32 vcc_lo, 0, v0
	s_delay_alu instid0(VALU_DEP_2) | instskip(NEXT) | instid1(VALU_DEP_1)
	v_cndmask_b32_e64 v0, v15, s0, vcc_lo
	v_add_f16_e32 v11, v11, v0
	s_delay_alu instid0(VALU_DEP_1) | instskip(NEXT) | instid1(VALU_DEP_1)
	v_add_f16_e32 v12, v12, v11
	v_add_f16_e32 v13, v13, v12
	s_delay_alu instid0(VALU_DEP_1)
	v_add_f16_e32 v14, v14, v13
	s_clause 0x4
	global_store_b16 v[1:2], v0, off
	global_store_b16 v[3:4], v11, off
	;; [unrolled: 1-line block ×5, first 2 shown]
	s_and_saveexec_b32 s0, vcc_lo
	s_cbranch_execz .LBB259_8
; %bb.7:
	v_mov_b32_e32 v0, 0
	s_lshl_b64 s[0:1], s[2:3], 1
	s_delay_alu instid0(SALU_CYCLE_1)
	s_add_u32 s0, s6, s0
	s_addc_u32 s1, s7, s1
	ds_load_u16 v1, v0 offset:4
	s_waitcnt lgkmcnt(0)
	global_store_b16 v0, v1, s[0:1]
.LBB259_8:
	s_nop 0
	s_sendmsg sendmsg(MSG_DEALLOC_VGPRS)
	s_endpgm
	.section	.rodata,"a",@progbits
	.p2align	6, 0x0
	.amdhsa_kernel _Z34exclusive_scan_reduce_array_kernelILj65ELj5ELN6hipcub18BlockScanAlgorithmE0E6__halfEvPT2_S4_S3_
		.amdhsa_group_segment_fixed_size 6
		.amdhsa_private_segment_fixed_size 0
		.amdhsa_kernarg_size 20
		.amdhsa_user_sgpr_count 15
		.amdhsa_user_sgpr_dispatch_ptr 0
		.amdhsa_user_sgpr_queue_ptr 0
		.amdhsa_user_sgpr_kernarg_segment_ptr 1
		.amdhsa_user_sgpr_dispatch_id 0
		.amdhsa_user_sgpr_private_segment_size 0
		.amdhsa_wavefront_size32 1
		.amdhsa_uses_dynamic_stack 0
		.amdhsa_enable_private_segment 0
		.amdhsa_system_sgpr_workgroup_id_x 1
		.amdhsa_system_sgpr_workgroup_id_y 0
		.amdhsa_system_sgpr_workgroup_id_z 0
		.amdhsa_system_sgpr_workgroup_info 0
		.amdhsa_system_vgpr_workitem_id 0
		.amdhsa_next_free_vgpr 22
		.amdhsa_next_free_sgpr 16
		.amdhsa_reserve_vcc 1
		.amdhsa_float_round_mode_32 0
		.amdhsa_float_round_mode_16_64 0
		.amdhsa_float_denorm_mode_32 3
		.amdhsa_float_denorm_mode_16_64 3
		.amdhsa_dx10_clamp 1
		.amdhsa_ieee_mode 1
		.amdhsa_fp16_overflow 0
		.amdhsa_workgroup_processor_mode 1
		.amdhsa_memory_ordered 1
		.amdhsa_forward_progress 0
		.amdhsa_shared_vgpr_count 0
		.amdhsa_exception_fp_ieee_invalid_op 0
		.amdhsa_exception_fp_denorm_src 0
		.amdhsa_exception_fp_ieee_div_zero 0
		.amdhsa_exception_fp_ieee_overflow 0
		.amdhsa_exception_fp_ieee_underflow 0
		.amdhsa_exception_fp_ieee_inexact 0
		.amdhsa_exception_int_div_zero 0
	.end_amdhsa_kernel
	.section	.text._Z34exclusive_scan_reduce_array_kernelILj65ELj5ELN6hipcub18BlockScanAlgorithmE0E6__halfEvPT2_S4_S3_,"axG",@progbits,_Z34exclusive_scan_reduce_array_kernelILj65ELj5ELN6hipcub18BlockScanAlgorithmE0E6__halfEvPT2_S4_S3_,comdat
.Lfunc_end259:
	.size	_Z34exclusive_scan_reduce_array_kernelILj65ELj5ELN6hipcub18BlockScanAlgorithmE0E6__halfEvPT2_S4_S3_, .Lfunc_end259-_Z34exclusive_scan_reduce_array_kernelILj65ELj5ELN6hipcub18BlockScanAlgorithmE0E6__halfEvPT2_S4_S3_
                                        ; -- End function
	.section	.AMDGPU.csdata,"",@progbits
; Kernel info:
; codeLenInByte = 940
; NumSgprs: 18
; NumVgprs: 22
; ScratchSize: 0
; MemoryBound: 0
; FloatMode: 240
; IeeeMode: 1
; LDSByteSize: 6 bytes/workgroup (compile time only)
; SGPRBlocks: 2
; VGPRBlocks: 2
; NumSGPRsForWavesPerEU: 18
; NumVGPRsForWavesPerEU: 22
; Occupancy: 16
; WaveLimiterHint : 0
; COMPUTE_PGM_RSRC2:SCRATCH_EN: 0
; COMPUTE_PGM_RSRC2:USER_SGPR: 15
; COMPUTE_PGM_RSRC2:TRAP_HANDLER: 0
; COMPUTE_PGM_RSRC2:TGID_X_EN: 1
; COMPUTE_PGM_RSRC2:TGID_Y_EN: 0
; COMPUTE_PGM_RSRC2:TGID_Z_EN: 0
; COMPUTE_PGM_RSRC2:TIDIG_COMP_CNT: 0
	.section	.text._Z34exclusive_scan_reduce_array_kernelILj255ELj15ELN6hipcub18BlockScanAlgorithmE0EfEvPT2_S3_S2_,"axG",@progbits,_Z34exclusive_scan_reduce_array_kernelILj255ELj15ELN6hipcub18BlockScanAlgorithmE0EfEvPT2_S3_S2_,comdat
	.protected	_Z34exclusive_scan_reduce_array_kernelILj255ELj15ELN6hipcub18BlockScanAlgorithmE0EfEvPT2_S3_S2_ ; -- Begin function _Z34exclusive_scan_reduce_array_kernelILj255ELj15ELN6hipcub18BlockScanAlgorithmE0EfEvPT2_S3_S2_
	.globl	_Z34exclusive_scan_reduce_array_kernelILj255ELj15ELN6hipcub18BlockScanAlgorithmE0EfEvPT2_S3_S2_
	.p2align	8
	.type	_Z34exclusive_scan_reduce_array_kernelILj255ELj15ELN6hipcub18BlockScanAlgorithmE0EfEvPT2_S3_S2_,@function
_Z34exclusive_scan_reduce_array_kernelILj255ELj15ELN6hipcub18BlockScanAlgorithmE0EfEvPT2_S3_S2_: ; @_Z34exclusive_scan_reduce_array_kernelILj255ELj15ELN6hipcub18BlockScanAlgorithmE0EfEvPT2_S3_S2_
; %bb.0:
	s_mov_b32 s2, s15
	s_load_b128 s[4:7], s[0:1], 0x0
	v_mad_u64_u32 v[1:2], null, 0xff, s2, v[0:1]
	s_mov_b32 s3, exec_lo
	s_delay_alu instid0(VALU_DEP_1) | instskip(NEXT) | instid1(VALU_DEP_1)
	v_mul_lo_u32 v27, v1, 15
	v_dual_mov_b32 v28, 0 :: v_dual_add_nc_u32 v1, 1, v27
	s_delay_alu instid0(VALU_DEP_1) | instskip(SKIP_2) | instid1(VALU_DEP_3)
	v_dual_mov_b32 v2, v28 :: v_dual_add_nc_u32 v3, 2, v27
	v_lshlrev_b64 v[9:10], 2, v[27:28]
	v_dual_mov_b32 v4, v28 :: v_dual_add_nc_u32 v5, 3, v27
	v_lshlrev_b64 v[11:12], 2, v[1:2]
	v_dual_mov_b32 v6, v28 :: v_dual_add_nc_u32 v7, 4, v27
	s_delay_alu instid0(VALU_DEP_3)
	v_lshlrev_b64 v[13:14], 2, v[3:4]
	s_waitcnt lgkmcnt(0)
	v_add_co_u32 v1, vcc_lo, s4, v9
	v_mov_b32_e32 v8, v28
	v_add_co_ci_u32_e32 v2, vcc_lo, s5, v10, vcc_lo
	v_lshlrev_b64 v[15:16], 2, v[5:6]
	v_add_co_u32 v3, vcc_lo, s4, v11
	v_add_nc_u32_e32 v11, 5, v27
	v_add_co_ci_u32_e32 v4, vcc_lo, s5, v12, vcc_lo
	v_lshlrev_b64 v[17:18], 2, v[7:8]
	v_add_co_u32 v5, vcc_lo, s4, v13
	v_add_co_ci_u32_e32 v6, vcc_lo, s5, v14, vcc_lo
	v_add_co_u32 v7, vcc_lo, s4, v15
	v_add_co_ci_u32_e32 v8, vcc_lo, s5, v16, vcc_lo
	v_add_co_u32 v9, vcc_lo, s4, v17
	v_dual_mov_b32 v12, v28 :: v_dual_add_nc_u32 v13, 6, v27
	v_add_co_ci_u32_e32 v10, vcc_lo, s5, v18, vcc_lo
	s_clause 0x4
	global_load_b32 v31, v[1:2], off
	global_load_b32 v32, v[3:4], off
	;; [unrolled: 1-line block ×5, first 2 shown]
	v_dual_mov_b32 v14, v28 :: v_dual_add_nc_u32 v15, 7, v27
	v_lshlrev_b64 v[11:12], 2, v[11:12]
	v_dual_mov_b32 v16, v28 :: v_dual_add_nc_u32 v17, 8, v27
	s_delay_alu instid0(VALU_DEP_3) | instskip(SKIP_1) | instid1(VALU_DEP_4)
	v_lshlrev_b64 v[13:14], 2, v[13:14]
	v_dual_mov_b32 v18, v28 :: v_dual_add_nc_u32 v19, 9, v27
	v_add_co_u32 v11, vcc_lo, s4, v11
	s_delay_alu instid0(VALU_DEP_4)
	v_lshlrev_b64 v[15:16], 2, v[15:16]
	v_add_co_ci_u32_e32 v12, vcc_lo, s5, v12, vcc_lo
	v_add_co_u32 v13, vcc_lo, s4, v13
	v_add_co_ci_u32_e32 v14, vcc_lo, s5, v14, vcc_lo
	v_dual_mov_b32 v20, v28 :: v_dual_add_nc_u32 v21, 10, v27
	v_add_co_u32 v15, vcc_lo, s4, v15
	global_load_b32 v36, v[11:12], off
	v_lshlrev_b64 v[17:18], 2, v[17:18]
	v_add_co_ci_u32_e32 v16, vcc_lo, s5, v16, vcc_lo
	v_lshlrev_b64 v[19:20], 2, v[19:20]
	s_clause 0x1
	global_load_b32 v37, v[13:14], off
	global_load_b32 v38, v[15:16], off
	v_add_co_u32 v17, vcc_lo, s4, v17
	v_dual_mov_b32 v22, v28 :: v_dual_add_nc_u32 v23, 11, v27
	v_add_co_ci_u32_e32 v18, vcc_lo, s5, v18, vcc_lo
	v_add_co_u32 v19, vcc_lo, s4, v19
	v_dual_mov_b32 v24, v28 :: v_dual_add_nc_u32 v25, 12, v27
	v_add_co_ci_u32_e32 v20, vcc_lo, s5, v20, vcc_lo
	v_lshlrev_b64 v[21:22], 2, v[21:22]
	v_dual_mov_b32 v26, v28 :: v_dual_add_nc_u32 v29, 13, v27
	s_clause 0x1
	global_load_b32 v39, v[17:18], off
	global_load_b32 v40, v[19:20], off
	v_lshlrev_b64 v[23:24], 2, v[23:24]
	v_dual_mov_b32 v30, v28 :: v_dual_add_nc_u32 v27, 14, v27
	v_add_co_u32 v21, vcc_lo, s4, v21
	v_lshlrev_b64 v[25:26], 2, v[25:26]
	v_add_co_ci_u32_e32 v22, vcc_lo, s5, v22, vcc_lo
	v_add_co_u32 v23, vcc_lo, s4, v23
	v_add_co_ci_u32_e32 v24, vcc_lo, s5, v24, vcc_lo
	s_delay_alu instid0(VALU_DEP_4)
	v_add_co_u32 v25, vcc_lo, s4, v25
	global_load_b32 v41, v[21:22], off
	v_lshlrev_b64 v[29:30], 2, v[29:30]
	v_add_co_ci_u32_e32 v26, vcc_lo, s5, v26, vcc_lo
	v_lshlrev_b64 v[45:46], 2, v[27:28]
	s_clause 0x1
	global_load_b32 v44, v[23:24], off
	global_load_b32 v43, v[25:26], off
	v_add_co_u32 v27, vcc_lo, s4, v29
	v_add_co_ci_u32_e32 v28, vcc_lo, s5, v30, vcc_lo
	v_add_co_u32 v29, vcc_lo, s4, v45
	v_add_co_ci_u32_e32 v30, vcc_lo, s5, v46, vcc_lo
	s_clause 0x1
	global_load_b32 v42, v[27:28], off
	global_load_b32 v45, v[29:30], off
	s_waitcnt vmcnt(13)
	v_add_f32_e32 v46, v31, v32
	s_waitcnt vmcnt(12)
	s_delay_alu instid0(VALU_DEP_1) | instskip(SKIP_1) | instid1(VALU_DEP_1)
	v_add_f32_e32 v46, v33, v46
	s_waitcnt vmcnt(11)
	v_add_f32_e32 v46, v34, v46
	s_waitcnt vmcnt(10)
	s_delay_alu instid0(VALU_DEP_1) | instskip(SKIP_1) | instid1(VALU_DEP_1)
	v_add_f32_e32 v46, v35, v46
	;; [unrolled: 5-line block ×6, first 2 shown]
	s_waitcnt vmcnt(1)
	v_add_f32_e32 v46, v42, v46
	s_waitcnt vmcnt(0)
	s_delay_alu instid0(VALU_DEP_1) | instskip(SKIP_1) | instid1(VALU_DEP_2)
	v_add_f32_e32 v46, v45, v46
	v_mbcnt_lo_u32_b32 v45, -1, 0
	v_mov_b32_dpp v47, v46 row_shr:1 row_mask:0xf bank_mask:0xf
	s_delay_alu instid0(VALU_DEP_2) | instskip(NEXT) | instid1(VALU_DEP_2)
	v_and_b32_e32 v49, 16, v45
	v_dual_add_f32 v47, v46, v47 :: v_dual_and_b32 v48, 15, v45
	s_delay_alu instid0(VALU_DEP_1) | instskip(NEXT) | instid1(VALU_DEP_2)
	v_cmp_eq_u32_e32 vcc_lo, 0, v48
	v_cndmask_b32_e32 v46, v47, v46, vcc_lo
	v_cmp_lt_u32_e32 vcc_lo, 1, v48
	s_delay_alu instid0(VALU_DEP_2) | instskip(NEXT) | instid1(VALU_DEP_1)
	v_mov_b32_dpp v47, v46 row_shr:2 row_mask:0xf bank_mask:0xf
	v_add_f32_e32 v47, v46, v47
	s_delay_alu instid0(VALU_DEP_1) | instskip(SKIP_1) | instid1(VALU_DEP_2)
	v_cndmask_b32_e32 v46, v46, v47, vcc_lo
	v_cmp_lt_u32_e32 vcc_lo, 3, v48
	v_mov_b32_dpp v47, v46 row_shr:4 row_mask:0xf bank_mask:0xf
	s_delay_alu instid0(VALU_DEP_1) | instskip(NEXT) | instid1(VALU_DEP_1)
	v_add_f32_e32 v47, v46, v47
	v_cndmask_b32_e32 v46, v46, v47, vcc_lo
	v_cmp_lt_u32_e32 vcc_lo, 7, v48
	v_and_b32_e32 v48, 0xe0, v0
	s_delay_alu instid0(VALU_DEP_1) | instskip(NEXT) | instid1(VALU_DEP_1)
	v_min_u32_e32 v48, 0xdf, v48
	v_add_nc_u32_e32 v48, 31, v48
	v_mov_b32_dpp v47, v46 row_shr:8 row_mask:0xf bank_mask:0xf
	s_delay_alu instid0(VALU_DEP_1) | instskip(NEXT) | instid1(VALU_DEP_1)
	v_add_f32_e32 v47, v46, v47
	v_cndmask_b32_e32 v46, v46, v47, vcc_lo
	v_cmp_eq_u32_e32 vcc_lo, 0, v49
	ds_swizzle_b32 v47, v46 offset:swizzle(BROADCAST,32,15)
	s_waitcnt lgkmcnt(0)
	v_add_f32_e32 v50, v46, v47
	v_lshrrev_b32_e32 v47, 5, v0
	s_delay_alu instid0(VALU_DEP_2)
	v_cndmask_b32_e32 v46, v50, v46, vcc_lo
	v_cmpx_eq_u32_e64 v48, v0
	s_cbranch_execz .LBB260_2
; %bb.1:
	s_delay_alu instid0(VALU_DEP_3)
	v_lshlrev_b32_e32 v48, 2, v47
	ds_store_b32 v48, v46
.LBB260_2:
	s_or_b32 exec_lo, exec_lo, s3
	s_delay_alu instid0(SALU_CYCLE_1)
	s_mov_b32 s3, exec_lo
	s_waitcnt lgkmcnt(0)
	s_barrier
	buffer_gl0_inv
	v_cmpx_gt_u32_e32 8, v0
	s_cbranch_execz .LBB260_4
; %bb.3:
	v_and_b32_e32 v51, 7, v45
	s_delay_alu instid0(VALU_DEP_1) | instskip(SKIP_4) | instid1(VALU_DEP_1)
	v_cmp_eq_u32_e32 vcc_lo, 0, v51
	v_lshlrev_b32_e32 v48, 2, v0
	ds_load_b32 v49, v48
	s_waitcnt lgkmcnt(0)
	v_mov_b32_dpp v50, v49 row_shr:1 row_mask:0xf bank_mask:0xf
	v_add_f32_e32 v50, v49, v50
	s_delay_alu instid0(VALU_DEP_1) | instskip(SKIP_1) | instid1(VALU_DEP_2)
	v_cndmask_b32_e32 v49, v50, v49, vcc_lo
	v_cmp_lt_u32_e32 vcc_lo, 1, v51
	v_mov_b32_dpp v50, v49 row_shr:2 row_mask:0xf bank_mask:0xf
	s_delay_alu instid0(VALU_DEP_1) | instskip(NEXT) | instid1(VALU_DEP_1)
	v_add_f32_e32 v50, v49, v50
	v_cndmask_b32_e32 v49, v49, v50, vcc_lo
	v_cmp_lt_u32_e32 vcc_lo, 3, v51
	s_delay_alu instid0(VALU_DEP_2) | instskip(NEXT) | instid1(VALU_DEP_1)
	v_mov_b32_dpp v50, v49 row_shr:4 row_mask:0xf bank_mask:0xf
	v_add_f32_e32 v50, v49, v50
	s_delay_alu instid0(VALU_DEP_1)
	v_cndmask_b32_e32 v49, v49, v50, vcc_lo
	ds_store_b32 v48, v49
.LBB260_4:
	s_or_b32 exec_lo, exec_lo, s3
	s_load_b32 s0, s[0:1], 0x10
	s_mov_b32 s1, exec_lo
	s_waitcnt lgkmcnt(0)
	s_barrier
	buffer_gl0_inv
	v_mov_b32_e32 v48, s0
	v_cmpx_lt_u32_e32 31, v0
	s_cbranch_execz .LBB260_6
; %bb.5:
	v_lshl_add_u32 v47, v47, 2, -4
	ds_load_b32 v47, v47
	s_waitcnt lgkmcnt(0)
	v_add_f32_e32 v48, s0, v47
.LBB260_6:
	s_or_b32 exec_lo, exec_lo, s1
	s_delay_alu instid0(VALU_DEP_1) | instskip(SKIP_1) | instid1(VALU_DEP_1)
	v_dual_add_f32 v46, v46, v48 :: v_dual_add_nc_u32 v47, -1, v45
	s_mov_b32 s3, 0
	v_cmp_gt_i32_e32 vcc_lo, 0, v47
	v_cndmask_b32_e32 v47, v47, v45, vcc_lo
	v_cmp_eq_u32_e32 vcc_lo, 0, v45
	s_delay_alu instid0(VALU_DEP_2) | instskip(SKIP_4) | instid1(VALU_DEP_2)
	v_lshlrev_b32_e32 v47, 2, v47
	ds_bpermute_b32 v46, v47, v46
	s_waitcnt lgkmcnt(0)
	v_cndmask_b32_e32 v45, v46, v48, vcc_lo
	v_cmp_eq_u32_e32 vcc_lo, 0, v0
	v_cndmask_b32_e64 v0, v45, s0, vcc_lo
	s_delay_alu instid0(VALU_DEP_1) | instskip(NEXT) | instid1(VALU_DEP_1)
	v_add_f32_e32 v31, v31, v0
	v_add_f32_e32 v32, v32, v31
	s_delay_alu instid0(VALU_DEP_1) | instskip(NEXT) | instid1(VALU_DEP_1)
	v_add_f32_e32 v33, v33, v32
	v_add_f32_e32 v34, v34, v33
	;; [unrolled: 3-line block ×6, first 2 shown]
	s_clause 0x7
	global_store_b32 v[1:2], v0, off
	global_store_b32 v[3:4], v31, off
	;; [unrolled: 1-line block ×8, first 2 shown]
	v_add_f32_e32 v43, v43, v44
	s_delay_alu instid0(VALU_DEP_1)
	v_add_f32_e32 v0, v42, v43
	s_clause 0x6
	global_store_b32 v[17:18], v38, off
	global_store_b32 v[19:20], v39, off
	global_store_b32 v[21:22], v40, off
	global_store_b32 v[23:24], v41, off
	global_store_b32 v[25:26], v44, off
	global_store_b32 v[27:28], v43, off
	global_store_b32 v[29:30], v0, off
	s_and_saveexec_b32 s0, vcc_lo
	s_cbranch_execz .LBB260_8
; %bb.7:
	v_mov_b32_e32 v0, 0
	s_lshl_b64 s[0:1], s[2:3], 2
	s_delay_alu instid0(SALU_CYCLE_1)
	s_add_u32 s0, s6, s0
	s_addc_u32 s1, s7, s1
	ds_load_b32 v1, v0 offset:28
	s_waitcnt lgkmcnt(0)
	global_store_b32 v0, v1, s[0:1]
.LBB260_8:
	s_nop 0
	s_sendmsg sendmsg(MSG_DEALLOC_VGPRS)
	s_endpgm
	.section	.rodata,"a",@progbits
	.p2align	6, 0x0
	.amdhsa_kernel _Z34exclusive_scan_reduce_array_kernelILj255ELj15ELN6hipcub18BlockScanAlgorithmE0EfEvPT2_S3_S2_
		.amdhsa_group_segment_fixed_size 32
		.amdhsa_private_segment_fixed_size 0
		.amdhsa_kernarg_size 20
		.amdhsa_user_sgpr_count 15
		.amdhsa_user_sgpr_dispatch_ptr 0
		.amdhsa_user_sgpr_queue_ptr 0
		.amdhsa_user_sgpr_kernarg_segment_ptr 1
		.amdhsa_user_sgpr_dispatch_id 0
		.amdhsa_user_sgpr_private_segment_size 0
		.amdhsa_wavefront_size32 1
		.amdhsa_uses_dynamic_stack 0
		.amdhsa_enable_private_segment 0
		.amdhsa_system_sgpr_workgroup_id_x 1
		.amdhsa_system_sgpr_workgroup_id_y 0
		.amdhsa_system_sgpr_workgroup_id_z 0
		.amdhsa_system_sgpr_workgroup_info 0
		.amdhsa_system_vgpr_workitem_id 0
		.amdhsa_next_free_vgpr 52
		.amdhsa_next_free_sgpr 16
		.amdhsa_reserve_vcc 1
		.amdhsa_float_round_mode_32 0
		.amdhsa_float_round_mode_16_64 0
		.amdhsa_float_denorm_mode_32 3
		.amdhsa_float_denorm_mode_16_64 3
		.amdhsa_dx10_clamp 1
		.amdhsa_ieee_mode 1
		.amdhsa_fp16_overflow 0
		.amdhsa_workgroup_processor_mode 1
		.amdhsa_memory_ordered 1
		.amdhsa_forward_progress 0
		.amdhsa_shared_vgpr_count 0
		.amdhsa_exception_fp_ieee_invalid_op 0
		.amdhsa_exception_fp_denorm_src 0
		.amdhsa_exception_fp_ieee_div_zero 0
		.amdhsa_exception_fp_ieee_overflow 0
		.amdhsa_exception_fp_ieee_underflow 0
		.amdhsa_exception_fp_ieee_inexact 0
		.amdhsa_exception_int_div_zero 0
	.end_amdhsa_kernel
	.section	.text._Z34exclusive_scan_reduce_array_kernelILj255ELj15ELN6hipcub18BlockScanAlgorithmE0EfEvPT2_S3_S2_,"axG",@progbits,_Z34exclusive_scan_reduce_array_kernelILj255ELj15ELN6hipcub18BlockScanAlgorithmE0EfEvPT2_S3_S2_,comdat
.Lfunc_end260:
	.size	_Z34exclusive_scan_reduce_array_kernelILj255ELj15ELN6hipcub18BlockScanAlgorithmE0EfEvPT2_S3_S2_, .Lfunc_end260-_Z34exclusive_scan_reduce_array_kernelILj255ELj15ELN6hipcub18BlockScanAlgorithmE0EfEvPT2_S3_S2_
                                        ; -- End function
	.section	.AMDGPU.csdata,"",@progbits
; Kernel info:
; codeLenInByte = 1512
; NumSgprs: 18
; NumVgprs: 52
; ScratchSize: 0
; MemoryBound: 0
; FloatMode: 240
; IeeeMode: 1
; LDSByteSize: 32 bytes/workgroup (compile time only)
; SGPRBlocks: 2
; VGPRBlocks: 6
; NumSGPRsForWavesPerEU: 18
; NumVGPRsForWavesPerEU: 52
; Occupancy: 16
; WaveLimiterHint : 0
; COMPUTE_PGM_RSRC2:SCRATCH_EN: 0
; COMPUTE_PGM_RSRC2:USER_SGPR: 15
; COMPUTE_PGM_RSRC2:TRAP_HANDLER: 0
; COMPUTE_PGM_RSRC2:TGID_X_EN: 1
; COMPUTE_PGM_RSRC2:TGID_Y_EN: 0
; COMPUTE_PGM_RSRC2:TGID_Z_EN: 0
; COMPUTE_PGM_RSRC2:TIDIG_COMP_CNT: 0
	.section	.text._Z34exclusive_scan_reduce_array_kernelILj162ELj7ELN6hipcub18BlockScanAlgorithmE0EfEvPT2_S3_S2_,"axG",@progbits,_Z34exclusive_scan_reduce_array_kernelILj162ELj7ELN6hipcub18BlockScanAlgorithmE0EfEvPT2_S3_S2_,comdat
	.protected	_Z34exclusive_scan_reduce_array_kernelILj162ELj7ELN6hipcub18BlockScanAlgorithmE0EfEvPT2_S3_S2_ ; -- Begin function _Z34exclusive_scan_reduce_array_kernelILj162ELj7ELN6hipcub18BlockScanAlgorithmE0EfEvPT2_S3_S2_
	.globl	_Z34exclusive_scan_reduce_array_kernelILj162ELj7ELN6hipcub18BlockScanAlgorithmE0EfEvPT2_S3_S2_
	.p2align	8
	.type	_Z34exclusive_scan_reduce_array_kernelILj162ELj7ELN6hipcub18BlockScanAlgorithmE0EfEvPT2_S3_S2_,@function
_Z34exclusive_scan_reduce_array_kernelILj162ELj7ELN6hipcub18BlockScanAlgorithmE0EfEvPT2_S3_S2_: ; @_Z34exclusive_scan_reduce_array_kernelILj162ELj7ELN6hipcub18BlockScanAlgorithmE0EfEvPT2_S3_S2_
; %bb.0:
	s_mov_b32 s2, s15
	s_load_b128 s[4:7], s[0:1], 0x0
	v_mad_u64_u32 v[1:2], null, 0xa2, s2, v[0:1]
	s_mov_b32 s3, exec_lo
	s_delay_alu instid0(VALU_DEP_1) | instskip(NEXT) | instid1(VALU_DEP_1)
	v_mul_lo_u32 v11, v1, 7
	v_dual_mov_b32 v12, 0 :: v_dual_add_nc_u32 v1, 1, v11
	s_delay_alu instid0(VALU_DEP_1) | instskip(SKIP_2) | instid1(VALU_DEP_3)
	v_dual_mov_b32 v2, v12 :: v_dual_add_nc_u32 v3, 2, v11
	v_lshlrev_b64 v[9:10], 2, v[11:12]
	v_dual_mov_b32 v4, v12 :: v_dual_add_nc_u32 v5, 3, v11
	v_lshlrev_b64 v[13:14], 2, v[1:2]
	v_dual_mov_b32 v6, v12 :: v_dual_add_nc_u32 v7, 4, v11
	s_waitcnt lgkmcnt(0)
	s_delay_alu instid0(VALU_DEP_4)
	v_add_co_u32 v1, vcc_lo, s4, v9
	v_lshlrev_b64 v[15:16], 2, v[3:4]
	v_add_co_ci_u32_e32 v2, vcc_lo, s5, v10, vcc_lo
	v_mov_b32_e32 v8, v12
	v_add_co_u32 v3, vcc_lo, s4, v13
	v_add_nc_u32_e32 v13, 5, v11
	v_lshlrev_b64 v[17:18], 2, v[5:6]
	v_add_co_ci_u32_e32 v4, vcc_lo, s5, v14, vcc_lo
	v_add_co_u32 v5, vcc_lo, s4, v15
	v_lshlrev_b64 v[19:20], 2, v[7:8]
	v_add_co_ci_u32_e32 v6, vcc_lo, s5, v16, vcc_lo
	s_clause 0x1
	global_load_b32 v15, v[1:2], off
	global_load_b32 v16, v[3:4], off
	v_dual_mov_b32 v14, v12 :: v_dual_add_nc_u32 v11, 6, v11
	v_add_co_u32 v7, vcc_lo, s4, v17
	v_add_co_ci_u32_e32 v8, vcc_lo, s5, v18, vcc_lo
	v_add_co_u32 v9, vcc_lo, s4, v19
	global_load_b32 v17, v[5:6], off
	v_lshlrev_b64 v[13:14], 2, v[13:14]
	v_add_co_ci_u32_e32 v10, vcc_lo, s5, v20, vcc_lo
	v_lshlrev_b64 v[20:21], 2, v[11:12]
	s_clause 0x1
	global_load_b32 v18, v[7:8], off
	global_load_b32 v19, v[9:10], off
	v_add_co_u32 v11, vcc_lo, s4, v13
	v_add_co_ci_u32_e32 v12, vcc_lo, s5, v14, vcc_lo
	v_add_co_u32 v13, vcc_lo, s4, v20
	v_add_co_ci_u32_e32 v14, vcc_lo, s5, v21, vcc_lo
	s_clause 0x1
	global_load_b32 v20, v[11:12], off
	global_load_b32 v21, v[13:14], off
	s_waitcnt vmcnt(5)
	v_add_f32_e32 v22, v15, v16
	s_waitcnt vmcnt(4)
	s_delay_alu instid0(VALU_DEP_1) | instskip(SKIP_1) | instid1(VALU_DEP_1)
	v_add_f32_e32 v22, v17, v22
	s_waitcnt vmcnt(3)
	v_add_f32_e32 v22, v18, v22
	s_waitcnt vmcnt(2)
	s_delay_alu instid0(VALU_DEP_1) | instskip(SKIP_1) | instid1(VALU_DEP_1)
	v_add_f32_e32 v22, v19, v22
	s_waitcnt vmcnt(1)
	v_add_f32_e32 v22, v20, v22
	s_waitcnt vmcnt(0)
	s_delay_alu instid0(VALU_DEP_1) | instskip(SKIP_1) | instid1(VALU_DEP_2)
	v_add_f32_e32 v22, v21, v22
	v_mbcnt_lo_u32_b32 v21, -1, 0
	v_mov_b32_dpp v23, v22 row_shr:1 row_mask:0xf bank_mask:0xf
	s_delay_alu instid0(VALU_DEP_2) | instskip(NEXT) | instid1(VALU_DEP_2)
	v_and_b32_e32 v25, 16, v21
	v_dual_add_f32 v23, v22, v23 :: v_dual_and_b32 v24, 15, v21
	s_delay_alu instid0(VALU_DEP_1) | instskip(NEXT) | instid1(VALU_DEP_2)
	v_cmp_eq_u32_e32 vcc_lo, 0, v24
	v_cndmask_b32_e32 v22, v23, v22, vcc_lo
	v_cmp_lt_u32_e32 vcc_lo, 1, v24
	s_delay_alu instid0(VALU_DEP_2) | instskip(NEXT) | instid1(VALU_DEP_1)
	v_mov_b32_dpp v23, v22 row_shr:2 row_mask:0xf bank_mask:0xf
	v_add_f32_e32 v23, v22, v23
	s_delay_alu instid0(VALU_DEP_1) | instskip(SKIP_1) | instid1(VALU_DEP_2)
	v_cndmask_b32_e32 v22, v22, v23, vcc_lo
	v_cmp_lt_u32_e32 vcc_lo, 3, v24
	v_mov_b32_dpp v23, v22 row_shr:4 row_mask:0xf bank_mask:0xf
	s_delay_alu instid0(VALU_DEP_1) | instskip(NEXT) | instid1(VALU_DEP_1)
	v_add_f32_e32 v23, v22, v23
	v_cndmask_b32_e32 v22, v22, v23, vcc_lo
	v_cmp_lt_u32_e32 vcc_lo, 7, v24
	v_and_b32_e32 v24, 0xe0, v0
	s_delay_alu instid0(VALU_DEP_1) | instskip(NEXT) | instid1(VALU_DEP_1)
	v_min_u32_e32 v24, 0x82, v24
	v_add_nc_u32_e32 v24, 31, v24
	v_mov_b32_dpp v23, v22 row_shr:8 row_mask:0xf bank_mask:0xf
	s_delay_alu instid0(VALU_DEP_1) | instskip(NEXT) | instid1(VALU_DEP_1)
	v_add_f32_e32 v23, v22, v23
	v_cndmask_b32_e32 v22, v22, v23, vcc_lo
	v_cmp_eq_u32_e32 vcc_lo, 0, v25
	ds_swizzle_b32 v23, v22 offset:swizzle(BROADCAST,32,15)
	s_waitcnt lgkmcnt(0)
	v_add_f32_e32 v26, v22, v23
	v_lshrrev_b32_e32 v23, 5, v0
	s_delay_alu instid0(VALU_DEP_2)
	v_cndmask_b32_e32 v22, v26, v22, vcc_lo
	v_cmpx_eq_u32_e64 v24, v0
	s_cbranch_execz .LBB261_2
; %bb.1:
	s_delay_alu instid0(VALU_DEP_3)
	v_lshlrev_b32_e32 v24, 2, v23
	ds_store_b32 v24, v22
.LBB261_2:
	s_or_b32 exec_lo, exec_lo, s3
	s_delay_alu instid0(SALU_CYCLE_1)
	s_mov_b32 s3, exec_lo
	s_waitcnt lgkmcnt(0)
	s_barrier
	buffer_gl0_inv
	v_cmpx_gt_u32_e32 6, v0
	s_cbranch_execz .LBB261_4
; %bb.3:
	v_and_b32_e32 v27, 7, v21
	s_delay_alu instid0(VALU_DEP_1) | instskip(SKIP_4) | instid1(VALU_DEP_1)
	v_cmp_eq_u32_e32 vcc_lo, 0, v27
	v_lshlrev_b32_e32 v24, 2, v0
	ds_load_b32 v25, v24
	s_waitcnt lgkmcnt(0)
	v_mov_b32_dpp v26, v25 row_shr:1 row_mask:0xf bank_mask:0xf
	v_add_f32_e32 v26, v25, v26
	s_delay_alu instid0(VALU_DEP_1) | instskip(SKIP_1) | instid1(VALU_DEP_2)
	v_cndmask_b32_e32 v25, v26, v25, vcc_lo
	v_cmp_lt_u32_e32 vcc_lo, 1, v27
	v_mov_b32_dpp v26, v25 row_shr:2 row_mask:0xf bank_mask:0xf
	s_delay_alu instid0(VALU_DEP_1) | instskip(NEXT) | instid1(VALU_DEP_1)
	v_add_f32_e32 v26, v25, v26
	v_cndmask_b32_e32 v25, v25, v26, vcc_lo
	v_cmp_lt_u32_e32 vcc_lo, 3, v27
	s_delay_alu instid0(VALU_DEP_2) | instskip(NEXT) | instid1(VALU_DEP_1)
	v_mov_b32_dpp v26, v25 row_shr:4 row_mask:0xf bank_mask:0xf
	v_add_f32_e32 v26, v25, v26
	s_delay_alu instid0(VALU_DEP_1)
	v_cndmask_b32_e32 v25, v25, v26, vcc_lo
	ds_store_b32 v24, v25
.LBB261_4:
	s_or_b32 exec_lo, exec_lo, s3
	s_load_b32 s0, s[0:1], 0x10
	s_mov_b32 s1, exec_lo
	s_waitcnt lgkmcnt(0)
	s_barrier
	buffer_gl0_inv
	v_mov_b32_e32 v24, s0
	v_cmpx_lt_u32_e32 31, v0
	s_cbranch_execz .LBB261_6
; %bb.5:
	v_lshl_add_u32 v23, v23, 2, -4
	ds_load_b32 v23, v23
	s_waitcnt lgkmcnt(0)
	v_add_f32_e32 v24, s0, v23
.LBB261_6:
	s_or_b32 exec_lo, exec_lo, s1
	s_delay_alu instid0(VALU_DEP_1) | instskip(SKIP_1) | instid1(VALU_DEP_1)
	v_dual_add_f32 v22, v22, v24 :: v_dual_add_nc_u32 v23, -1, v21
	s_mov_b32 s3, 0
	v_cmp_gt_i32_e32 vcc_lo, 0, v23
	v_cndmask_b32_e32 v23, v23, v21, vcc_lo
	v_cmp_eq_u32_e32 vcc_lo, 0, v21
	s_delay_alu instid0(VALU_DEP_2) | instskip(SKIP_4) | instid1(VALU_DEP_2)
	v_lshlrev_b32_e32 v23, 2, v23
	ds_bpermute_b32 v22, v23, v22
	s_waitcnt lgkmcnt(0)
	v_cndmask_b32_e32 v21, v22, v24, vcc_lo
	v_cmp_eq_u32_e32 vcc_lo, 0, v0
	v_cndmask_b32_e64 v0, v21, s0, vcc_lo
	s_delay_alu instid0(VALU_DEP_1) | instskip(NEXT) | instid1(VALU_DEP_1)
	v_add_f32_e32 v15, v15, v0
	v_add_f32_e32 v16, v16, v15
	s_delay_alu instid0(VALU_DEP_1) | instskip(NEXT) | instid1(VALU_DEP_1)
	v_add_f32_e32 v17, v17, v16
	v_add_f32_e32 v18, v18, v17
	;; [unrolled: 3-line block ×3, first 2 shown]
	s_clause 0x6
	global_store_b32 v[1:2], v0, off
	global_store_b32 v[3:4], v15, off
	;; [unrolled: 1-line block ×7, first 2 shown]
	s_and_saveexec_b32 s0, vcc_lo
	s_cbranch_execz .LBB261_8
; %bb.7:
	v_mov_b32_e32 v0, 0
	s_lshl_b64 s[0:1], s[2:3], 2
	s_delay_alu instid0(SALU_CYCLE_1)
	s_add_u32 s0, s6, s0
	s_addc_u32 s1, s7, s1
	ds_load_b32 v1, v0 offset:20
	s_waitcnt lgkmcnt(0)
	global_store_b32 v0, v1, s[0:1]
.LBB261_8:
	s_nop 0
	s_sendmsg sendmsg(MSG_DEALLOC_VGPRS)
	s_endpgm
	.section	.rodata,"a",@progbits
	.p2align	6, 0x0
	.amdhsa_kernel _Z34exclusive_scan_reduce_array_kernelILj162ELj7ELN6hipcub18BlockScanAlgorithmE0EfEvPT2_S3_S2_
		.amdhsa_group_segment_fixed_size 24
		.amdhsa_private_segment_fixed_size 0
		.amdhsa_kernarg_size 20
		.amdhsa_user_sgpr_count 15
		.amdhsa_user_sgpr_dispatch_ptr 0
		.amdhsa_user_sgpr_queue_ptr 0
		.amdhsa_user_sgpr_kernarg_segment_ptr 1
		.amdhsa_user_sgpr_dispatch_id 0
		.amdhsa_user_sgpr_private_segment_size 0
		.amdhsa_wavefront_size32 1
		.amdhsa_uses_dynamic_stack 0
		.amdhsa_enable_private_segment 0
		.amdhsa_system_sgpr_workgroup_id_x 1
		.amdhsa_system_sgpr_workgroup_id_y 0
		.amdhsa_system_sgpr_workgroup_id_z 0
		.amdhsa_system_sgpr_workgroup_info 0
		.amdhsa_system_vgpr_workitem_id 0
		.amdhsa_next_free_vgpr 28
		.amdhsa_next_free_sgpr 16
		.amdhsa_reserve_vcc 1
		.amdhsa_float_round_mode_32 0
		.amdhsa_float_round_mode_16_64 0
		.amdhsa_float_denorm_mode_32 3
		.amdhsa_float_denorm_mode_16_64 3
		.amdhsa_dx10_clamp 1
		.amdhsa_ieee_mode 1
		.amdhsa_fp16_overflow 0
		.amdhsa_workgroup_processor_mode 1
		.amdhsa_memory_ordered 1
		.amdhsa_forward_progress 0
		.amdhsa_shared_vgpr_count 0
		.amdhsa_exception_fp_ieee_invalid_op 0
		.amdhsa_exception_fp_denorm_src 0
		.amdhsa_exception_fp_ieee_div_zero 0
		.amdhsa_exception_fp_ieee_overflow 0
		.amdhsa_exception_fp_ieee_underflow 0
		.amdhsa_exception_fp_ieee_inexact 0
		.amdhsa_exception_int_div_zero 0
	.end_amdhsa_kernel
	.section	.text._Z34exclusive_scan_reduce_array_kernelILj162ELj7ELN6hipcub18BlockScanAlgorithmE0EfEvPT2_S3_S2_,"axG",@progbits,_Z34exclusive_scan_reduce_array_kernelILj162ELj7ELN6hipcub18BlockScanAlgorithmE0EfEvPT2_S3_S2_,comdat
.Lfunc_end261:
	.size	_Z34exclusive_scan_reduce_array_kernelILj162ELj7ELN6hipcub18BlockScanAlgorithmE0EfEvPT2_S3_S2_, .Lfunc_end261-_Z34exclusive_scan_reduce_array_kernelILj162ELj7ELN6hipcub18BlockScanAlgorithmE0EfEvPT2_S3_S2_
                                        ; -- End function
	.section	.AMDGPU.csdata,"",@progbits
; Kernel info:
; codeLenInByte = 1008
; NumSgprs: 18
; NumVgprs: 28
; ScratchSize: 0
; MemoryBound: 0
; FloatMode: 240
; IeeeMode: 1
; LDSByteSize: 24 bytes/workgroup (compile time only)
; SGPRBlocks: 2
; VGPRBlocks: 3
; NumSGPRsForWavesPerEU: 18
; NumVGPRsForWavesPerEU: 28
; Occupancy: 15
; WaveLimiterHint : 0
; COMPUTE_PGM_RSRC2:SCRATCH_EN: 0
; COMPUTE_PGM_RSRC2:USER_SGPR: 15
; COMPUTE_PGM_RSRC2:TRAP_HANDLER: 0
; COMPUTE_PGM_RSRC2:TGID_X_EN: 1
; COMPUTE_PGM_RSRC2:TGID_Y_EN: 0
; COMPUTE_PGM_RSRC2:TGID_Z_EN: 0
; COMPUTE_PGM_RSRC2:TIDIG_COMP_CNT: 0
	.section	.text._Z34exclusive_scan_reduce_array_kernelILj65ELj5ELN6hipcub18BlockScanAlgorithmE0EfEvPT2_S3_S2_,"axG",@progbits,_Z34exclusive_scan_reduce_array_kernelILj65ELj5ELN6hipcub18BlockScanAlgorithmE0EfEvPT2_S3_S2_,comdat
	.protected	_Z34exclusive_scan_reduce_array_kernelILj65ELj5ELN6hipcub18BlockScanAlgorithmE0EfEvPT2_S3_S2_ ; -- Begin function _Z34exclusive_scan_reduce_array_kernelILj65ELj5ELN6hipcub18BlockScanAlgorithmE0EfEvPT2_S3_S2_
	.globl	_Z34exclusive_scan_reduce_array_kernelILj65ELj5ELN6hipcub18BlockScanAlgorithmE0EfEvPT2_S3_S2_
	.p2align	8
	.type	_Z34exclusive_scan_reduce_array_kernelILj65ELj5ELN6hipcub18BlockScanAlgorithmE0EfEvPT2_S3_S2_,@function
_Z34exclusive_scan_reduce_array_kernelILj65ELj5ELN6hipcub18BlockScanAlgorithmE0EfEvPT2_S3_S2_: ; @_Z34exclusive_scan_reduce_array_kernelILj65ELj5ELN6hipcub18BlockScanAlgorithmE0EfEvPT2_S3_S2_
; %bb.0:
	s_mov_b32 s2, s15
	s_load_b128 s[4:7], s[0:1], 0x0
	v_mad_u64_u32 v[1:2], null, 0x41, s2, v[0:1]
	s_mov_b32 s3, exec_lo
	s_delay_alu instid0(VALU_DEP_1) | instskip(NEXT) | instid1(VALU_DEP_1)
	v_lshl_add_u32 v1, v1, 2, v1
	v_dual_mov_b32 v2, 0 :: v_dual_add_nc_u32 v3, 1, v1
	s_delay_alu instid0(VALU_DEP_1) | instskip(SKIP_3) | instid1(VALU_DEP_4)
	v_dual_mov_b32 v4, v2 :: v_dual_add_nc_u32 v5, 2, v1
	v_lshlrev_b64 v[9:10], 2, v[1:2]
	v_dual_mov_b32 v6, v2 :: v_dual_add_nc_u32 v7, 3, v1
	v_dual_mov_b32 v8, v2 :: v_dual_add_nc_u32 v1, 4, v1
	v_lshlrev_b64 v[3:4], 2, v[3:4]
	s_delay_alu instid0(VALU_DEP_3) | instskip(NEXT) | instid1(VALU_DEP_3)
	v_lshlrev_b64 v[5:6], 2, v[5:6]
	v_lshlrev_b64 v[7:8], 2, v[7:8]
	s_delay_alu instid0(VALU_DEP_4)
	v_lshlrev_b64 v[14:15], 2, v[1:2]
	s_waitcnt lgkmcnt(0)
	v_add_co_u32 v1, vcc_lo, s4, v9
	v_add_co_ci_u32_e32 v2, vcc_lo, s5, v10, vcc_lo
	v_add_co_u32 v3, vcc_lo, s4, v3
	v_add_co_ci_u32_e32 v4, vcc_lo, s5, v4, vcc_lo
	;; [unrolled: 2-line block ×3, first 2 shown]
	s_clause 0x1
	global_load_b32 v11, v[1:2], off
	global_load_b32 v12, v[3:4], off
	v_add_co_u32 v7, vcc_lo, s4, v7
	v_add_co_ci_u32_e32 v8, vcc_lo, s5, v8, vcc_lo
	global_load_b32 v13, v[5:6], off
	v_add_co_u32 v9, vcc_lo, s4, v14
	v_add_co_ci_u32_e32 v10, vcc_lo, s5, v15, vcc_lo
	s_clause 0x1
	global_load_b32 v14, v[7:8], off
	global_load_b32 v15, v[9:10], off
	s_waitcnt vmcnt(3)
	v_add_f32_e32 v16, v11, v12
	s_waitcnt vmcnt(2)
	s_delay_alu instid0(VALU_DEP_1) | instskip(SKIP_1) | instid1(VALU_DEP_1)
	v_add_f32_e32 v16, v13, v16
	s_waitcnt vmcnt(1)
	v_add_f32_e32 v16, v14, v16
	s_waitcnt vmcnt(0)
	s_delay_alu instid0(VALU_DEP_1) | instskip(SKIP_1) | instid1(VALU_DEP_2)
	v_add_f32_e32 v16, v15, v16
	v_mbcnt_lo_u32_b32 v15, -1, 0
	v_mov_b32_dpp v17, v16 row_shr:1 row_mask:0xf bank_mask:0xf
	s_delay_alu instid0(VALU_DEP_2) | instskip(NEXT) | instid1(VALU_DEP_2)
	v_and_b32_e32 v19, 16, v15
	v_dual_add_f32 v17, v16, v17 :: v_dual_and_b32 v18, 15, v15
	s_delay_alu instid0(VALU_DEP_1) | instskip(NEXT) | instid1(VALU_DEP_2)
	v_cmp_eq_u32_e32 vcc_lo, 0, v18
	v_cndmask_b32_e32 v16, v17, v16, vcc_lo
	v_cmp_lt_u32_e32 vcc_lo, 1, v18
	s_delay_alu instid0(VALU_DEP_2) | instskip(NEXT) | instid1(VALU_DEP_1)
	v_mov_b32_dpp v17, v16 row_shr:2 row_mask:0xf bank_mask:0xf
	v_add_f32_e32 v17, v16, v17
	s_delay_alu instid0(VALU_DEP_1) | instskip(SKIP_1) | instid1(VALU_DEP_2)
	v_cndmask_b32_e32 v16, v16, v17, vcc_lo
	v_cmp_lt_u32_e32 vcc_lo, 3, v18
	v_mov_b32_dpp v17, v16 row_shr:4 row_mask:0xf bank_mask:0xf
	s_delay_alu instid0(VALU_DEP_1) | instskip(NEXT) | instid1(VALU_DEP_1)
	v_add_f32_e32 v17, v16, v17
	v_cndmask_b32_e32 v16, v16, v17, vcc_lo
	v_cmp_lt_u32_e32 vcc_lo, 7, v18
	v_and_b32_e32 v18, 0x60, v0
	s_delay_alu instid0(VALU_DEP_1) | instskip(NEXT) | instid1(VALU_DEP_1)
	v_min_u32_e32 v18, 33, v18
	v_add_nc_u32_e32 v18, 31, v18
	v_mov_b32_dpp v17, v16 row_shr:8 row_mask:0xf bank_mask:0xf
	s_delay_alu instid0(VALU_DEP_1) | instskip(NEXT) | instid1(VALU_DEP_1)
	v_add_f32_e32 v17, v16, v17
	v_cndmask_b32_e32 v16, v16, v17, vcc_lo
	v_cmp_eq_u32_e32 vcc_lo, 0, v19
	ds_swizzle_b32 v17, v16 offset:swizzle(BROADCAST,32,15)
	s_waitcnt lgkmcnt(0)
	v_add_f32_e32 v20, v16, v17
	v_lshrrev_b32_e32 v17, 5, v0
	s_delay_alu instid0(VALU_DEP_2)
	v_cndmask_b32_e32 v16, v20, v16, vcc_lo
	v_cmpx_eq_u32_e64 v18, v0
	s_cbranch_execz .LBB262_2
; %bb.1:
	s_delay_alu instid0(VALU_DEP_3)
	v_lshlrev_b32_e32 v18, 2, v17
	ds_store_b32 v18, v16
.LBB262_2:
	s_or_b32 exec_lo, exec_lo, s3
	s_delay_alu instid0(SALU_CYCLE_1)
	s_mov_b32 s3, exec_lo
	s_waitcnt lgkmcnt(0)
	s_barrier
	buffer_gl0_inv
	v_cmpx_gt_u32_e32 3, v0
	s_cbranch_execz .LBB262_4
; %bb.3:
	v_and_b32_e32 v21, 3, v15
	s_delay_alu instid0(VALU_DEP_1) | instskip(SKIP_4) | instid1(VALU_DEP_1)
	v_cmp_eq_u32_e32 vcc_lo, 0, v21
	v_lshlrev_b32_e32 v18, 2, v0
	ds_load_b32 v19, v18
	s_waitcnt lgkmcnt(0)
	v_mov_b32_dpp v20, v19 row_shr:1 row_mask:0xf bank_mask:0xf
	v_add_f32_e32 v20, v19, v20
	s_delay_alu instid0(VALU_DEP_1) | instskip(SKIP_1) | instid1(VALU_DEP_2)
	v_cndmask_b32_e32 v19, v20, v19, vcc_lo
	v_cmp_lt_u32_e32 vcc_lo, 1, v21
	v_mov_b32_dpp v20, v19 row_shr:2 row_mask:0xf bank_mask:0xf
	s_delay_alu instid0(VALU_DEP_1) | instskip(NEXT) | instid1(VALU_DEP_1)
	v_add_f32_e32 v20, v19, v20
	v_cndmask_b32_e32 v19, v19, v20, vcc_lo
	ds_store_b32 v18, v19
.LBB262_4:
	s_or_b32 exec_lo, exec_lo, s3
	s_load_b32 s0, s[0:1], 0x10
	s_mov_b32 s1, exec_lo
	s_waitcnt lgkmcnt(0)
	s_barrier
	buffer_gl0_inv
	v_mov_b32_e32 v18, s0
	v_cmpx_lt_u32_e32 31, v0
	s_cbranch_execz .LBB262_6
; %bb.5:
	v_lshl_add_u32 v17, v17, 2, -4
	ds_load_b32 v17, v17
	s_waitcnt lgkmcnt(0)
	v_add_f32_e32 v18, s0, v17
.LBB262_6:
	s_or_b32 exec_lo, exec_lo, s1
	s_delay_alu instid0(VALU_DEP_1) | instskip(SKIP_1) | instid1(VALU_DEP_1)
	v_dual_add_f32 v16, v16, v18 :: v_dual_add_nc_u32 v17, -1, v15
	s_mov_b32 s3, 0
	v_cmp_gt_i32_e32 vcc_lo, 0, v17
	v_cndmask_b32_e32 v17, v17, v15, vcc_lo
	v_cmp_eq_u32_e32 vcc_lo, 0, v15
	s_delay_alu instid0(VALU_DEP_2) | instskip(SKIP_4) | instid1(VALU_DEP_2)
	v_lshlrev_b32_e32 v17, 2, v17
	ds_bpermute_b32 v16, v17, v16
	s_waitcnt lgkmcnt(0)
	v_cndmask_b32_e32 v15, v16, v18, vcc_lo
	v_cmp_eq_u32_e32 vcc_lo, 0, v0
	v_cndmask_b32_e64 v0, v15, s0, vcc_lo
	s_delay_alu instid0(VALU_DEP_1) | instskip(NEXT) | instid1(VALU_DEP_1)
	v_add_f32_e32 v11, v11, v0
	v_add_f32_e32 v12, v12, v11
	s_delay_alu instid0(VALU_DEP_1) | instskip(NEXT) | instid1(VALU_DEP_1)
	v_add_f32_e32 v13, v13, v12
	v_add_f32_e32 v14, v14, v13
	s_clause 0x4
	global_store_b32 v[1:2], v0, off
	global_store_b32 v[3:4], v11, off
	;; [unrolled: 1-line block ×5, first 2 shown]
	s_and_saveexec_b32 s0, vcc_lo
	s_cbranch_execz .LBB262_8
; %bb.7:
	v_mov_b32_e32 v0, 0
	s_lshl_b64 s[0:1], s[2:3], 2
	s_delay_alu instid0(SALU_CYCLE_1)
	s_add_u32 s0, s6, s0
	s_addc_u32 s1, s7, s1
	ds_load_b32 v1, v0 offset:8
	s_waitcnt lgkmcnt(0)
	global_store_b32 v0, v1, s[0:1]
.LBB262_8:
	s_nop 0
	s_sendmsg sendmsg(MSG_DEALLOC_VGPRS)
	s_endpgm
	.section	.rodata,"a",@progbits
	.p2align	6, 0x0
	.amdhsa_kernel _Z34exclusive_scan_reduce_array_kernelILj65ELj5ELN6hipcub18BlockScanAlgorithmE0EfEvPT2_S3_S2_
		.amdhsa_group_segment_fixed_size 12
		.amdhsa_private_segment_fixed_size 0
		.amdhsa_kernarg_size 20
		.amdhsa_user_sgpr_count 15
		.amdhsa_user_sgpr_dispatch_ptr 0
		.amdhsa_user_sgpr_queue_ptr 0
		.amdhsa_user_sgpr_kernarg_segment_ptr 1
		.amdhsa_user_sgpr_dispatch_id 0
		.amdhsa_user_sgpr_private_segment_size 0
		.amdhsa_wavefront_size32 1
		.amdhsa_uses_dynamic_stack 0
		.amdhsa_enable_private_segment 0
		.amdhsa_system_sgpr_workgroup_id_x 1
		.amdhsa_system_sgpr_workgroup_id_y 0
		.amdhsa_system_sgpr_workgroup_id_z 0
		.amdhsa_system_sgpr_workgroup_info 0
		.amdhsa_system_vgpr_workitem_id 0
		.amdhsa_next_free_vgpr 22
		.amdhsa_next_free_sgpr 16
		.amdhsa_reserve_vcc 1
		.amdhsa_float_round_mode_32 0
		.amdhsa_float_round_mode_16_64 0
		.amdhsa_float_denorm_mode_32 3
		.amdhsa_float_denorm_mode_16_64 3
		.amdhsa_dx10_clamp 1
		.amdhsa_ieee_mode 1
		.amdhsa_fp16_overflow 0
		.amdhsa_workgroup_processor_mode 1
		.amdhsa_memory_ordered 1
		.amdhsa_forward_progress 0
		.amdhsa_shared_vgpr_count 0
		.amdhsa_exception_fp_ieee_invalid_op 0
		.amdhsa_exception_fp_denorm_src 0
		.amdhsa_exception_fp_ieee_div_zero 0
		.amdhsa_exception_fp_ieee_overflow 0
		.amdhsa_exception_fp_ieee_underflow 0
		.amdhsa_exception_fp_ieee_inexact 0
		.amdhsa_exception_int_div_zero 0
	.end_amdhsa_kernel
	.section	.text._Z34exclusive_scan_reduce_array_kernelILj65ELj5ELN6hipcub18BlockScanAlgorithmE0EfEvPT2_S3_S2_,"axG",@progbits,_Z34exclusive_scan_reduce_array_kernelILj65ELj5ELN6hipcub18BlockScanAlgorithmE0EfEvPT2_S3_S2_,comdat
.Lfunc_end262:
	.size	_Z34exclusive_scan_reduce_array_kernelILj65ELj5ELN6hipcub18BlockScanAlgorithmE0EfEvPT2_S3_S2_, .Lfunc_end262-_Z34exclusive_scan_reduce_array_kernelILj65ELj5ELN6hipcub18BlockScanAlgorithmE0EfEvPT2_S3_S2_
                                        ; -- End function
	.section	.AMDGPU.csdata,"",@progbits
; Kernel info:
; codeLenInByte = 856
; NumSgprs: 18
; NumVgprs: 22
; ScratchSize: 0
; MemoryBound: 0
; FloatMode: 240
; IeeeMode: 1
; LDSByteSize: 12 bytes/workgroup (compile time only)
; SGPRBlocks: 2
; VGPRBlocks: 2
; NumSGPRsForWavesPerEU: 18
; NumVGPRsForWavesPerEU: 22
; Occupancy: 16
; WaveLimiterHint : 0
; COMPUTE_PGM_RSRC2:SCRATCH_EN: 0
; COMPUTE_PGM_RSRC2:USER_SGPR: 15
; COMPUTE_PGM_RSRC2:TRAP_HANDLER: 0
; COMPUTE_PGM_RSRC2:TGID_X_EN: 1
; COMPUTE_PGM_RSRC2:TGID_Y_EN: 0
; COMPUTE_PGM_RSRC2:TGID_Z_EN: 0
; COMPUTE_PGM_RSRC2:TIDIG_COMP_CNT: 0
	.section	.text._Z34exclusive_scan_reduce_array_kernelILj37ELj2ELN6hipcub18BlockScanAlgorithmE0EfEvPT2_S3_S2_,"axG",@progbits,_Z34exclusive_scan_reduce_array_kernelILj37ELj2ELN6hipcub18BlockScanAlgorithmE0EfEvPT2_S3_S2_,comdat
	.protected	_Z34exclusive_scan_reduce_array_kernelILj37ELj2ELN6hipcub18BlockScanAlgorithmE0EfEvPT2_S3_S2_ ; -- Begin function _Z34exclusive_scan_reduce_array_kernelILj37ELj2ELN6hipcub18BlockScanAlgorithmE0EfEvPT2_S3_S2_
	.globl	_Z34exclusive_scan_reduce_array_kernelILj37ELj2ELN6hipcub18BlockScanAlgorithmE0EfEvPT2_S3_S2_
	.p2align	8
	.type	_Z34exclusive_scan_reduce_array_kernelILj37ELj2ELN6hipcub18BlockScanAlgorithmE0EfEvPT2_S3_S2_,@function
_Z34exclusive_scan_reduce_array_kernelILj37ELj2ELN6hipcub18BlockScanAlgorithmE0EfEvPT2_S3_S2_: ; @_Z34exclusive_scan_reduce_array_kernelILj37ELj2ELN6hipcub18BlockScanAlgorithmE0EfEvPT2_S3_S2_
; %bb.0:
	s_load_b128 s[4:7], s[0:1], 0x0
	s_mul_i32 s3, s15, 37
	v_mov_b32_e32 v2, 0
	v_add_lshl_u32 v1, s3, v0, 1
	s_mov_b32 s2, s15
	s_mov_b32 s3, exec_lo
	s_delay_alu instid0(VALU_DEP_1) | instskip(SKIP_1) | instid1(VALU_DEP_1)
	v_lshlrev_b64 v[1:2], 2, v[1:2]
	s_waitcnt lgkmcnt(0)
	v_add_co_u32 v1, vcc_lo, s4, v1
	s_delay_alu instid0(VALU_DEP_2) | instskip(SKIP_4) | instid1(VALU_DEP_2)
	v_add_co_ci_u32_e32 v2, vcc_lo, s5, v2, vcc_lo
	global_load_b64 v[3:4], v[1:2], off
	s_waitcnt vmcnt(0)
	v_add_f32_e32 v5, v3, v4
	v_mbcnt_lo_u32_b32 v4, -1, 0
	v_mov_b32_dpp v6, v5 row_shr:1 row_mask:0xf bank_mask:0xf
	s_delay_alu instid0(VALU_DEP_2) | instskip(SKIP_1) | instid1(VALU_DEP_3)
	v_and_b32_e32 v7, 15, v4
	v_and_b32_e32 v8, 16, v4
	v_add_f32_e32 v6, v5, v6
	s_delay_alu instid0(VALU_DEP_3) | instskip(NEXT) | instid1(VALU_DEP_2)
	v_cmp_eq_u32_e32 vcc_lo, 0, v7
	v_cndmask_b32_e32 v5, v6, v5, vcc_lo
	v_cmp_lt_u32_e32 vcc_lo, 1, v7
	s_delay_alu instid0(VALU_DEP_2) | instskip(NEXT) | instid1(VALU_DEP_1)
	v_mov_b32_dpp v6, v5 row_shr:2 row_mask:0xf bank_mask:0xf
	v_add_f32_e32 v6, v5, v6
	s_delay_alu instid0(VALU_DEP_1) | instskip(SKIP_1) | instid1(VALU_DEP_2)
	v_cndmask_b32_e32 v5, v5, v6, vcc_lo
	v_cmp_lt_u32_e32 vcc_lo, 3, v7
	v_mov_b32_dpp v6, v5 row_shr:4 row_mask:0xf bank_mask:0xf
	s_delay_alu instid0(VALU_DEP_1) | instskip(NEXT) | instid1(VALU_DEP_1)
	v_add_f32_e32 v6, v5, v6
	v_cndmask_b32_e32 v5, v5, v6, vcc_lo
	v_cmp_lt_u32_e32 vcc_lo, 7, v7
	v_and_b32_e32 v7, 32, v0
	s_delay_alu instid0(VALU_DEP_1) | instskip(NEXT) | instid1(VALU_DEP_1)
	v_min_u32_e32 v7, 5, v7
	v_add_nc_u32_e32 v7, 31, v7
	v_mov_b32_dpp v6, v5 row_shr:8 row_mask:0xf bank_mask:0xf
	s_delay_alu instid0(VALU_DEP_1) | instskip(NEXT) | instid1(VALU_DEP_1)
	v_add_f32_e32 v6, v5, v6
	v_cndmask_b32_e32 v5, v5, v6, vcc_lo
	v_cmp_eq_u32_e32 vcc_lo, 0, v8
	ds_swizzle_b32 v6, v5 offset:swizzle(BROADCAST,32,15)
	s_waitcnt lgkmcnt(0)
	v_add_f32_e32 v9, v5, v6
	v_lshrrev_b32_e32 v6, 5, v0
	s_delay_alu instid0(VALU_DEP_2)
	v_cndmask_b32_e32 v5, v9, v5, vcc_lo
	v_cmpx_eq_u32_e64 v7, v0
	s_cbranch_execz .LBB263_2
; %bb.1:
	s_delay_alu instid0(VALU_DEP_3)
	v_lshlrev_b32_e32 v7, 2, v6
	ds_store_b32 v7, v5
.LBB263_2:
	s_or_b32 exec_lo, exec_lo, s3
	s_delay_alu instid0(SALU_CYCLE_1)
	s_mov_b32 s3, exec_lo
	s_waitcnt lgkmcnt(0)
	s_barrier
	buffer_gl0_inv
	v_cmpx_gt_u32_e32 2, v0
	s_cbranch_execz .LBB263_4
; %bb.3:
	v_lshlrev_b32_e32 v7, 2, v0
	ds_load_b32 v8, v7
	s_waitcnt lgkmcnt(0)
	v_mov_b32_dpp v9, v8 row_shr:1 row_mask:0xf bank_mask:0xf
	s_delay_alu instid0(VALU_DEP_1) | instskip(NEXT) | instid1(VALU_DEP_1)
	v_dual_add_f32 v9, v8, v9 :: v_dual_and_b32 v10, 1, v4
	v_cmp_eq_u32_e32 vcc_lo, 0, v10
	s_delay_alu instid0(VALU_DEP_2)
	v_cndmask_b32_e32 v8, v9, v8, vcc_lo
	ds_store_b32 v7, v8
.LBB263_4:
	s_or_b32 exec_lo, exec_lo, s3
	s_load_b32 s0, s[0:1], 0x10
	s_mov_b32 s1, exec_lo
	s_waitcnt lgkmcnt(0)
	s_barrier
	buffer_gl0_inv
	v_mov_b32_e32 v7, s0
	v_cmpx_lt_u32_e32 31, v0
	s_cbranch_execz .LBB263_6
; %bb.5:
	v_lshl_add_u32 v6, v6, 2, -4
	ds_load_b32 v6, v6
	s_waitcnt lgkmcnt(0)
	v_add_f32_e32 v7, s0, v6
.LBB263_6:
	s_or_b32 exec_lo, exec_lo, s1
	s_delay_alu instid0(VALU_DEP_1) | instskip(SKIP_1) | instid1(VALU_DEP_1)
	v_dual_add_f32 v5, v5, v7 :: v_dual_add_nc_u32 v6, -1, v4
	s_mov_b32 s3, 0
	v_cmp_gt_i32_e32 vcc_lo, 0, v6
	v_cndmask_b32_e32 v6, v6, v4, vcc_lo
	v_cmp_eq_u32_e32 vcc_lo, 0, v4
	s_delay_alu instid0(VALU_DEP_2) | instskip(SKIP_4) | instid1(VALU_DEP_2)
	v_lshlrev_b32_e32 v6, 2, v6
	ds_bpermute_b32 v5, v6, v5
	s_waitcnt lgkmcnt(0)
	v_cndmask_b32_e32 v4, v5, v7, vcc_lo
	v_cmp_eq_u32_e32 vcc_lo, 0, v0
	v_cndmask_b32_e64 v4, v4, s0, vcc_lo
	s_delay_alu instid0(VALU_DEP_1)
	v_add_f32_e32 v5, v3, v4
	global_store_b64 v[1:2], v[4:5], off
	s_and_saveexec_b32 s0, vcc_lo
	s_cbranch_execz .LBB263_8
; %bb.7:
	v_mov_b32_e32 v0, 0
	s_lshl_b64 s[0:1], s[2:3], 2
	s_delay_alu instid0(SALU_CYCLE_1)
	s_add_u32 s0, s6, s0
	s_addc_u32 s1, s7, s1
	ds_load_b32 v1, v0 offset:4
	s_waitcnt lgkmcnt(0)
	global_store_b32 v0, v1, s[0:1]
.LBB263_8:
	s_nop 0
	s_sendmsg sendmsg(MSG_DEALLOC_VGPRS)
	s_endpgm
	.section	.rodata,"a",@progbits
	.p2align	6, 0x0
	.amdhsa_kernel _Z34exclusive_scan_reduce_array_kernelILj37ELj2ELN6hipcub18BlockScanAlgorithmE0EfEvPT2_S3_S2_
		.amdhsa_group_segment_fixed_size 8
		.amdhsa_private_segment_fixed_size 0
		.amdhsa_kernarg_size 20
		.amdhsa_user_sgpr_count 15
		.amdhsa_user_sgpr_dispatch_ptr 0
		.amdhsa_user_sgpr_queue_ptr 0
		.amdhsa_user_sgpr_kernarg_segment_ptr 1
		.amdhsa_user_sgpr_dispatch_id 0
		.amdhsa_user_sgpr_private_segment_size 0
		.amdhsa_wavefront_size32 1
		.amdhsa_uses_dynamic_stack 0
		.amdhsa_enable_private_segment 0
		.amdhsa_system_sgpr_workgroup_id_x 1
		.amdhsa_system_sgpr_workgroup_id_y 0
		.amdhsa_system_sgpr_workgroup_id_z 0
		.amdhsa_system_sgpr_workgroup_info 0
		.amdhsa_system_vgpr_workitem_id 0
		.amdhsa_next_free_vgpr 11
		.amdhsa_next_free_sgpr 16
		.amdhsa_reserve_vcc 1
		.amdhsa_float_round_mode_32 0
		.amdhsa_float_round_mode_16_64 0
		.amdhsa_float_denorm_mode_32 3
		.amdhsa_float_denorm_mode_16_64 3
		.amdhsa_dx10_clamp 1
		.amdhsa_ieee_mode 1
		.amdhsa_fp16_overflow 0
		.amdhsa_workgroup_processor_mode 1
		.amdhsa_memory_ordered 1
		.amdhsa_forward_progress 0
		.amdhsa_shared_vgpr_count 0
		.amdhsa_exception_fp_ieee_invalid_op 0
		.amdhsa_exception_fp_denorm_src 0
		.amdhsa_exception_fp_ieee_div_zero 0
		.amdhsa_exception_fp_ieee_overflow 0
		.amdhsa_exception_fp_ieee_underflow 0
		.amdhsa_exception_fp_ieee_inexact 0
		.amdhsa_exception_int_div_zero 0
	.end_amdhsa_kernel
	.section	.text._Z34exclusive_scan_reduce_array_kernelILj37ELj2ELN6hipcub18BlockScanAlgorithmE0EfEvPT2_S3_S2_,"axG",@progbits,_Z34exclusive_scan_reduce_array_kernelILj37ELj2ELN6hipcub18BlockScanAlgorithmE0EfEvPT2_S3_S2_,comdat
.Lfunc_end263:
	.size	_Z34exclusive_scan_reduce_array_kernelILj37ELj2ELN6hipcub18BlockScanAlgorithmE0EfEvPT2_S3_S2_, .Lfunc_end263-_Z34exclusive_scan_reduce_array_kernelILj37ELj2ELN6hipcub18BlockScanAlgorithmE0EfEvPT2_S3_S2_
                                        ; -- End function
	.section	.AMDGPU.csdata,"",@progbits
; Kernel info:
; codeLenInByte = 580
; NumSgprs: 18
; NumVgprs: 11
; ScratchSize: 0
; MemoryBound: 0
; FloatMode: 240
; IeeeMode: 1
; LDSByteSize: 8 bytes/workgroup (compile time only)
; SGPRBlocks: 2
; VGPRBlocks: 1
; NumSGPRsForWavesPerEU: 18
; NumVGPRsForWavesPerEU: 11
; Occupancy: 16
; WaveLimiterHint : 0
; COMPUTE_PGM_RSRC2:SCRATCH_EN: 0
; COMPUTE_PGM_RSRC2:USER_SGPR: 15
; COMPUTE_PGM_RSRC2:TRAP_HANDLER: 0
; COMPUTE_PGM_RSRC2:TGID_X_EN: 1
; COMPUTE_PGM_RSRC2:TGID_Y_EN: 0
; COMPUTE_PGM_RSRC2:TGID_Z_EN: 0
; COMPUTE_PGM_RSRC2:TIDIG_COMP_CNT: 0
	.section	.text._Z34exclusive_scan_reduce_array_kernelILj512ELj4ELN6hipcub18BlockScanAlgorithmE0EiEvPT2_S3_S2_,"axG",@progbits,_Z34exclusive_scan_reduce_array_kernelILj512ELj4ELN6hipcub18BlockScanAlgorithmE0EiEvPT2_S3_S2_,comdat
	.protected	_Z34exclusive_scan_reduce_array_kernelILj512ELj4ELN6hipcub18BlockScanAlgorithmE0EiEvPT2_S3_S2_ ; -- Begin function _Z34exclusive_scan_reduce_array_kernelILj512ELj4ELN6hipcub18BlockScanAlgorithmE0EiEvPT2_S3_S2_
	.globl	_Z34exclusive_scan_reduce_array_kernelILj512ELj4ELN6hipcub18BlockScanAlgorithmE0EiEvPT2_S3_S2_
	.p2align	8
	.type	_Z34exclusive_scan_reduce_array_kernelILj512ELj4ELN6hipcub18BlockScanAlgorithmE0EiEvPT2_S3_S2_,@function
_Z34exclusive_scan_reduce_array_kernelILj512ELj4ELN6hipcub18BlockScanAlgorithmE0EiEvPT2_S3_S2_: ; @_Z34exclusive_scan_reduce_array_kernelILj512ELj4ELN6hipcub18BlockScanAlgorithmE0EiEvPT2_S3_S2_
; %bb.0:
	s_load_b128 s[4:7], s[0:1], 0x0
	v_lshlrev_b32_e32 v8, 2, v0
	s_mov_b32 s8, s15
	v_mbcnt_lo_u32_b32 v7, -1, 0
	v_mov_b32_e32 v2, 0
	v_or_b32_e32 v11, 31, v0
	v_lshl_or_b32 v1, s8, 11, v8
	s_mov_b32 s9, exec_lo
	s_delay_alu instid0(VALU_DEP_1) | instskip(SKIP_1) | instid1(VALU_DEP_1)
	v_lshlrev_b64 v[1:2], 2, v[1:2]
	s_waitcnt lgkmcnt(0)
	v_add_co_u32 v5, vcc_lo, s4, v1
	s_delay_alu instid0(VALU_DEP_2) | instskip(SKIP_3) | instid1(VALU_DEP_1)
	v_add_co_ci_u32_e32 v6, vcc_lo, s5, v2, vcc_lo
	global_load_b128 v[1:4], v[5:6], off
	s_waitcnt vmcnt(0)
	v_add_nc_u32_e32 v9, v2, v1
	v_add3_u32 v4, v9, v3, v4
	v_and_b32_e32 v9, 15, v7
	s_delay_alu instid0(VALU_DEP_2) | instskip(NEXT) | instid1(VALU_DEP_2)
	v_mov_b32_dpp v10, v4 row_shr:1 row_mask:0xf bank_mask:0xf
	v_cmp_eq_u32_e32 vcc_lo, 0, v9
	v_cmp_lt_u32_e64 s2, 1, v9
	v_cmp_lt_u32_e64 s3, 3, v9
	;; [unrolled: 1-line block ×3, first 2 shown]
	v_cndmask_b32_e64 v10, v10, 0, vcc_lo
	s_delay_alu instid0(VALU_DEP_1) | instskip(NEXT) | instid1(VALU_DEP_1)
	v_add_nc_u32_e32 v4, v10, v4
	v_mov_b32_dpp v10, v4 row_shr:2 row_mask:0xf bank_mask:0xf
	s_delay_alu instid0(VALU_DEP_1) | instskip(NEXT) | instid1(VALU_DEP_1)
	v_cndmask_b32_e64 v10, 0, v10, s2
	v_add_nc_u32_e32 v4, v4, v10
	s_delay_alu instid0(VALU_DEP_1) | instskip(NEXT) | instid1(VALU_DEP_1)
	v_mov_b32_dpp v10, v4 row_shr:4 row_mask:0xf bank_mask:0xf
	v_cndmask_b32_e64 v10, 0, v10, s3
	s_delay_alu instid0(VALU_DEP_1) | instskip(NEXT) | instid1(VALU_DEP_1)
	v_add_nc_u32_e32 v4, v4, v10
	v_mov_b32_dpp v10, v4 row_shr:8 row_mask:0xf bank_mask:0xf
	s_delay_alu instid0(VALU_DEP_1) | instskip(SKIP_1) | instid1(VALU_DEP_2)
	v_cndmask_b32_e64 v9, 0, v10, s4
	v_bfe_i32 v10, v7, 4, 1
	v_add_nc_u32_e32 v4, v4, v9
	ds_swizzle_b32 v9, v4 offset:swizzle(BROADCAST,32,15)
	s_waitcnt lgkmcnt(0)
	v_and_b32_e32 v10, v10, v9
	v_lshrrev_b32_e32 v9, 5, v0
	s_delay_alu instid0(VALU_DEP_2)
	v_add_nc_u32_e32 v4, v4, v10
	v_cmpx_eq_u32_e64 v11, v0
	s_cbranch_execz .LBB264_2
; %bb.1:
	s_delay_alu instid0(VALU_DEP_3)
	v_lshlrev_b32_e32 v10, 2, v9
	ds_store_b32 v10, v4
.LBB264_2:
	s_or_b32 exec_lo, exec_lo, s9
	s_delay_alu instid0(SALU_CYCLE_1)
	s_mov_b32 s9, exec_lo
	s_waitcnt lgkmcnt(0)
	s_barrier
	buffer_gl0_inv
	v_cmpx_gt_u32_e32 16, v0
	s_cbranch_execz .LBB264_4
; %bb.3:
	ds_load_b32 v10, v8
	s_waitcnt lgkmcnt(0)
	v_mov_b32_dpp v11, v10 row_shr:1 row_mask:0xf bank_mask:0xf
	s_delay_alu instid0(VALU_DEP_1) | instskip(NEXT) | instid1(VALU_DEP_1)
	v_cndmask_b32_e64 v11, v11, 0, vcc_lo
	v_add_nc_u32_e32 v10, v11, v10
	s_delay_alu instid0(VALU_DEP_1) | instskip(NEXT) | instid1(VALU_DEP_1)
	v_mov_b32_dpp v11, v10 row_shr:2 row_mask:0xf bank_mask:0xf
	v_cndmask_b32_e64 v11, 0, v11, s2
	s_delay_alu instid0(VALU_DEP_1) | instskip(NEXT) | instid1(VALU_DEP_1)
	v_add_nc_u32_e32 v10, v10, v11
	v_mov_b32_dpp v11, v10 row_shr:4 row_mask:0xf bank_mask:0xf
	s_delay_alu instid0(VALU_DEP_1) | instskip(NEXT) | instid1(VALU_DEP_1)
	v_cndmask_b32_e64 v11, 0, v11, s3
	v_add_nc_u32_e32 v10, v10, v11
	s_delay_alu instid0(VALU_DEP_1) | instskip(NEXT) | instid1(VALU_DEP_1)
	v_mov_b32_dpp v11, v10 row_shr:8 row_mask:0xf bank_mask:0xf
	v_cndmask_b32_e64 v11, 0, v11, s4
	s_delay_alu instid0(VALU_DEP_1)
	v_add_nc_u32_e32 v10, v10, v11
	ds_store_b32 v8, v10
.LBB264_4:
	s_or_b32 exec_lo, exec_lo, s9
	s_load_b32 s0, s[0:1], 0x10
	s_mov_b32 s1, exec_lo
	s_waitcnt lgkmcnt(0)
	s_barrier
	buffer_gl0_inv
	v_mov_b32_e32 v8, s0
	v_cmpx_lt_u32_e32 31, v0
	s_cbranch_execz .LBB264_6
; %bb.5:
	v_lshl_add_u32 v8, v9, 2, -4
	ds_load_b32 v8, v8
	s_waitcnt lgkmcnt(0)
	v_add_nc_u32_e32 v8, s0, v8
.LBB264_6:
	s_or_b32 exec_lo, exec_lo, s1
	v_add_nc_u32_e32 v9, -1, v7
	s_mov_b32 s9, 0
	s_delay_alu instid0(VALU_DEP_2) | instskip(NEXT) | instid1(VALU_DEP_2)
	v_add_nc_u32_e32 v4, v8, v4
	v_cmp_gt_i32_e32 vcc_lo, 0, v9
	v_cndmask_b32_e32 v9, v9, v7, vcc_lo
	v_cmp_eq_u32_e32 vcc_lo, 0, v7
	s_delay_alu instid0(VALU_DEP_2) | instskip(SKIP_4) | instid1(VALU_DEP_2)
	v_lshlrev_b32_e32 v9, 2, v9
	ds_bpermute_b32 v4, v9, v4
	s_waitcnt lgkmcnt(0)
	v_cndmask_b32_e32 v4, v4, v8, vcc_lo
	v_cmp_eq_u32_e32 vcc_lo, 0, v0
	v_cndmask_b32_e64 v0, v4, s0, vcc_lo
	s_delay_alu instid0(VALU_DEP_1) | instskip(NEXT) | instid1(VALU_DEP_1)
	v_add_nc_u32_e32 v1, v0, v1
	v_add_nc_u32_e32 v2, v1, v2
	s_delay_alu instid0(VALU_DEP_1)
	v_add_nc_u32_e32 v3, v2, v3
	global_store_b128 v[5:6], v[0:3], off
	s_and_saveexec_b32 s0, vcc_lo
	s_cbranch_execz .LBB264_8
; %bb.7:
	v_mov_b32_e32 v0, 0
	s_lshl_b64 s[0:1], s[8:9], 2
	s_delay_alu instid0(SALU_CYCLE_1)
	s_add_u32 s0, s6, s0
	s_addc_u32 s1, s7, s1
	ds_load_b32 v1, v0 offset:60
	s_waitcnt lgkmcnt(0)
	global_store_b32 v0, v1, s[0:1]
.LBB264_8:
	s_nop 0
	s_sendmsg sendmsg(MSG_DEALLOC_VGPRS)
	s_endpgm
	.section	.rodata,"a",@progbits
	.p2align	6, 0x0
	.amdhsa_kernel _Z34exclusive_scan_reduce_array_kernelILj512ELj4ELN6hipcub18BlockScanAlgorithmE0EiEvPT2_S3_S2_
		.amdhsa_group_segment_fixed_size 64
		.amdhsa_private_segment_fixed_size 0
		.amdhsa_kernarg_size 20
		.amdhsa_user_sgpr_count 15
		.amdhsa_user_sgpr_dispatch_ptr 0
		.amdhsa_user_sgpr_queue_ptr 0
		.amdhsa_user_sgpr_kernarg_segment_ptr 1
		.amdhsa_user_sgpr_dispatch_id 0
		.amdhsa_user_sgpr_private_segment_size 0
		.amdhsa_wavefront_size32 1
		.amdhsa_uses_dynamic_stack 0
		.amdhsa_enable_private_segment 0
		.amdhsa_system_sgpr_workgroup_id_x 1
		.amdhsa_system_sgpr_workgroup_id_y 0
		.amdhsa_system_sgpr_workgroup_id_z 0
		.amdhsa_system_sgpr_workgroup_info 0
		.amdhsa_system_vgpr_workitem_id 0
		.amdhsa_next_free_vgpr 12
		.amdhsa_next_free_sgpr 16
		.amdhsa_reserve_vcc 1
		.amdhsa_float_round_mode_32 0
		.amdhsa_float_round_mode_16_64 0
		.amdhsa_float_denorm_mode_32 3
		.amdhsa_float_denorm_mode_16_64 3
		.amdhsa_dx10_clamp 1
		.amdhsa_ieee_mode 1
		.amdhsa_fp16_overflow 0
		.amdhsa_workgroup_processor_mode 1
		.amdhsa_memory_ordered 1
		.amdhsa_forward_progress 0
		.amdhsa_shared_vgpr_count 0
		.amdhsa_exception_fp_ieee_invalid_op 0
		.amdhsa_exception_fp_denorm_src 0
		.amdhsa_exception_fp_ieee_div_zero 0
		.amdhsa_exception_fp_ieee_overflow 0
		.amdhsa_exception_fp_ieee_underflow 0
		.amdhsa_exception_fp_ieee_inexact 0
		.amdhsa_exception_int_div_zero 0
	.end_amdhsa_kernel
	.section	.text._Z34exclusive_scan_reduce_array_kernelILj512ELj4ELN6hipcub18BlockScanAlgorithmE0EiEvPT2_S3_S2_,"axG",@progbits,_Z34exclusive_scan_reduce_array_kernelILj512ELj4ELN6hipcub18BlockScanAlgorithmE0EiEvPT2_S3_S2_,comdat
.Lfunc_end264:
	.size	_Z34exclusive_scan_reduce_array_kernelILj512ELj4ELN6hipcub18BlockScanAlgorithmE0EiEvPT2_S3_S2_, .Lfunc_end264-_Z34exclusive_scan_reduce_array_kernelILj512ELj4ELN6hipcub18BlockScanAlgorithmE0EiEvPT2_S3_S2_
                                        ; -- End function
	.section	.AMDGPU.csdata,"",@progbits
; Kernel info:
; codeLenInByte = 684
; NumSgprs: 18
; NumVgprs: 12
; ScratchSize: 0
; MemoryBound: 0
; FloatMode: 240
; IeeeMode: 1
; LDSByteSize: 64 bytes/workgroup (compile time only)
; SGPRBlocks: 2
; VGPRBlocks: 1
; NumSGPRsForWavesPerEU: 18
; NumVGPRsForWavesPerEU: 12
; Occupancy: 16
; WaveLimiterHint : 0
; COMPUTE_PGM_RSRC2:SCRATCH_EN: 0
; COMPUTE_PGM_RSRC2:USER_SGPR: 15
; COMPUTE_PGM_RSRC2:TRAP_HANDLER: 0
; COMPUTE_PGM_RSRC2:TGID_X_EN: 1
; COMPUTE_PGM_RSRC2:TGID_Y_EN: 0
; COMPUTE_PGM_RSRC2:TGID_Z_EN: 0
; COMPUTE_PGM_RSRC2:TIDIG_COMP_CNT: 0
	.section	.text._Z34exclusive_scan_reduce_array_kernelILj256ELj3ELN6hipcub18BlockScanAlgorithmE0EjEvPT2_S3_S2_,"axG",@progbits,_Z34exclusive_scan_reduce_array_kernelILj256ELj3ELN6hipcub18BlockScanAlgorithmE0EjEvPT2_S3_S2_,comdat
	.protected	_Z34exclusive_scan_reduce_array_kernelILj256ELj3ELN6hipcub18BlockScanAlgorithmE0EjEvPT2_S3_S2_ ; -- Begin function _Z34exclusive_scan_reduce_array_kernelILj256ELj3ELN6hipcub18BlockScanAlgorithmE0EjEvPT2_S3_S2_
	.globl	_Z34exclusive_scan_reduce_array_kernelILj256ELj3ELN6hipcub18BlockScanAlgorithmE0EjEvPT2_S3_S2_
	.p2align	8
	.type	_Z34exclusive_scan_reduce_array_kernelILj256ELj3ELN6hipcub18BlockScanAlgorithmE0EjEvPT2_S3_S2_,@function
_Z34exclusive_scan_reduce_array_kernelILj256ELj3ELN6hipcub18BlockScanAlgorithmE0EjEvPT2_S3_S2_: ; @_Z34exclusive_scan_reduce_array_kernelILj256ELj3ELN6hipcub18BlockScanAlgorithmE0EjEvPT2_S3_S2_
; %bb.0:
	s_mov_b32 s2, s15
	s_load_b128 s[4:7], s[0:1], 0x0
	v_lshl_or_b32 v1, s2, 8, v0
	v_mbcnt_lo_u32_b32 v9, -1, 0
	v_or_b32_e32 v13, 31, v0
	s_mov_b32 s3, exec_lo
	s_delay_alu instid0(VALU_DEP_3) | instskip(NEXT) | instid1(VALU_DEP_1)
	v_lshl_add_u32 v1, v1, 1, v1
	v_dual_mov_b32 v2, 0 :: v_dual_add_nc_u32 v3, 1, v1
	s_delay_alu instid0(VALU_DEP_1) | instskip(SKIP_2) | instid1(VALU_DEP_3)
	v_mov_b32_e32 v4, v2
	v_lshlrev_b64 v[5:6], 2, v[1:2]
	v_add_nc_u32_e32 v1, 2, v1
	v_lshlrev_b64 v[3:4], 2, v[3:4]
	s_delay_alu instid0(VALU_DEP_2) | instskip(SKIP_1) | instid1(VALU_DEP_4)
	v_lshlrev_b64 v[7:8], 2, v[1:2]
	s_waitcnt lgkmcnt(0)
	v_add_co_u32 v1, vcc_lo, s4, v5
	v_add_co_ci_u32_e32 v2, vcc_lo, s5, v6, vcc_lo
	s_delay_alu instid0(VALU_DEP_4)
	v_add_co_u32 v3, vcc_lo, s4, v3
	v_add_co_ci_u32_e32 v4, vcc_lo, s5, v4, vcc_lo
	v_add_co_u32 v5, vcc_lo, s4, v7
	v_add_co_ci_u32_e32 v6, vcc_lo, s5, v8, vcc_lo
	s_clause 0x2
	global_load_b32 v7, v[1:2], off
	global_load_b32 v8, v[3:4], off
	;; [unrolled: 1-line block ×3, first 2 shown]
	s_waitcnt vmcnt(0)
	v_add3_u32 v10, v8, v7, v10
	s_delay_alu instid0(VALU_DEP_1) | instskip(SKIP_1) | instid1(VALU_DEP_1)
	v_mov_b32_dpp v12, v10 row_shr:1 row_mask:0xf bank_mask:0xf
	v_and_b32_e32 v11, 15, v9
	v_cmp_ne_u32_e32 vcc_lo, 0, v11
	s_delay_alu instid0(VALU_DEP_3) | instskip(SKIP_1) | instid1(VALU_DEP_2)
	v_cndmask_b32_e32 v12, 0, v12, vcc_lo
	v_cmp_lt_u32_e32 vcc_lo, 1, v11
	v_add_nc_u32_e32 v10, v12, v10
	s_delay_alu instid0(VALU_DEP_1) | instskip(NEXT) | instid1(VALU_DEP_1)
	v_mov_b32_dpp v12, v10 row_shr:2 row_mask:0xf bank_mask:0xf
	v_cndmask_b32_e32 v12, 0, v12, vcc_lo
	v_cmp_lt_u32_e32 vcc_lo, 3, v11
	s_delay_alu instid0(VALU_DEP_2) | instskip(NEXT) | instid1(VALU_DEP_1)
	v_add_nc_u32_e32 v10, v10, v12
	v_mov_b32_dpp v12, v10 row_shr:4 row_mask:0xf bank_mask:0xf
	s_delay_alu instid0(VALU_DEP_1) | instskip(SKIP_1) | instid1(VALU_DEP_2)
	v_cndmask_b32_e32 v12, 0, v12, vcc_lo
	v_cmp_lt_u32_e32 vcc_lo, 7, v11
	v_add_nc_u32_e32 v10, v10, v12
	s_delay_alu instid0(VALU_DEP_1) | instskip(NEXT) | instid1(VALU_DEP_1)
	v_mov_b32_dpp v12, v10 row_shr:8 row_mask:0xf bank_mask:0xf
	v_cndmask_b32_e32 v11, 0, v12, vcc_lo
	v_bfe_i32 v12, v9, 4, 1
	s_delay_alu instid0(VALU_DEP_2) | instskip(SKIP_4) | instid1(VALU_DEP_2)
	v_add_nc_u32_e32 v10, v10, v11
	ds_swizzle_b32 v11, v10 offset:swizzle(BROADCAST,32,15)
	s_waitcnt lgkmcnt(0)
	v_and_b32_e32 v12, v12, v11
	v_lshrrev_b32_e32 v11, 5, v0
	v_add_nc_u32_e32 v10, v10, v12
	v_cmpx_eq_u32_e64 v13, v0
	s_cbranch_execz .LBB265_2
; %bb.1:
	s_delay_alu instid0(VALU_DEP_3)
	v_lshlrev_b32_e32 v12, 2, v11
	ds_store_b32 v12, v10
.LBB265_2:
	s_or_b32 exec_lo, exec_lo, s3
	s_delay_alu instid0(SALU_CYCLE_1)
	s_mov_b32 s3, exec_lo
	s_waitcnt lgkmcnt(0)
	s_barrier
	buffer_gl0_inv
	v_cmpx_gt_u32_e32 8, v0
	s_cbranch_execz .LBB265_4
; %bb.3:
	v_and_b32_e32 v14, 7, v9
	s_delay_alu instid0(VALU_DEP_1) | instskip(SKIP_4) | instid1(VALU_DEP_1)
	v_cmp_ne_u32_e32 vcc_lo, 0, v14
	v_lshlrev_b32_e32 v12, 2, v0
	ds_load_b32 v13, v12
	s_waitcnt lgkmcnt(0)
	v_mov_b32_dpp v15, v13 row_shr:1 row_mask:0xf bank_mask:0xf
	v_cndmask_b32_e32 v15, 0, v15, vcc_lo
	v_cmp_lt_u32_e32 vcc_lo, 1, v14
	s_delay_alu instid0(VALU_DEP_2) | instskip(NEXT) | instid1(VALU_DEP_1)
	v_add_nc_u32_e32 v13, v15, v13
	v_mov_b32_dpp v15, v13 row_shr:2 row_mask:0xf bank_mask:0xf
	s_delay_alu instid0(VALU_DEP_1) | instskip(SKIP_1) | instid1(VALU_DEP_2)
	v_cndmask_b32_e32 v15, 0, v15, vcc_lo
	v_cmp_lt_u32_e32 vcc_lo, 3, v14
	v_add_nc_u32_e32 v13, v13, v15
	s_delay_alu instid0(VALU_DEP_1) | instskip(NEXT) | instid1(VALU_DEP_1)
	v_mov_b32_dpp v15, v13 row_shr:4 row_mask:0xf bank_mask:0xf
	v_cndmask_b32_e32 v14, 0, v15, vcc_lo
	s_delay_alu instid0(VALU_DEP_1)
	v_add_nc_u32_e32 v13, v13, v14
	ds_store_b32 v12, v13
.LBB265_4:
	s_or_b32 exec_lo, exec_lo, s3
	s_load_b32 s0, s[0:1], 0x10
	s_mov_b32 s1, exec_lo
	s_waitcnt lgkmcnt(0)
	s_barrier
	buffer_gl0_inv
	v_mov_b32_e32 v12, s0
	v_cmpx_lt_u32_e32 31, v0
	s_cbranch_execz .LBB265_6
; %bb.5:
	v_lshl_add_u32 v11, v11, 2, -4
	ds_load_b32 v11, v11
	s_waitcnt lgkmcnt(0)
	v_add_nc_u32_e32 v12, s0, v11
.LBB265_6:
	s_or_b32 exec_lo, exec_lo, s1
	v_add_nc_u32_e32 v11, -1, v9
	s_mov_b32 s3, 0
	s_delay_alu instid0(VALU_DEP_2) | instskip(NEXT) | instid1(VALU_DEP_2)
	v_add_nc_u32_e32 v10, v12, v10
	v_cmp_gt_i32_e32 vcc_lo, 0, v11
	v_cndmask_b32_e32 v11, v11, v9, vcc_lo
	v_cmp_eq_u32_e32 vcc_lo, 0, v9
	s_delay_alu instid0(VALU_DEP_2) | instskip(SKIP_4) | instid1(VALU_DEP_2)
	v_lshlrev_b32_e32 v11, 2, v11
	ds_bpermute_b32 v10, v11, v10
	s_waitcnt lgkmcnt(0)
	v_cndmask_b32_e32 v9, v10, v12, vcc_lo
	v_cmp_eq_u32_e32 vcc_lo, 0, v0
	v_cndmask_b32_e64 v0, v9, s0, vcc_lo
	s_delay_alu instid0(VALU_DEP_1) | instskip(NEXT) | instid1(VALU_DEP_1)
	v_add_nc_u32_e32 v7, v0, v7
	v_add_nc_u32_e32 v8, v7, v8
	s_clause 0x2
	global_store_b32 v[1:2], v0, off
	global_store_b32 v[3:4], v7, off
	;; [unrolled: 1-line block ×3, first 2 shown]
	s_and_saveexec_b32 s0, vcc_lo
	s_cbranch_execz .LBB265_8
; %bb.7:
	v_mov_b32_e32 v0, 0
	s_lshl_b64 s[0:1], s[2:3], 2
	s_delay_alu instid0(SALU_CYCLE_1)
	s_add_u32 s0, s6, s0
	s_addc_u32 s1, s7, s1
	ds_load_b32 v1, v0 offset:28
	s_waitcnt lgkmcnt(0)
	global_store_b32 v0, v1, s[0:1]
.LBB265_8:
	s_nop 0
	s_sendmsg sendmsg(MSG_DEALLOC_VGPRS)
	s_endpgm
	.section	.rodata,"a",@progbits
	.p2align	6, 0x0
	.amdhsa_kernel _Z34exclusive_scan_reduce_array_kernelILj256ELj3ELN6hipcub18BlockScanAlgorithmE0EjEvPT2_S3_S2_
		.amdhsa_group_segment_fixed_size 32
		.amdhsa_private_segment_fixed_size 0
		.amdhsa_kernarg_size 20
		.amdhsa_user_sgpr_count 15
		.amdhsa_user_sgpr_dispatch_ptr 0
		.amdhsa_user_sgpr_queue_ptr 0
		.amdhsa_user_sgpr_kernarg_segment_ptr 1
		.amdhsa_user_sgpr_dispatch_id 0
		.amdhsa_user_sgpr_private_segment_size 0
		.amdhsa_wavefront_size32 1
		.amdhsa_uses_dynamic_stack 0
		.amdhsa_enable_private_segment 0
		.amdhsa_system_sgpr_workgroup_id_x 1
		.amdhsa_system_sgpr_workgroup_id_y 0
		.amdhsa_system_sgpr_workgroup_id_z 0
		.amdhsa_system_sgpr_workgroup_info 0
		.amdhsa_system_vgpr_workitem_id 0
		.amdhsa_next_free_vgpr 16
		.amdhsa_next_free_sgpr 16
		.amdhsa_reserve_vcc 1
		.amdhsa_float_round_mode_32 0
		.amdhsa_float_round_mode_16_64 0
		.amdhsa_float_denorm_mode_32 3
		.amdhsa_float_denorm_mode_16_64 3
		.amdhsa_dx10_clamp 1
		.amdhsa_ieee_mode 1
		.amdhsa_fp16_overflow 0
		.amdhsa_workgroup_processor_mode 1
		.amdhsa_memory_ordered 1
		.amdhsa_forward_progress 0
		.amdhsa_shared_vgpr_count 0
		.amdhsa_exception_fp_ieee_invalid_op 0
		.amdhsa_exception_fp_denorm_src 0
		.amdhsa_exception_fp_ieee_div_zero 0
		.amdhsa_exception_fp_ieee_overflow 0
		.amdhsa_exception_fp_ieee_underflow 0
		.amdhsa_exception_fp_ieee_inexact 0
		.amdhsa_exception_int_div_zero 0
	.end_amdhsa_kernel
	.section	.text._Z34exclusive_scan_reduce_array_kernelILj256ELj3ELN6hipcub18BlockScanAlgorithmE0EjEvPT2_S3_S2_,"axG",@progbits,_Z34exclusive_scan_reduce_array_kernelILj256ELj3ELN6hipcub18BlockScanAlgorithmE0EjEvPT2_S3_S2_,comdat
.Lfunc_end265:
	.size	_Z34exclusive_scan_reduce_array_kernelILj256ELj3ELN6hipcub18BlockScanAlgorithmE0EjEvPT2_S3_S2_, .Lfunc_end265-_Z34exclusive_scan_reduce_array_kernelILj256ELj3ELN6hipcub18BlockScanAlgorithmE0EjEvPT2_S3_S2_
                                        ; -- End function
	.section	.AMDGPU.csdata,"",@progbits
; Kernel info:
; codeLenInByte = 732
; NumSgprs: 18
; NumVgprs: 16
; ScratchSize: 0
; MemoryBound: 0
; FloatMode: 240
; IeeeMode: 1
; LDSByteSize: 32 bytes/workgroup (compile time only)
; SGPRBlocks: 2
; VGPRBlocks: 1
; NumSGPRsForWavesPerEU: 18
; NumVGPRsForWavesPerEU: 16
; Occupancy: 16
; WaveLimiterHint : 0
; COMPUTE_PGM_RSRC2:SCRATCH_EN: 0
; COMPUTE_PGM_RSRC2:USER_SGPR: 15
; COMPUTE_PGM_RSRC2:TRAP_HANDLER: 0
; COMPUTE_PGM_RSRC2:TGID_X_EN: 1
; COMPUTE_PGM_RSRC2:TGID_Y_EN: 0
; COMPUTE_PGM_RSRC2:TGID_Z_EN: 0
; COMPUTE_PGM_RSRC2:TIDIG_COMP_CNT: 0
	.section	.text._Z34exclusive_scan_reduce_array_kernelILj32ELj2ELN6hipcub18BlockScanAlgorithmE0EfEvPT2_S3_S2_,"axG",@progbits,_Z34exclusive_scan_reduce_array_kernelILj32ELj2ELN6hipcub18BlockScanAlgorithmE0EfEvPT2_S3_S2_,comdat
	.protected	_Z34exclusive_scan_reduce_array_kernelILj32ELj2ELN6hipcub18BlockScanAlgorithmE0EfEvPT2_S3_S2_ ; -- Begin function _Z34exclusive_scan_reduce_array_kernelILj32ELj2ELN6hipcub18BlockScanAlgorithmE0EfEvPT2_S3_S2_
	.globl	_Z34exclusive_scan_reduce_array_kernelILj32ELj2ELN6hipcub18BlockScanAlgorithmE0EfEvPT2_S3_S2_
	.p2align	8
	.type	_Z34exclusive_scan_reduce_array_kernelILj32ELj2ELN6hipcub18BlockScanAlgorithmE0EfEvPT2_S3_S2_,@function
_Z34exclusive_scan_reduce_array_kernelILj32ELj2ELN6hipcub18BlockScanAlgorithmE0EfEvPT2_S3_S2_: ; @_Z34exclusive_scan_reduce_array_kernelILj32ELj2ELN6hipcub18BlockScanAlgorithmE0EfEvPT2_S3_S2_
; %bb.0:
	s_load_b128 s[4:7], s[0:1], 0x0
	v_lshlrev_b32_e32 v1, 1, v0
	s_mov_b32 s2, s15
	v_mov_b32_e32 v5, 0
	s_mov_b32 s3, exec_lo
	s_delay_alu instid0(VALU_DEP_2) | instskip(NEXT) | instid1(VALU_DEP_1)
	v_lshl_or_b32 v4, s2, 6, v1
	v_lshlrev_b64 v[1:2], 2, v[4:5]
	s_waitcnt lgkmcnt(0)
	s_delay_alu instid0(VALU_DEP_1) | instskip(NEXT) | instid1(VALU_DEP_2)
	v_add_co_u32 v1, vcc_lo, s4, v1
	v_add_co_ci_u32_e32 v2, vcc_lo, s5, v2, vcc_lo
	global_load_b64 v[3:4], v[1:2], off
	s_waitcnt vmcnt(0)
	v_add_f32_e32 v6, v3, v4
	v_mbcnt_lo_u32_b32 v4, -1, 0
	s_delay_alu instid0(VALU_DEP_2) | instskip(NEXT) | instid1(VALU_DEP_1)
	v_mov_b32_dpp v7, v6 row_shr:1 row_mask:0xf bank_mask:0xf
	v_dual_add_f32 v7, v6, v7 :: v_dual_and_b32 v8, 15, v4
	s_delay_alu instid0(VALU_DEP_1) | instskip(NEXT) | instid1(VALU_DEP_2)
	v_cmp_eq_u32_e32 vcc_lo, 0, v8
	v_cndmask_b32_e32 v6, v7, v6, vcc_lo
	v_cmp_lt_u32_e32 vcc_lo, 1, v8
	s_delay_alu instid0(VALU_DEP_2) | instskip(NEXT) | instid1(VALU_DEP_1)
	v_mov_b32_dpp v7, v6 row_shr:2 row_mask:0xf bank_mask:0xf
	v_add_f32_e32 v7, v6, v7
	s_delay_alu instid0(VALU_DEP_1) | instskip(SKIP_1) | instid1(VALU_DEP_2)
	v_cndmask_b32_e32 v6, v6, v7, vcc_lo
	v_cmp_lt_u32_e32 vcc_lo, 3, v8
	v_mov_b32_dpp v7, v6 row_shr:4 row_mask:0xf bank_mask:0xf
	s_delay_alu instid0(VALU_DEP_1) | instskip(NEXT) | instid1(VALU_DEP_1)
	v_add_f32_e32 v7, v6, v7
	v_cndmask_b32_e32 v6, v6, v7, vcc_lo
	v_cmp_lt_u32_e32 vcc_lo, 7, v8
	v_and_b32_e32 v8, 16, v4
	s_delay_alu instid0(VALU_DEP_3) | instskip(NEXT) | instid1(VALU_DEP_1)
	v_mov_b32_dpp v7, v6 row_shr:8 row_mask:0xf bank_mask:0xf
	v_add_f32_e32 v7, v6, v7
	s_delay_alu instid0(VALU_DEP_1) | instskip(NEXT) | instid1(VALU_DEP_4)
	v_cndmask_b32_e32 v6, v6, v7, vcc_lo
	v_cmp_eq_u32_e32 vcc_lo, 0, v8
	ds_swizzle_b32 v7, v6 offset:swizzle(BROADCAST,32,15)
	s_waitcnt lgkmcnt(0)
	v_add_f32_e32 v7, v6, v7
	s_delay_alu instid0(VALU_DEP_1)
	v_cndmask_b32_e32 v6, v7, v6, vcc_lo
	v_cmpx_eq_u32_e32 31, v0
	s_cbranch_execz .LBB266_2
; %bb.1:
	ds_store_b32 v5, v6
.LBB266_2:
	s_or_b32 exec_lo, exec_lo, s3
	s_load_b32 s1, s[0:1], 0x10
	v_add_nc_u32_e32 v5, -1, v4
	v_cmp_eq_u32_e64 s0, 0, v0
	s_waitcnt vmcnt(0) lgkmcnt(0)
	s_waitcnt_vscnt null, 0x0
	; wave barrier
	s_waitcnt lgkmcnt(0)
	buffer_gl0_inv
	v_add_f32_e32 v6, s1, v6
	v_cmp_gt_i32_e32 vcc_lo, 0, v5
	v_cndmask_b32_e32 v5, v5, v4, vcc_lo
	v_cmp_eq_u32_e32 vcc_lo, 0, v4
	s_delay_alu instid0(VALU_DEP_2) | instskip(SKIP_4) | instid1(VALU_DEP_1)
	v_lshlrev_b32_e32 v5, 2, v5
	s_or_b32 s3, s0, vcc_lo
	ds_bpermute_b32 v5, v5, v6
	s_waitcnt lgkmcnt(0)
	v_cndmask_b32_e64 v4, v5, s1, s3
	v_add_f32_e32 v5, v3, v4
	global_store_b64 v[1:2], v[4:5], off
	s_and_saveexec_b32 s1, s0
	s_cbranch_execz .LBB266_4
; %bb.3:
	v_mov_b32_e32 v0, 0
	s_mov_b32 s3, 0
	s_delay_alu instid0(SALU_CYCLE_1) | instskip(NEXT) | instid1(SALU_CYCLE_1)
	s_lshl_b64 s[0:1], s[2:3], 2
	s_add_u32 s0, s6, s0
	ds_load_b32 v1, v0
	s_addc_u32 s1, s7, s1
	s_waitcnt lgkmcnt(0)
	global_store_b32 v0, v1, s[0:1]
.LBB266_4:
	s_nop 0
	s_sendmsg sendmsg(MSG_DEALLOC_VGPRS)
	s_endpgm
	.section	.rodata,"a",@progbits
	.p2align	6, 0x0
	.amdhsa_kernel _Z34exclusive_scan_reduce_array_kernelILj32ELj2ELN6hipcub18BlockScanAlgorithmE0EfEvPT2_S3_S2_
		.amdhsa_group_segment_fixed_size 4
		.amdhsa_private_segment_fixed_size 0
		.amdhsa_kernarg_size 20
		.amdhsa_user_sgpr_count 15
		.amdhsa_user_sgpr_dispatch_ptr 0
		.amdhsa_user_sgpr_queue_ptr 0
		.amdhsa_user_sgpr_kernarg_segment_ptr 1
		.amdhsa_user_sgpr_dispatch_id 0
		.amdhsa_user_sgpr_private_segment_size 0
		.amdhsa_wavefront_size32 1
		.amdhsa_uses_dynamic_stack 0
		.amdhsa_enable_private_segment 0
		.amdhsa_system_sgpr_workgroup_id_x 1
		.amdhsa_system_sgpr_workgroup_id_y 0
		.amdhsa_system_sgpr_workgroup_id_z 0
		.amdhsa_system_sgpr_workgroup_info 0
		.amdhsa_system_vgpr_workitem_id 0
		.amdhsa_next_free_vgpr 9
		.amdhsa_next_free_sgpr 16
		.amdhsa_reserve_vcc 1
		.amdhsa_float_round_mode_32 0
		.amdhsa_float_round_mode_16_64 0
		.amdhsa_float_denorm_mode_32 3
		.amdhsa_float_denorm_mode_16_64 3
		.amdhsa_dx10_clamp 1
		.amdhsa_ieee_mode 1
		.amdhsa_fp16_overflow 0
		.amdhsa_workgroup_processor_mode 1
		.amdhsa_memory_ordered 1
		.amdhsa_forward_progress 0
		.amdhsa_shared_vgpr_count 0
		.amdhsa_exception_fp_ieee_invalid_op 0
		.amdhsa_exception_fp_denorm_src 0
		.amdhsa_exception_fp_ieee_div_zero 0
		.amdhsa_exception_fp_ieee_overflow 0
		.amdhsa_exception_fp_ieee_underflow 0
		.amdhsa_exception_fp_ieee_inexact 0
		.amdhsa_exception_int_div_zero 0
	.end_amdhsa_kernel
	.section	.text._Z34exclusive_scan_reduce_array_kernelILj32ELj2ELN6hipcub18BlockScanAlgorithmE0EfEvPT2_S3_S2_,"axG",@progbits,_Z34exclusive_scan_reduce_array_kernelILj32ELj2ELN6hipcub18BlockScanAlgorithmE0EfEvPT2_S3_S2_,comdat
.Lfunc_end266:
	.size	_Z34exclusive_scan_reduce_array_kernelILj32ELj2ELN6hipcub18BlockScanAlgorithmE0EfEvPT2_S3_S2_, .Lfunc_end266-_Z34exclusive_scan_reduce_array_kernelILj32ELj2ELN6hipcub18BlockScanAlgorithmE0EfEvPT2_S3_S2_
                                        ; -- End function
	.section	.AMDGPU.csdata,"",@progbits
; Kernel info:
; codeLenInByte = 416
; NumSgprs: 18
; NumVgprs: 9
; ScratchSize: 0
; MemoryBound: 0
; FloatMode: 240
; IeeeMode: 1
; LDSByteSize: 4 bytes/workgroup (compile time only)
; SGPRBlocks: 2
; VGPRBlocks: 1
; NumSGPRsForWavesPerEU: 18
; NumVGPRsForWavesPerEU: 9
; Occupancy: 16
; WaveLimiterHint : 0
; COMPUTE_PGM_RSRC2:SCRATCH_EN: 0
; COMPUTE_PGM_RSRC2:USER_SGPR: 15
; COMPUTE_PGM_RSRC2:TRAP_HANDLER: 0
; COMPUTE_PGM_RSRC2:TGID_X_EN: 1
; COMPUTE_PGM_RSRC2:TGID_Y_EN: 0
; COMPUTE_PGM_RSRC2:TGID_Z_EN: 0
; COMPUTE_PGM_RSRC2:TIDIG_COMP_CNT: 0
	.section	.text._Z34exclusive_scan_reduce_array_kernelILj6ELj32ELN6hipcub18BlockScanAlgorithmE0EfEvPT2_S3_S2_,"axG",@progbits,_Z34exclusive_scan_reduce_array_kernelILj6ELj32ELN6hipcub18BlockScanAlgorithmE0EfEvPT2_S3_S2_,comdat
	.protected	_Z34exclusive_scan_reduce_array_kernelILj6ELj32ELN6hipcub18BlockScanAlgorithmE0EfEvPT2_S3_S2_ ; -- Begin function _Z34exclusive_scan_reduce_array_kernelILj6ELj32ELN6hipcub18BlockScanAlgorithmE0EfEvPT2_S3_S2_
	.globl	_Z34exclusive_scan_reduce_array_kernelILj6ELj32ELN6hipcub18BlockScanAlgorithmE0EfEvPT2_S3_S2_
	.p2align	8
	.type	_Z34exclusive_scan_reduce_array_kernelILj6ELj32ELN6hipcub18BlockScanAlgorithmE0EfEvPT2_S3_S2_,@function
_Z34exclusive_scan_reduce_array_kernelILj6ELj32ELN6hipcub18BlockScanAlgorithmE0EfEvPT2_S3_S2_: ; @_Z34exclusive_scan_reduce_array_kernelILj6ELj32ELN6hipcub18BlockScanAlgorithmE0EfEvPT2_S3_S2_
; %bb.0:
	s_load_b128 s[4:7], s[0:1], 0x0
	s_mul_i32 s3, s15, 6
	v_mov_b32_e32 v35, 0
	v_add_lshl_u32 v34, s3, v0, 5
	s_mov_b32 s2, s15
	s_mov_b32 s3, exec_lo
	s_delay_alu instid0(VALU_DEP_1) | instskip(SKIP_1) | instid1(VALU_DEP_1)
	v_lshlrev_b64 v[1:2], 2, v[34:35]
	s_waitcnt lgkmcnt(0)
	v_add_co_u32 v33, vcc_lo, s4, v1
	s_delay_alu instid0(VALU_DEP_2)
	v_add_co_ci_u32_e32 v34, vcc_lo, s5, v2, vcc_lo
	s_clause 0x7
	global_load_b128 v[29:32], v[33:34], off
	global_load_b128 v[25:28], v[33:34], off offset:16
	global_load_b128 v[21:24], v[33:34], off offset:32
	;; [unrolled: 1-line block ×7, first 2 shown]
	s_waitcnt vmcnt(7)
	v_add_f32_e32 v36, v29, v30
	s_delay_alu instid0(VALU_DEP_1) | instskip(NEXT) | instid1(VALU_DEP_1)
	v_add_f32_e32 v36, v36, v31
	v_add_f32_e32 v36, v36, v32
	s_waitcnt vmcnt(6)
	s_delay_alu instid0(VALU_DEP_1) | instskip(NEXT) | instid1(VALU_DEP_1)
	v_add_f32_e32 v36, v36, v25
	v_add_f32_e32 v36, v36, v26
	s_delay_alu instid0(VALU_DEP_1) | instskip(NEXT) | instid1(VALU_DEP_1)
	v_add_f32_e32 v36, v36, v27
	v_add_f32_e32 v36, v36, v28
	s_waitcnt vmcnt(5)
	s_delay_alu instid0(VALU_DEP_1) | instskip(NEXT) | instid1(VALU_DEP_1)
	v_add_f32_e32 v36, v36, v21
	;; [unrolled: 7-line block ×7, first 2 shown]
	v_add_f32_e32 v36, v36, v2
	s_delay_alu instid0(VALU_DEP_1) | instskip(NEXT) | instid1(VALU_DEP_1)
	v_add_f32_e32 v36, v36, v3
	v_add_f32_e32 v36, v36, v4
	v_mbcnt_lo_u32_b32 v4, -1, 0
	s_delay_alu instid0(VALU_DEP_2) | instskip(NEXT) | instid1(VALU_DEP_1)
	v_mov_b32_dpp v37, v36 row_shr:1 row_mask:0xf bank_mask:0xf
	v_dual_add_f32 v37, v36, v37 :: v_dual_and_b32 v38, 7, v4
	s_delay_alu instid0(VALU_DEP_1) | instskip(NEXT) | instid1(VALU_DEP_2)
	v_cmp_eq_u32_e32 vcc_lo, 0, v38
	v_cndmask_b32_e32 v36, v37, v36, vcc_lo
	v_cmp_lt_u32_e32 vcc_lo, 1, v38
	s_delay_alu instid0(VALU_DEP_2) | instskip(NEXT) | instid1(VALU_DEP_1)
	v_mov_b32_dpp v37, v36 row_shr:2 row_mask:0xf bank_mask:0xf
	v_add_f32_e32 v37, v36, v37
	s_delay_alu instid0(VALU_DEP_1) | instskip(SKIP_1) | instid1(VALU_DEP_2)
	v_cndmask_b32_e32 v36, v36, v37, vcc_lo
	v_cmp_lt_u32_e32 vcc_lo, 3, v38
	v_mov_b32_dpp v37, v36 row_shr:4 row_mask:0xf bank_mask:0xf
	s_delay_alu instid0(VALU_DEP_1) | instskip(NEXT) | instid1(VALU_DEP_1)
	v_add_f32_e32 v37, v36, v37
	v_cndmask_b32_e32 v36, v36, v37, vcc_lo
	v_cmpx_eq_u32_e32 5, v0
	s_cbranch_execz .LBB267_2
; %bb.1:
	ds_store_b32 v35, v36
.LBB267_2:
	s_or_b32 exec_lo, exec_lo, s3
	s_load_b32 s1, s[0:1], 0x10
	v_add_nc_u32_e32 v35, -1, v4
	v_and_b32_e32 v37, 24, v4
	v_cmp_eq_u32_e64 s0, 0, v0
	s_waitcnt vmcnt(0) lgkmcnt(0)
	s_waitcnt_vscnt null, 0x0
	; wave barrier
	s_waitcnt lgkmcnt(0)
	buffer_gl0_inv
	v_cmp_lt_i32_e32 vcc_lo, v35, v37
	v_cndmask_b32_e32 v35, v35, v4, vcc_lo
	v_cmp_eq_u32_e32 vcc_lo, 0, v4
	s_delay_alu instid0(VALU_DEP_2)
	v_lshlrev_b32_e32 v35, 2, v35
	s_or_b32 s3, s0, vcc_lo
	v_add_f32_e32 v36, s1, v36
	ds_bpermute_b32 v35, v35, v36
	s_waitcnt lgkmcnt(0)
	v_cndmask_b32_e64 v35, v35, s1, s3
	s_delay_alu instid0(VALU_DEP_1) | instskip(NEXT) | instid1(VALU_DEP_1)
	v_add_f32_e32 v36, v29, v35
	v_add_f32_e32 v37, v30, v36
	s_delay_alu instid0(VALU_DEP_1) | instskip(NEXT) | instid1(VALU_DEP_1)
	v_add_f32_e32 v38, v37, v31
	v_add_f32_e32 v29, v38, v32
	;; [unrolled: 3-line block ×5, first 2 shown]
	s_delay_alu instid0(VALU_DEP_1) | instskip(SKIP_4) | instid1(VALU_DEP_1)
	v_add_f32_e32 v28, v27, v23
	s_clause 0x1
	global_store_b128 v[33:34], v[35:38], off
	global_store_b128 v[33:34], v[29:32], off offset:16
	v_add_f32_e32 v21, v28, v24
	v_add_f32_e32 v22, v21, v13
	s_delay_alu instid0(VALU_DEP_1) | instskip(NEXT) | instid1(VALU_DEP_1)
	v_add_f32_e32 v23, v22, v14
	v_add_f32_e32 v24, v23, v15
	s_delay_alu instid0(VALU_DEP_1) | instskip(NEXT) | instid1(VALU_DEP_1)
	;; [unrolled: 3-line block ×9, first 2 shown]
	v_add_f32_e32 v2, v1, v2
	v_add_f32_e32 v3, v2, v3
	s_clause 0x5
	global_store_b128 v[33:34], v[25:28], off offset:32
	global_store_b128 v[33:34], v[21:24], off offset:48
	;; [unrolled: 1-line block ×6, first 2 shown]
	s_and_saveexec_b32 s1, s0
	s_cbranch_execz .LBB267_4
; %bb.3:
	v_mov_b32_e32 v0, 0
	s_mov_b32 s3, 0
	s_delay_alu instid0(SALU_CYCLE_1) | instskip(NEXT) | instid1(SALU_CYCLE_1)
	s_lshl_b64 s[0:1], s[2:3], 2
	s_add_u32 s0, s6, s0
	ds_load_b32 v1, v0
	s_addc_u32 s1, s7, s1
	s_waitcnt lgkmcnt(0)
	global_store_b32 v0, v1, s[0:1]
.LBB267_4:
	s_nop 0
	s_sendmsg sendmsg(MSG_DEALLOC_VGPRS)
	s_endpgm
	.section	.rodata,"a",@progbits
	.p2align	6, 0x0
	.amdhsa_kernel _Z34exclusive_scan_reduce_array_kernelILj6ELj32ELN6hipcub18BlockScanAlgorithmE0EfEvPT2_S3_S2_
		.amdhsa_group_segment_fixed_size 4
		.amdhsa_private_segment_fixed_size 0
		.amdhsa_kernarg_size 20
		.amdhsa_user_sgpr_count 15
		.amdhsa_user_sgpr_dispatch_ptr 0
		.amdhsa_user_sgpr_queue_ptr 0
		.amdhsa_user_sgpr_kernarg_segment_ptr 1
		.amdhsa_user_sgpr_dispatch_id 0
		.amdhsa_user_sgpr_private_segment_size 0
		.amdhsa_wavefront_size32 1
		.amdhsa_uses_dynamic_stack 0
		.amdhsa_enable_private_segment 0
		.amdhsa_system_sgpr_workgroup_id_x 1
		.amdhsa_system_sgpr_workgroup_id_y 0
		.amdhsa_system_sgpr_workgroup_id_z 0
		.amdhsa_system_sgpr_workgroup_info 0
		.amdhsa_system_vgpr_workitem_id 0
		.amdhsa_next_free_vgpr 39
		.amdhsa_next_free_sgpr 16
		.amdhsa_reserve_vcc 1
		.amdhsa_float_round_mode_32 0
		.amdhsa_float_round_mode_16_64 0
		.amdhsa_float_denorm_mode_32 3
		.amdhsa_float_denorm_mode_16_64 3
		.amdhsa_dx10_clamp 1
		.amdhsa_ieee_mode 1
		.amdhsa_fp16_overflow 0
		.amdhsa_workgroup_processor_mode 1
		.amdhsa_memory_ordered 1
		.amdhsa_forward_progress 0
		.amdhsa_shared_vgpr_count 0
		.amdhsa_exception_fp_ieee_invalid_op 0
		.amdhsa_exception_fp_denorm_src 0
		.amdhsa_exception_fp_ieee_div_zero 0
		.amdhsa_exception_fp_ieee_overflow 0
		.amdhsa_exception_fp_ieee_underflow 0
		.amdhsa_exception_fp_ieee_inexact 0
		.amdhsa_exception_int_div_zero 0
	.end_amdhsa_kernel
	.section	.text._Z34exclusive_scan_reduce_array_kernelILj6ELj32ELN6hipcub18BlockScanAlgorithmE0EfEvPT2_S3_S2_,"axG",@progbits,_Z34exclusive_scan_reduce_array_kernelILj6ELj32ELN6hipcub18BlockScanAlgorithmE0EfEvPT2_S3_S2_,comdat
.Lfunc_end267:
	.size	_Z34exclusive_scan_reduce_array_kernelILj6ELj32ELN6hipcub18BlockScanAlgorithmE0EfEvPT2_S3_S2_, .Lfunc_end267-_Z34exclusive_scan_reduce_array_kernelILj6ELj32ELN6hipcub18BlockScanAlgorithmE0EfEvPT2_S3_S2_
                                        ; -- End function
	.section	.AMDGPU.csdata,"",@progbits
; Kernel info:
; codeLenInByte = 872
; NumSgprs: 18
; NumVgprs: 39
; ScratchSize: 0
; MemoryBound: 0
; FloatMode: 240
; IeeeMode: 1
; LDSByteSize: 4 bytes/workgroup (compile time only)
; SGPRBlocks: 2
; VGPRBlocks: 4
; NumSGPRsForWavesPerEU: 18
; NumVGPRsForWavesPerEU: 39
; Occupancy: 16
; WaveLimiterHint : 0
; COMPUTE_PGM_RSRC2:SCRATCH_EN: 0
; COMPUTE_PGM_RSRC2:USER_SGPR: 15
; COMPUTE_PGM_RSRC2:TRAP_HANDLER: 0
; COMPUTE_PGM_RSRC2:TGID_X_EN: 1
; COMPUTE_PGM_RSRC2:TGID_Y_EN: 0
; COMPUTE_PGM_RSRC2:TGID_Z_EN: 0
; COMPUTE_PGM_RSRC2:TIDIG_COMP_CNT: 0
	.section	.text._Z43exclusive_scan_prefix_callback_array_kernelILj16ELj5ELN6hipcub18BlockScanAlgorithmE1E12hip_bfloat16EvPT2_S4_S3_,"axG",@progbits,_Z43exclusive_scan_prefix_callback_array_kernelILj16ELj5ELN6hipcub18BlockScanAlgorithmE1E12hip_bfloat16EvPT2_S4_S3_,comdat
	.protected	_Z43exclusive_scan_prefix_callback_array_kernelILj16ELj5ELN6hipcub18BlockScanAlgorithmE1E12hip_bfloat16EvPT2_S4_S3_ ; -- Begin function _Z43exclusive_scan_prefix_callback_array_kernelILj16ELj5ELN6hipcub18BlockScanAlgorithmE1E12hip_bfloat16EvPT2_S4_S3_
	.globl	_Z43exclusive_scan_prefix_callback_array_kernelILj16ELj5ELN6hipcub18BlockScanAlgorithmE1E12hip_bfloat16EvPT2_S4_S3_
	.p2align	8
	.type	_Z43exclusive_scan_prefix_callback_array_kernelILj16ELj5ELN6hipcub18BlockScanAlgorithmE1E12hip_bfloat16EvPT2_S4_S3_,@function
_Z43exclusive_scan_prefix_callback_array_kernelILj16ELj5ELN6hipcub18BlockScanAlgorithmE1E12hip_bfloat16EvPT2_S4_S3_: ; @_Z43exclusive_scan_prefix_callback_array_kernelILj16ELj5ELN6hipcub18BlockScanAlgorithmE1E12hip_bfloat16EvPT2_S4_S3_
; %bb.0:
	s_mov_b32 s2, s15
	s_load_b128 s[4:7], s[0:1], 0x0
	v_lshl_or_b32 v1, s2, 4, v0
	s_delay_alu instid0(VALU_DEP_1) | instskip(NEXT) | instid1(VALU_DEP_1)
	v_lshl_add_u32 v8, v1, 2, v1
	v_dual_mov_b32 v9, 0 :: v_dual_add_nc_u32 v10, 2, v8
	s_delay_alu instid0(VALU_DEP_1) | instskip(SKIP_3) | instid1(VALU_DEP_4)
	v_dual_mov_b32 v2, v9 :: v_dual_add_nc_u32 v1, 1, v8
	v_dual_mov_b32 v4, v9 :: v_dual_add_nc_u32 v3, 3, v8
	v_lshlrev_b64 v[5:6], 1, v[8:9]
	v_add_nc_u32_e32 v8, 4, v8
	v_lshlrev_b64 v[11:12], 1, v[1:2]
	s_delay_alu instid0(VALU_DEP_4) | instskip(NEXT) | instid1(VALU_DEP_3)
	v_lshlrev_b64 v[1:2], 1, v[3:4]
	v_lshlrev_b64 v[7:8], 1, v[8:9]
	s_waitcnt lgkmcnt(0)
	v_add_co_u32 v3, vcc_lo, s4, v5
	v_add_co_ci_u32_e32 v4, vcc_lo, s5, v6, vcc_lo
	s_delay_alu instid0(VALU_DEP_4)
	v_add_co_u32 v1, vcc_lo, s4, v1
	v_add_co_ci_u32_e32 v2, vcc_lo, s5, v2, vcc_lo
	v_add_co_u32 v5, vcc_lo, s4, v7
	v_add_co_ci_u32_e32 v6, vcc_lo, s5, v8, vcc_lo
	v_add_co_u32 v7, vcc_lo, s4, v11
	v_mov_b32_e32 v11, v9
	v_add_co_ci_u32_e32 v8, vcc_lo, s5, v12, vcc_lo
	s_clause 0x3
	global_load_u16 v13, v[1:2], off
	global_load_u16 v15, v[5:6], off
	;; [unrolled: 1-line block ×4, first 2 shown]
	v_lshlrev_b64 v[9:10], 1, v[10:11]
	s_delay_alu instid0(VALU_DEP_1) | instskip(NEXT) | instid1(VALU_DEP_2)
	v_add_co_u32 v9, vcc_lo, s4, v9
	v_add_co_ci_u32_e32 v10, vcc_lo, s5, v10, vcc_lo
	global_load_u16 v12, v[9:10], off
	s_waitcnt vmcnt(2)
	v_lshlrev_b32_e32 v14, 16, v14
	s_waitcnt vmcnt(1)
	v_lshlrev_b32_e32 v11, 16, v16
	s_delay_alu instid0(VALU_DEP_1) | instskip(NEXT) | instid1(VALU_DEP_1)
	v_add_f32_e32 v16, v14, v11
	v_and_b32_e32 v17, 0x7f800000, v16
	s_delay_alu instid0(VALU_DEP_1) | instskip(SKIP_1) | instid1(SALU_CYCLE_1)
	v_cmp_ne_u32_e32 vcc_lo, 0x7f800000, v17
                                        ; implicit-def: $vgpr17
	s_and_saveexec_b32 s3, vcc_lo
	s_xor_b32 s3, exec_lo, s3
; %bb.1:
	v_bfe_u32 v17, v16, 16, 1
	s_delay_alu instid0(VALU_DEP_1)
	v_add3_u32 v17, v16, v17, 0x7fff
                                        ; implicit-def: $vgpr16
; %bb.2:
	s_and_not1_saveexec_b32 s3, s3
; %bb.3:
	v_and_b32_e32 v17, 0xffff, v16
	v_or_b32_e32 v18, 0x10000, v16
	s_delay_alu instid0(VALU_DEP_2) | instskip(NEXT) | instid1(VALU_DEP_2)
	v_cmp_eq_u32_e32 vcc_lo, 0, v17
	v_cndmask_b32_e32 v17, v18, v16, vcc_lo
; %bb.4:
	s_or_b32 exec_lo, exec_lo, s3
	s_delay_alu instid0(VALU_DEP_1) | instskip(SKIP_2) | instid1(VALU_DEP_1)
	v_and_b32_e32 v16, 0xffff0000, v17
	s_waitcnt vmcnt(0)
	v_lshlrev_b32_e32 v12, 16, v12
	v_add_f32_e32 v16, v16, v12
	s_delay_alu instid0(VALU_DEP_1) | instskip(NEXT) | instid1(VALU_DEP_1)
	v_and_b32_e32 v17, 0x7f800000, v16
	v_cmp_ne_u32_e32 vcc_lo, 0x7f800000, v17
                                        ; implicit-def: $vgpr17
	s_and_saveexec_b32 s3, vcc_lo
	s_delay_alu instid0(SALU_CYCLE_1)
	s_xor_b32 s3, exec_lo, s3
; %bb.5:
	v_bfe_u32 v17, v16, 16, 1
	s_delay_alu instid0(VALU_DEP_1)
	v_add3_u32 v17, v16, v17, 0x7fff
                                        ; implicit-def: $vgpr16
; %bb.6:
	s_and_not1_saveexec_b32 s3, s3
; %bb.7:
	v_and_b32_e32 v17, 0xffff, v16
	v_or_b32_e32 v18, 0x10000, v16
	s_delay_alu instid0(VALU_DEP_2) | instskip(NEXT) | instid1(VALU_DEP_2)
	v_cmp_eq_u32_e32 vcc_lo, 0, v17
	v_cndmask_b32_e32 v17, v18, v16, vcc_lo
; %bb.8:
	s_or_b32 exec_lo, exec_lo, s3
	s_delay_alu instid0(VALU_DEP_1) | instskip(SKIP_1) | instid1(VALU_DEP_1)
	v_and_b32_e32 v16, 0xffff0000, v17
	v_lshlrev_b32_e32 v13, 16, v13
	v_add_f32_e32 v16, v16, v13
	s_delay_alu instid0(VALU_DEP_1) | instskip(NEXT) | instid1(VALU_DEP_1)
	v_and_b32_e32 v17, 0x7f800000, v16
	v_cmp_ne_u32_e32 vcc_lo, 0x7f800000, v17
                                        ; implicit-def: $vgpr17
	s_and_saveexec_b32 s3, vcc_lo
	s_delay_alu instid0(SALU_CYCLE_1)
	s_xor_b32 s3, exec_lo, s3
; %bb.9:
	v_bfe_u32 v17, v16, 16, 1
	s_delay_alu instid0(VALU_DEP_1)
	v_add3_u32 v17, v16, v17, 0x7fff
                                        ; implicit-def: $vgpr16
; %bb.10:
	s_and_not1_saveexec_b32 s3, s3
; %bb.11:
	v_and_b32_e32 v17, 0xffff, v16
	v_or_b32_e32 v18, 0x10000, v16
	s_delay_alu instid0(VALU_DEP_2) | instskip(NEXT) | instid1(VALU_DEP_2)
	v_cmp_eq_u32_e32 vcc_lo, 0, v17
	v_cndmask_b32_e32 v17, v18, v16, vcc_lo
; %bb.12:
	s_or_b32 exec_lo, exec_lo, s3
	s_delay_alu instid0(VALU_DEP_1) | instskip(SKIP_1) | instid1(VALU_DEP_1)
	v_and_b32_e32 v16, 0xffff0000, v17
	v_lshlrev_b32_e32 v15, 16, v15
	v_add_f32_e32 v15, v16, v15
	s_delay_alu instid0(VALU_DEP_1) | instskip(NEXT) | instid1(VALU_DEP_1)
	v_and_b32_e32 v16, 0x7f800000, v15
	v_cmp_ne_u32_e32 vcc_lo, 0x7f800000, v16
                                        ; implicit-def: $vgpr16
	s_and_saveexec_b32 s3, vcc_lo
	s_delay_alu instid0(SALU_CYCLE_1)
	s_xor_b32 s3, exec_lo, s3
; %bb.13:
	v_bfe_u32 v16, v15, 16, 1
	s_delay_alu instid0(VALU_DEP_1)
	v_add3_u32 v16, v15, v16, 0x7fff
                                        ; implicit-def: $vgpr15
; %bb.14:
	s_and_not1_saveexec_b32 s3, s3
; %bb.15:
	v_and_b32_e32 v16, 0xffff, v15
	v_or_b32_e32 v17, 0x10000, v15
	s_delay_alu instid0(VALU_DEP_2) | instskip(NEXT) | instid1(VALU_DEP_2)
	v_cmp_eq_u32_e32 vcc_lo, 0, v16
	v_cndmask_b32_e32 v16, v17, v15, vcc_lo
; %bb.16:
	s_or_b32 exec_lo, exec_lo, s3
	s_delay_alu instid0(VALU_DEP_1) | instskip(SKIP_2) | instid1(VALU_DEP_2)
	v_lshrrev_b32_e32 v18, 16, v16
	v_and_b32_e32 v17, 0xffff0000, v16
	s_mov_b32 s3, exec_lo
                                        ; implicit-def: $vgpr19
	v_mov_b32_dpp v15, v18 row_shr:1 row_mask:0xf bank_mask:0xf
	s_delay_alu instid0(VALU_DEP_1) | instskip(NEXT) | instid1(VALU_DEP_1)
	v_lshlrev_b32_e32 v15, 16, v15
	v_add_f32_e32 v15, v17, v15
	s_delay_alu instid0(VALU_DEP_1) | instskip(NEXT) | instid1(VALU_DEP_1)
	v_and_b32_e32 v16, 0x7f800000, v15
	v_cmpx_ne_u32_e32 0x7f800000, v16
	s_xor_b32 s3, exec_lo, s3
; %bb.17:
	v_bfe_u32 v16, v15, 16, 1
	s_delay_alu instid0(VALU_DEP_1)
	v_add3_u32 v19, v15, v16, 0x7fff
                                        ; implicit-def: $vgpr15
; %bb.18:
	s_and_not1_saveexec_b32 s3, s3
; %bb.19:
	v_and_b32_e32 v16, 0xffff, v15
	v_or_b32_e32 v19, 0x10000, v15
	s_delay_alu instid0(VALU_DEP_2) | instskip(NEXT) | instid1(VALU_DEP_2)
	v_cmp_eq_u32_e32 vcc_lo, 0, v16
	v_cndmask_b32_e32 v19, v19, v15, vcc_lo
; %bb.20:
	s_or_b32 exec_lo, exec_lo, s3
	v_mbcnt_lo_u32_b32 v15, -1, 0
	s_delay_alu instid0(VALU_DEP_2) | instskip(SKIP_1) | instid1(VALU_DEP_3)
	v_lshrrev_b32_e32 v20, 16, v19
	v_and_b32_e32 v19, 0xffff0000, v19
	v_and_b32_e32 v16, 15, v15
	s_delay_alu instid0(VALU_DEP_1) | instskip(NEXT) | instid1(VALU_DEP_3)
	v_cmp_eq_u32_e32 vcc_lo, 0, v16
	v_dual_cndmask_b32 v17, v19, v17 :: v_dual_cndmask_b32 v18, v20, v18
	s_delay_alu instid0(VALU_DEP_1) | instskip(NEXT) | instid1(VALU_DEP_1)
	v_mov_b32_dpp v20, v18 row_shr:2 row_mask:0xf bank_mask:0xf
	v_lshlrev_b32_e32 v19, 16, v20
	s_delay_alu instid0(VALU_DEP_1) | instskip(NEXT) | instid1(VALU_DEP_1)
	v_add_f32_e32 v20, v17, v19
	v_and_b32_e32 v19, 0x7f800000, v20
	s_delay_alu instid0(VALU_DEP_1) | instskip(SKIP_1) | instid1(SALU_CYCLE_1)
	v_cmp_ne_u32_e32 vcc_lo, 0x7f800000, v19
                                        ; implicit-def: $vgpr19
	s_and_saveexec_b32 s3, vcc_lo
	s_xor_b32 s3, exec_lo, s3
; %bb.21:
	v_bfe_u32 v19, v20, 16, 1
	s_delay_alu instid0(VALU_DEP_1)
	v_add3_u32 v19, v20, v19, 0x7fff
                                        ; implicit-def: $vgpr20
; %bb.22:
	s_and_not1_saveexec_b32 s3, s3
; %bb.23:
	v_and_b32_e32 v19, 0xffff, v20
	v_or_b32_e32 v21, 0x10000, v20
	s_delay_alu instid0(VALU_DEP_2) | instskip(NEXT) | instid1(VALU_DEP_2)
	v_cmp_eq_u32_e32 vcc_lo, 0, v19
	v_cndmask_b32_e32 v19, v21, v20, vcc_lo
; %bb.24:
	s_or_b32 exec_lo, exec_lo, s3
	s_delay_alu instid0(VALU_DEP_1) | instskip(SKIP_1) | instid1(VALU_DEP_2)
	v_lshrrev_b32_e32 v20, 16, v19
	v_cmp_lt_u32_e32 vcc_lo, 1, v16
	v_dual_cndmask_b32 v18, v18, v20 :: v_dual_and_b32 v19, 0xffff0000, v19
	s_delay_alu instid0(VALU_DEP_1) | instskip(NEXT) | instid1(VALU_DEP_2)
	v_cndmask_b32_e32 v17, v17, v19, vcc_lo
	v_mov_b32_dpp v20, v18 row_shr:4 row_mask:0xf bank_mask:0xf
	s_delay_alu instid0(VALU_DEP_1) | instskip(NEXT) | instid1(VALU_DEP_1)
	v_lshlrev_b32_e32 v19, 16, v20
	v_add_f32_e32 v20, v17, v19
	s_delay_alu instid0(VALU_DEP_1) | instskip(NEXT) | instid1(VALU_DEP_1)
	v_and_b32_e32 v19, 0x7f800000, v20
	v_cmp_ne_u32_e32 vcc_lo, 0x7f800000, v19
                                        ; implicit-def: $vgpr19
	s_and_saveexec_b32 s3, vcc_lo
	s_delay_alu instid0(SALU_CYCLE_1)
	s_xor_b32 s3, exec_lo, s3
; %bb.25:
	v_bfe_u32 v19, v20, 16, 1
	s_delay_alu instid0(VALU_DEP_1)
	v_add3_u32 v19, v20, v19, 0x7fff
                                        ; implicit-def: $vgpr20
; %bb.26:
	s_and_not1_saveexec_b32 s3, s3
; %bb.27:
	v_and_b32_e32 v19, 0xffff, v20
	v_or_b32_e32 v21, 0x10000, v20
	s_delay_alu instid0(VALU_DEP_2) | instskip(NEXT) | instid1(VALU_DEP_2)
	v_cmp_eq_u32_e32 vcc_lo, 0, v19
	v_cndmask_b32_e32 v19, v21, v20, vcc_lo
; %bb.28:
	s_or_b32 exec_lo, exec_lo, s3
	s_delay_alu instid0(VALU_DEP_1) | instskip(SKIP_1) | instid1(VALU_DEP_2)
	v_lshrrev_b32_e32 v20, 16, v19
	v_cmp_lt_u32_e32 vcc_lo, 3, v16
	v_dual_cndmask_b32 v18, v18, v20 :: v_dual_and_b32 v19, 0xffff0000, v19
	s_delay_alu instid0(VALU_DEP_1) | instskip(NEXT) | instid1(VALU_DEP_2)
	v_cndmask_b32_e32 v17, v17, v19, vcc_lo
	v_mov_b32_dpp v20, v18 row_shr:8 row_mask:0xf bank_mask:0xf
	s_delay_alu instid0(VALU_DEP_1) | instskip(NEXT) | instid1(VALU_DEP_1)
	v_lshlrev_b32_e32 v19, 16, v20
	v_add_f32_e32 v17, v17, v19
	s_delay_alu instid0(VALU_DEP_1) | instskip(NEXT) | instid1(VALU_DEP_1)
	v_and_b32_e32 v19, 0x7f800000, v17
	v_cmp_ne_u32_e32 vcc_lo, 0x7f800000, v19
                                        ; implicit-def: $vgpr19
	s_and_saveexec_b32 s3, vcc_lo
	s_delay_alu instid0(SALU_CYCLE_1)
	s_xor_b32 s3, exec_lo, s3
; %bb.29:
	v_bfe_u32 v19, v17, 16, 1
	s_delay_alu instid0(VALU_DEP_1)
	v_add3_u32 v19, v17, v19, 0x7fff
                                        ; implicit-def: $vgpr17
; %bb.30:
	s_and_not1_saveexec_b32 s3, s3
; %bb.31:
	v_and_b32_e32 v19, 0xffff, v17
	v_or_b32_e32 v20, 0x10000, v17
	s_delay_alu instid0(VALU_DEP_2) | instskip(NEXT) | instid1(VALU_DEP_2)
	v_cmp_eq_u32_e32 vcc_lo, 0, v19
	v_cndmask_b32_e32 v19, v20, v17, vcc_lo
; %bb.32:
	s_or_b32 exec_lo, exec_lo, s3
	s_delay_alu instid0(VALU_DEP_1) | instskip(SKIP_2) | instid1(VALU_DEP_2)
	v_lshrrev_b32_e32 v17, 16, v19
	v_cmp_lt_u32_e32 vcc_lo, 7, v16
	s_mov_b32 s3, exec_lo
	v_cndmask_b32_e32 v16, v18, v17, vcc_lo
	v_cmpx_eq_u32_e32 15, v0
	s_cbranch_execz .LBB268_34
; %bb.33:
	v_mov_b32_e32 v17, 0
	ds_store_b16 v17, v16
.LBB268_34:
	s_or_b32 exec_lo, exec_lo, s3
	v_add_nc_u32_e32 v17, -1, v15
	s_load_b32 s0, s[0:1], 0x10
	v_and_b32_e32 v18, 16, v15
	s_mov_b32 s3, -1
	s_mov_b32 s1, exec_lo
	s_waitcnt vmcnt(0) lgkmcnt(0)
	s_waitcnt_vscnt null, 0x0
	; wave barrier
	s_waitcnt lgkmcnt(0)
	buffer_gl0_inv
	v_cmp_lt_i32_e32 vcc_lo, v17, v18
	v_cndmask_b32_e32 v15, v17, v15, vcc_lo
	s_delay_alu instid0(VALU_DEP_1)
	v_lshlrev_b32_e32 v15, 2, v15
	ds_bpermute_b32 v17, v15, v16
	v_mov_b32_e32 v15, s0
	v_cmpx_gt_u32_e32 32, v0
	s_cbranch_execz .LBB268_42
; %bb.35:
	v_mov_b32_e32 v15, 0
	s_lshl_b32 s4, s0, 16
                                        ; implicit-def: $sgpr5
	ds_load_u16 v15, v15
	s_waitcnt lgkmcnt(0)
	v_lshlrev_b32_e32 v15, 16, v15
	s_delay_alu instid0(VALU_DEP_1) | instskip(NEXT) | instid1(VALU_DEP_1)
	v_add_f32_e32 v15, s4, v15
	v_and_b32_e32 v16, 0x7f800000, v15
	v_readfirstlane_b32 s4, v15
	s_delay_alu instid0(VALU_DEP_2)
	v_cmp_eq_u32_e32 vcc_lo, 0x7f800000, v16
	s_cbranch_vccnz .LBB268_37
; %bb.36:
	s_delay_alu instid0(VALU_DEP_2) | instskip(NEXT) | instid1(SALU_CYCLE_1)
	s_bfe_u32 s3, s4, 0x10010
	s_add_i32 s3, s4, s3
	s_delay_alu instid0(SALU_CYCLE_1)
	s_add_i32 s5, s3, 0x7fff
	s_mov_b32 s3, 0
.LBB268_37:
	s_delay_alu instid0(SALU_CYCLE_1)
	s_and_not1_b32 vcc_lo, exec_lo, s3
	s_cbranch_vccnz .LBB268_39
; %bb.38:
	s_and_b32 s3, s4, 0xffff
	s_or_b32 s5, s4, 0x10000
	s_cmp_eq_u32 s3, 0
	s_cselect_b32 s5, s4, s5
.LBB268_39:
	s_delay_alu instid0(SALU_CYCLE_1)
	s_lshr_b32 s3, s5, 16
	s_mov_b32 s4, exec_lo
	v_cmpx_eq_u32_e32 0, v0
	s_cbranch_execz .LBB268_41
; %bb.40:
	v_dual_mov_b32 v15, 0 :: v_dual_mov_b32 v16, s0
	ds_store_b16 v15, v16
.LBB268_41:
	s_or_b32 exec_lo, exec_lo, s4
	v_mov_b32_e32 v15, s3
.LBB268_42:
	s_or_b32 exec_lo, exec_lo, s1
	v_mov_b32_e32 v16, 0
	s_waitcnt vmcnt(0) lgkmcnt(0)
	s_waitcnt_vscnt null, 0x0
	; wave barrier
	s_waitcnt lgkmcnt(0)
	buffer_gl0_inv
	v_cmp_eq_u32_e32 vcc_lo, 0, v0
	s_mov_b32 s1, exec_lo
	ds_load_u16 v16, v16
	v_cmpx_ne_u32_e32 0, v0
	s_cbranch_execz .LBB268_48
; %bb.43:
	s_waitcnt lgkmcnt(0)
	v_lshlrev_b32_e32 v0, 16, v16
	v_lshlrev_b32_e32 v16, 16, v17
	s_delay_alu instid0(VALU_DEP_1) | instskip(NEXT) | instid1(VALU_DEP_1)
	v_add_f32_e32 v0, v16, v0
	v_and_b32_e32 v16, 0x7f800000, v0
	s_delay_alu instid0(VALU_DEP_1) | instskip(NEXT) | instid1(VALU_DEP_1)
	v_cmp_ne_u32_e64 s0, 0x7f800000, v16
                                        ; implicit-def: $vgpr16
	s_and_saveexec_b32 s3, s0
	s_delay_alu instid0(SALU_CYCLE_1)
	s_xor_b32 s0, exec_lo, s3
; %bb.44:
	v_bfe_u32 v16, v0, 16, 1
	s_delay_alu instid0(VALU_DEP_1)
	v_add3_u32 v16, v0, v16, 0x7fff
                                        ; implicit-def: $vgpr0
; %bb.45:
	s_and_not1_saveexec_b32 s3, s0
; %bb.46:
	v_and_b32_e32 v16, 0xffff, v0
	v_or_b32_e32 v17, 0x10000, v0
	s_delay_alu instid0(VALU_DEP_2) | instskip(NEXT) | instid1(VALU_DEP_1)
	v_cmp_eq_u32_e64 s0, 0, v16
	v_cndmask_b32_e64 v16, v17, v0, s0
; %bb.47:
	s_or_b32 exec_lo, exec_lo, s3
	s_delay_alu instid0(VALU_DEP_1)
	v_lshrrev_b32_e32 v16, 16, v16
.LBB268_48:
	s_or_b32 exec_lo, exec_lo, s1
	s_waitcnt lgkmcnt(0)
	s_delay_alu instid0(VALU_DEP_1) | instskip(NEXT) | instid1(VALU_DEP_1)
	v_lshlrev_b32_e32 v0, 16, v16
	v_add_f32_e32 v14, v14, v0
	s_delay_alu instid0(VALU_DEP_1) | instskip(NEXT) | instid1(VALU_DEP_1)
	v_and_b32_e32 v0, 0x7f800000, v14
	v_cmp_ne_u32_e64 s0, 0x7f800000, v0
                                        ; implicit-def: $vgpr0
	s_delay_alu instid0(VALU_DEP_1) | instskip(NEXT) | instid1(SALU_CYCLE_1)
	s_and_saveexec_b32 s1, s0
	s_xor_b32 s0, exec_lo, s1
; %bb.49:
	v_bfe_u32 v0, v14, 16, 1
	s_delay_alu instid0(VALU_DEP_1)
	v_add3_u32 v0, v14, v0, 0x7fff
                                        ; implicit-def: $vgpr14
; %bb.50:
	s_and_not1_saveexec_b32 s1, s0
; %bb.51:
	v_and_b32_e32 v0, 0xffff, v14
	v_or_b32_e32 v17, 0x10000, v14
	s_delay_alu instid0(VALU_DEP_2) | instskip(NEXT) | instid1(VALU_DEP_1)
	v_cmp_eq_u32_e64 s0, 0, v0
	v_cndmask_b32_e64 v0, v17, v14, s0
; %bb.52:
	s_or_b32 exec_lo, exec_lo, s1
	s_delay_alu instid0(VALU_DEP_1) | instskip(NEXT) | instid1(VALU_DEP_1)
	v_and_b32_e32 v14, 0xffff0000, v0
	v_add_f32_e32 v14, v11, v14
	s_delay_alu instid0(VALU_DEP_1) | instskip(NEXT) | instid1(VALU_DEP_1)
	v_and_b32_e32 v11, 0x7f800000, v14
	v_cmp_ne_u32_e64 s0, 0x7f800000, v11
                                        ; implicit-def: $vgpr11
	s_delay_alu instid0(VALU_DEP_1) | instskip(NEXT) | instid1(SALU_CYCLE_1)
	s_and_saveexec_b32 s1, s0
	s_xor_b32 s0, exec_lo, s1
; %bb.53:
	v_bfe_u32 v11, v14, 16, 1
	s_delay_alu instid0(VALU_DEP_1)
	v_add3_u32 v11, v14, v11, 0x7fff
                                        ; implicit-def: $vgpr14
; %bb.54:
	s_and_not1_saveexec_b32 s1, s0
; %bb.55:
	v_and_b32_e32 v11, 0xffff, v14
	v_or_b32_e32 v17, 0x10000, v14
	s_delay_alu instid0(VALU_DEP_2) | instskip(NEXT) | instid1(VALU_DEP_1)
	v_cmp_eq_u32_e64 s0, 0, v11
	v_cndmask_b32_e64 v11, v17, v14, s0
; %bb.56:
	s_or_b32 exec_lo, exec_lo, s1
	s_delay_alu instid0(VALU_DEP_1) | instskip(NEXT) | instid1(VALU_DEP_1)
	v_and_b32_e32 v14, 0xffff0000, v11
	v_add_f32_e32 v14, v14, v12
	s_delay_alu instid0(VALU_DEP_1) | instskip(NEXT) | instid1(VALU_DEP_1)
	v_and_b32_e32 v12, 0x7f800000, v14
	v_cmp_ne_u32_e64 s0, 0x7f800000, v12
                                        ; implicit-def: $vgpr12
	s_delay_alu instid0(VALU_DEP_1) | instskip(NEXT) | instid1(SALU_CYCLE_1)
	s_and_saveexec_b32 s1, s0
	s_xor_b32 s0, exec_lo, s1
; %bb.57:
	v_bfe_u32 v12, v14, 16, 1
	s_delay_alu instid0(VALU_DEP_1)
	v_add3_u32 v12, v14, v12, 0x7fff
                                        ; implicit-def: $vgpr14
; %bb.58:
	s_and_not1_saveexec_b32 s1, s0
; %bb.59:
	v_and_b32_e32 v12, 0xffff, v14
	v_or_b32_e32 v17, 0x10000, v14
	s_delay_alu instid0(VALU_DEP_2) | instskip(NEXT) | instid1(VALU_DEP_1)
	v_cmp_eq_u32_e64 s0, 0, v12
	v_cndmask_b32_e64 v12, v17, v14, s0
; %bb.60:
	s_or_b32 exec_lo, exec_lo, s1
	s_delay_alu instid0(VALU_DEP_1) | instskip(NEXT) | instid1(VALU_DEP_1)
	v_and_b32_e32 v14, 0xffff0000, v12
	v_add_f32_e32 v14, v14, v13
	s_delay_alu instid0(VALU_DEP_1) | instskip(NEXT) | instid1(VALU_DEP_1)
	v_and_b32_e32 v13, 0x7f800000, v14
	v_cmp_ne_u32_e64 s0, 0x7f800000, v13
                                        ; implicit-def: $vgpr13
	s_delay_alu instid0(VALU_DEP_1) | instskip(NEXT) | instid1(SALU_CYCLE_1)
	s_and_saveexec_b32 s1, s0
	s_xor_b32 s0, exec_lo, s1
; %bb.61:
	v_bfe_u32 v13, v14, 16, 1
	s_delay_alu instid0(VALU_DEP_1)
	v_add3_u32 v13, v14, v13, 0x7fff
                                        ; implicit-def: $vgpr14
; %bb.62:
	s_and_not1_saveexec_b32 s1, s0
; %bb.63:
	v_and_b32_e32 v13, 0xffff, v14
	v_or_b32_e32 v17, 0x10000, v14
	s_delay_alu instid0(VALU_DEP_2) | instskip(NEXT) | instid1(VALU_DEP_1)
	v_cmp_eq_u32_e64 s0, 0, v13
	v_cndmask_b32_e64 v13, v17, v14, s0
; %bb.64:
	s_or_b32 exec_lo, exec_lo, s1
	s_clause 0x4
	global_store_b16 v[3:4], v16, off
	global_store_d16_hi_b16 v[7:8], v0, off
	global_store_d16_hi_b16 v[9:10], v11, off
	;; [unrolled: 1-line block ×4, first 2 shown]
	s_and_saveexec_b32 s0, vcc_lo
	s_cbranch_execz .LBB268_66
; %bb.65:
	s_mov_b32 s3, 0
	v_mov_b32_e32 v0, 0
	s_lshl_b64 s[0:1], s[2:3], 1
	s_delay_alu instid0(SALU_CYCLE_1)
	s_add_u32 s0, s6, s0
	s_addc_u32 s1, s7, s1
	global_store_b16 v0, v15, s[0:1]
.LBB268_66:
	s_nop 0
	s_sendmsg sendmsg(MSG_DEALLOC_VGPRS)
	s_endpgm
	.section	.rodata,"a",@progbits
	.p2align	6, 0x0
	.amdhsa_kernel _Z43exclusive_scan_prefix_callback_array_kernelILj16ELj5ELN6hipcub18BlockScanAlgorithmE1E12hip_bfloat16EvPT2_S4_S3_
		.amdhsa_group_segment_fixed_size 2
		.amdhsa_private_segment_fixed_size 0
		.amdhsa_kernarg_size 20
		.amdhsa_user_sgpr_count 15
		.amdhsa_user_sgpr_dispatch_ptr 0
		.amdhsa_user_sgpr_queue_ptr 0
		.amdhsa_user_sgpr_kernarg_segment_ptr 1
		.amdhsa_user_sgpr_dispatch_id 0
		.amdhsa_user_sgpr_private_segment_size 0
		.amdhsa_wavefront_size32 1
		.amdhsa_uses_dynamic_stack 0
		.amdhsa_enable_private_segment 0
		.amdhsa_system_sgpr_workgroup_id_x 1
		.amdhsa_system_sgpr_workgroup_id_y 0
		.amdhsa_system_sgpr_workgroup_id_z 0
		.amdhsa_system_sgpr_workgroup_info 0
		.amdhsa_system_vgpr_workitem_id 0
		.amdhsa_next_free_vgpr 22
		.amdhsa_next_free_sgpr 16
		.amdhsa_reserve_vcc 1
		.amdhsa_float_round_mode_32 0
		.amdhsa_float_round_mode_16_64 0
		.amdhsa_float_denorm_mode_32 3
		.amdhsa_float_denorm_mode_16_64 3
		.amdhsa_dx10_clamp 1
		.amdhsa_ieee_mode 1
		.amdhsa_fp16_overflow 0
		.amdhsa_workgroup_processor_mode 1
		.amdhsa_memory_ordered 1
		.amdhsa_forward_progress 0
		.amdhsa_shared_vgpr_count 0
		.amdhsa_exception_fp_ieee_invalid_op 0
		.amdhsa_exception_fp_denorm_src 0
		.amdhsa_exception_fp_ieee_div_zero 0
		.amdhsa_exception_fp_ieee_overflow 0
		.amdhsa_exception_fp_ieee_underflow 0
		.amdhsa_exception_fp_ieee_inexact 0
		.amdhsa_exception_int_div_zero 0
	.end_amdhsa_kernel
	.section	.text._Z43exclusive_scan_prefix_callback_array_kernelILj16ELj5ELN6hipcub18BlockScanAlgorithmE1E12hip_bfloat16EvPT2_S4_S3_,"axG",@progbits,_Z43exclusive_scan_prefix_callback_array_kernelILj16ELj5ELN6hipcub18BlockScanAlgorithmE1E12hip_bfloat16EvPT2_S4_S3_,comdat
.Lfunc_end268:
	.size	_Z43exclusive_scan_prefix_callback_array_kernelILj16ELj5ELN6hipcub18BlockScanAlgorithmE1E12hip_bfloat16EvPT2_S4_S3_, .Lfunc_end268-_Z43exclusive_scan_prefix_callback_array_kernelILj16ELj5ELN6hipcub18BlockScanAlgorithmE1E12hip_bfloat16EvPT2_S4_S3_
                                        ; -- End function
	.section	.AMDGPU.csdata,"",@progbits
; Kernel info:
; codeLenInByte = 2308
; NumSgprs: 18
; NumVgprs: 22
; ScratchSize: 0
; MemoryBound: 0
; FloatMode: 240
; IeeeMode: 1
; LDSByteSize: 2 bytes/workgroup (compile time only)
; SGPRBlocks: 2
; VGPRBlocks: 2
; NumSGPRsForWavesPerEU: 18
; NumVGPRsForWavesPerEU: 22
; Occupancy: 16
; WaveLimiterHint : 0
; COMPUTE_PGM_RSRC2:SCRATCH_EN: 0
; COMPUTE_PGM_RSRC2:USER_SGPR: 15
; COMPUTE_PGM_RSRC2:TRAP_HANDLER: 0
; COMPUTE_PGM_RSRC2:TGID_X_EN: 1
; COMPUTE_PGM_RSRC2:TGID_Y_EN: 0
; COMPUTE_PGM_RSRC2:TGID_Z_EN: 0
; COMPUTE_PGM_RSRC2:TIDIG_COMP_CNT: 0
	.section	.text._Z43exclusive_scan_prefix_callback_array_kernelILj65ELj5ELN6hipcub18BlockScanAlgorithmE1E6__halfEvPT2_S4_S3_,"axG",@progbits,_Z43exclusive_scan_prefix_callback_array_kernelILj65ELj5ELN6hipcub18BlockScanAlgorithmE1E6__halfEvPT2_S4_S3_,comdat
	.protected	_Z43exclusive_scan_prefix_callback_array_kernelILj65ELj5ELN6hipcub18BlockScanAlgorithmE1E6__halfEvPT2_S4_S3_ ; -- Begin function _Z43exclusive_scan_prefix_callback_array_kernelILj65ELj5ELN6hipcub18BlockScanAlgorithmE1E6__halfEvPT2_S4_S3_
	.globl	_Z43exclusive_scan_prefix_callback_array_kernelILj65ELj5ELN6hipcub18BlockScanAlgorithmE1E6__halfEvPT2_S4_S3_
	.p2align	8
	.type	_Z43exclusive_scan_prefix_callback_array_kernelILj65ELj5ELN6hipcub18BlockScanAlgorithmE1E6__halfEvPT2_S4_S3_,@function
_Z43exclusive_scan_prefix_callback_array_kernelILj65ELj5ELN6hipcub18BlockScanAlgorithmE1E6__halfEvPT2_S4_S3_: ; @_Z43exclusive_scan_prefix_callback_array_kernelILj65ELj5ELN6hipcub18BlockScanAlgorithmE1E6__halfEvPT2_S4_S3_
; %bb.0:
	s_mov_b32 s2, s15
	s_clause 0x1
	s_load_b128 s[4:7], s[0:1], 0x0
	s_load_b32 s3, s[0:1], 0x10
	v_mad_u64_u32 v[1:2], null, 0x41, s2, v[0:1]
	s_delay_alu instid0(VALU_DEP_1) | instskip(NEXT) | instid1(VALU_DEP_1)
	v_lshl_add_u32 v1, v1, 2, v1
	v_dual_mov_b32 v2, 0 :: v_dual_add_nc_u32 v3, 1, v1
	s_delay_alu instid0(VALU_DEP_1) | instskip(SKIP_3) | instid1(VALU_DEP_4)
	v_dual_mov_b32 v4, v2 :: v_dual_add_nc_u32 v5, 2, v1
	v_lshlrev_b64 v[9:10], 1, v[1:2]
	v_dual_mov_b32 v6, v2 :: v_dual_add_nc_u32 v7, 3, v1
	v_dual_mov_b32 v8, v2 :: v_dual_add_nc_u32 v1, 4, v1
	v_lshlrev_b64 v[3:4], 1, v[3:4]
	s_delay_alu instid0(VALU_DEP_3) | instskip(NEXT) | instid1(VALU_DEP_3)
	v_lshlrev_b64 v[5:6], 1, v[5:6]
	v_lshlrev_b64 v[7:8], 1, v[7:8]
	s_delay_alu instid0(VALU_DEP_4)
	v_lshlrev_b64 v[14:15], 1, v[1:2]
	s_waitcnt lgkmcnt(0)
	v_add_co_u32 v1, vcc_lo, s4, v9
	v_add_co_ci_u32_e32 v2, vcc_lo, s5, v10, vcc_lo
	v_add_co_u32 v3, vcc_lo, s4, v3
	v_add_co_ci_u32_e32 v4, vcc_lo, s5, v4, vcc_lo
	;; [unrolled: 2-line block ×3, first 2 shown]
	s_clause 0x1
	global_load_u16 v11, v[1:2], off
	global_load_u16 v12, v[3:4], off
	v_add_co_u32 v7, vcc_lo, s4, v7
	v_add_co_ci_u32_e32 v8, vcc_lo, s5, v8, vcc_lo
	global_load_u16 v13, v[5:6], off
	v_add_co_u32 v9, vcc_lo, s4, v14
	v_add_co_ci_u32_e32 v10, vcc_lo, s5, v15, vcc_lo
	s_clause 0x1
	global_load_u16 v14, v[7:8], off
	global_load_u16 v15, v[9:10], off
	v_cmp_gt_u32_e32 vcc_lo, 32, v0
	s_waitcnt vmcnt(3)
	v_add_f16_e32 v16, v11, v12
	s_waitcnt vmcnt(2)
	s_delay_alu instid0(VALU_DEP_1) | instskip(SKIP_1) | instid1(VALU_DEP_1)
	v_add_f16_e32 v16, v16, v13
	s_waitcnt vmcnt(1)
	v_add_f16_e32 v17, v16, v14
	v_lshlrev_b32_e32 v16, 1, v0
	s_waitcnt vmcnt(0)
	s_delay_alu instid0(VALU_DEP_2)
	v_add_f16_e32 v15, v17, v15
	ds_store_b16 v16, v15
	s_waitcnt lgkmcnt(0)
	s_barrier
	buffer_gl0_inv
	s_and_saveexec_b32 s1, vcc_lo
	s_cbranch_execz .LBB269_2
; %bb.1:
	v_mul_u32_u24_e32 v17, 3, v0
	v_mbcnt_lo_u32_b32 v23, -1, 0
	s_delay_alu instid0(VALU_DEP_2) | instskip(NEXT) | instid1(VALU_DEP_2)
	v_lshlrev_b32_e32 v17, 1, v17
	v_and_b32_e32 v24, 15, v23
	v_add_nc_u32_e32 v25, -1, v23
	ds_load_u16 v18, v17
	ds_load_u16 v19, v17 offset:2
	ds_load_u16 v20, v17 offset:4
	v_cmp_eq_u32_e64 s0, 0, v24
	s_waitcnt lgkmcnt(1)
	v_add_f16_e32 v21, v18, v19
	s_waitcnt lgkmcnt(0)
	s_delay_alu instid0(VALU_DEP_1) | instskip(NEXT) | instid1(VALU_DEP_1)
	v_add_f16_e32 v21, v21, v20
	v_and_b32_e32 v22, 0xffff, v21
	s_delay_alu instid0(VALU_DEP_1) | instskip(NEXT) | instid1(VALU_DEP_1)
	v_mov_b32_dpp v22, v22 row_shr:1 row_mask:0xf bank_mask:0xf
	v_add_f16_e32 v22, v21, v22
	s_delay_alu instid0(VALU_DEP_1) | instskip(SKIP_1) | instid1(VALU_DEP_2)
	v_cndmask_b32_e64 v21, v22, v21, s0
	v_cmp_lt_u32_e64 s0, 1, v24
	v_and_b32_e32 v22, 0xffff, v21
	s_delay_alu instid0(VALU_DEP_1) | instskip(NEXT) | instid1(VALU_DEP_1)
	v_mov_b32_dpp v22, v22 row_shr:2 row_mask:0xf bank_mask:0xf
	v_add_f16_e32 v22, v21, v22
	s_delay_alu instid0(VALU_DEP_1) | instskip(SKIP_1) | instid1(VALU_DEP_2)
	v_cndmask_b32_e64 v21, v21, v22, s0
	v_cmp_lt_u32_e64 s0, 3, v24
	v_and_b32_e32 v22, 0xffff, v21
	s_delay_alu instid0(VALU_DEP_1) | instskip(NEXT) | instid1(VALU_DEP_1)
	v_mov_b32_dpp v22, v22 row_shr:4 row_mask:0xf bank_mask:0xf
	v_add_f16_e32 v22, v21, v22
	s_delay_alu instid0(VALU_DEP_1) | instskip(SKIP_2) | instid1(VALU_DEP_3)
	v_cndmask_b32_e64 v21, v21, v22, s0
	v_cmp_lt_u32_e64 s0, 7, v24
	v_and_b32_e32 v24, 16, v23
	v_and_b32_e32 v22, 0xffff, v21
	s_delay_alu instid0(VALU_DEP_1) | instskip(NEXT) | instid1(VALU_DEP_1)
	v_mov_b32_dpp v22, v22 row_shr:8 row_mask:0xf bank_mask:0xf
	v_add_f16_e32 v22, v21, v22
	s_delay_alu instid0(VALU_DEP_1) | instskip(SKIP_1) | instid1(VALU_DEP_2)
	v_cndmask_b32_e64 v21, v21, v22, s0
	v_cmp_eq_u32_e64 s0, 0, v24
	v_and_b32_e32 v22, 0xffff, v21
	ds_swizzle_b32 v22, v22 offset:swizzle(BROADCAST,32,15)
	s_waitcnt lgkmcnt(0)
	v_add_f16_e32 v22, v21, v22
	s_delay_alu instid0(VALU_DEP_1) | instskip(SKIP_1) | instid1(VALU_DEP_2)
	v_cndmask_b32_e64 v21, v22, v21, s0
	v_cmp_gt_i32_e64 s0, 0, v25
	v_and_b32_e32 v21, 0xffff, v21
	s_delay_alu instid0(VALU_DEP_2) | instskip(SKIP_1) | instid1(VALU_DEP_2)
	v_cndmask_b32_e64 v22, v25, v23, s0
	v_cmp_eq_u32_e64 s0, 0, v0
	v_lshlrev_b32_e32 v22, 2, v22
	ds_bpermute_b32 v21, v22, v21
	s_waitcnt lgkmcnt(0)
	v_add_f16_e32 v18, v18, v21
	s_delay_alu instid0(VALU_DEP_1) | instskip(NEXT) | instid1(VALU_DEP_1)
	v_cndmask_b32_e64 v18, v18, v15, s0
	v_add_f16_e32 v19, v19, v18
	s_delay_alu instid0(VALU_DEP_1)
	v_add_f16_e32 v20, v20, v19
	ds_store_b16 v17, v18
	ds_store_b16 v17, v19 offset:2
	ds_store_b16 v17, v20 offset:4
.LBB269_2:
	s_or_b32 exec_lo, exec_lo, s1
	v_cmp_eq_u32_e64 s0, 0, v0
	s_mov_b32 s4, exec_lo
	s_waitcnt lgkmcnt(0)
	s_barrier
	buffer_gl0_inv
	v_cmpx_ne_u32_e32 0, v0
	s_cbranch_execz .LBB269_4
; %bb.3:
	v_add_nc_u32_e32 v0, -2, v16
	ds_load_u16 v15, v0
.LBB269_4:
	s_or_b32 exec_lo, exec_lo, s4
	v_mov_b32_e32 v0, s3
	s_and_saveexec_b32 s1, vcc_lo
	s_cbranch_execz .LBB269_8
; %bb.5:
	v_mov_b32_e32 v16, 0
	ds_load_u16 v0, v16 offset:128
	s_and_saveexec_b32 s4, s0
	s_cbranch_execz .LBB269_7
; %bb.6:
	v_mov_b32_e32 v17, s3
	ds_store_b16 v16, v17
.LBB269_7:
	s_or_b32 exec_lo, exec_lo, s4
	s_waitcnt lgkmcnt(0)
	v_add_f16_e32 v0, s3, v0
.LBB269_8:
	s_or_b32 exec_lo, exec_lo, s1
	v_mov_b32_e32 v16, 0
	s_waitcnt lgkmcnt(0)
	s_barrier
	buffer_gl0_inv
	ds_load_u16 v17, v16
	s_waitcnt lgkmcnt(0)
	v_add_f16_e32 v15, v15, v17
	s_delay_alu instid0(VALU_DEP_1) | instskip(NEXT) | instid1(VALU_DEP_1)
	v_cndmask_b32_e64 v15, v15, v17, s0
	v_add_f16_e32 v11, v11, v15
	s_delay_alu instid0(VALU_DEP_1) | instskip(NEXT) | instid1(VALU_DEP_1)
	v_add_f16_e32 v12, v12, v11
	v_add_f16_e32 v13, v13, v12
	s_delay_alu instid0(VALU_DEP_1)
	v_add_f16_e32 v14, v14, v13
	s_clause 0x4
	global_store_b16 v[1:2], v15, off
	global_store_b16 v[3:4], v11, off
	global_store_b16 v[5:6], v12, off
	global_store_b16 v[7:8], v13, off
	global_store_b16 v[9:10], v14, off
	s_and_saveexec_b32 s1, s0
	s_cbranch_execz .LBB269_10
; %bb.9:
	s_mov_b32 s3, 0
	s_delay_alu instid0(SALU_CYCLE_1) | instskip(NEXT) | instid1(SALU_CYCLE_1)
	s_lshl_b64 s[0:1], s[2:3], 1
	s_add_u32 s0, s6, s0
	s_addc_u32 s1, s7, s1
	global_store_b16 v16, v0, s[0:1]
.LBB269_10:
	s_nop 0
	s_sendmsg sendmsg(MSG_DEALLOC_VGPRS)
	s_endpgm
	.section	.rodata,"a",@progbits
	.p2align	6, 0x0
	.amdhsa_kernel _Z43exclusive_scan_prefix_callback_array_kernelILj65ELj5ELN6hipcub18BlockScanAlgorithmE1E6__halfEvPT2_S4_S3_
		.amdhsa_group_segment_fixed_size 192
		.amdhsa_private_segment_fixed_size 0
		.amdhsa_kernarg_size 20
		.amdhsa_user_sgpr_count 15
		.amdhsa_user_sgpr_dispatch_ptr 0
		.amdhsa_user_sgpr_queue_ptr 0
		.amdhsa_user_sgpr_kernarg_segment_ptr 1
		.amdhsa_user_sgpr_dispatch_id 0
		.amdhsa_user_sgpr_private_segment_size 0
		.amdhsa_wavefront_size32 1
		.amdhsa_uses_dynamic_stack 0
		.amdhsa_enable_private_segment 0
		.amdhsa_system_sgpr_workgroup_id_x 1
		.amdhsa_system_sgpr_workgroup_id_y 0
		.amdhsa_system_sgpr_workgroup_id_z 0
		.amdhsa_system_sgpr_workgroup_info 0
		.amdhsa_system_vgpr_workitem_id 0
		.amdhsa_next_free_vgpr 26
		.amdhsa_next_free_sgpr 16
		.amdhsa_reserve_vcc 1
		.amdhsa_float_round_mode_32 0
		.amdhsa_float_round_mode_16_64 0
		.amdhsa_float_denorm_mode_32 3
		.amdhsa_float_denorm_mode_16_64 3
		.amdhsa_dx10_clamp 1
		.amdhsa_ieee_mode 1
		.amdhsa_fp16_overflow 0
		.amdhsa_workgroup_processor_mode 1
		.amdhsa_memory_ordered 1
		.amdhsa_forward_progress 0
		.amdhsa_shared_vgpr_count 0
		.amdhsa_exception_fp_ieee_invalid_op 0
		.amdhsa_exception_fp_denorm_src 0
		.amdhsa_exception_fp_ieee_div_zero 0
		.amdhsa_exception_fp_ieee_overflow 0
		.amdhsa_exception_fp_ieee_underflow 0
		.amdhsa_exception_fp_ieee_inexact 0
		.amdhsa_exception_int_div_zero 0
	.end_amdhsa_kernel
	.section	.text._Z43exclusive_scan_prefix_callback_array_kernelILj65ELj5ELN6hipcub18BlockScanAlgorithmE1E6__halfEvPT2_S4_S3_,"axG",@progbits,_Z43exclusive_scan_prefix_callback_array_kernelILj65ELj5ELN6hipcub18BlockScanAlgorithmE1E6__halfEvPT2_S4_S3_,comdat
.Lfunc_end269:
	.size	_Z43exclusive_scan_prefix_callback_array_kernelILj65ELj5ELN6hipcub18BlockScanAlgorithmE1E6__halfEvPT2_S4_S3_, .Lfunc_end269-_Z43exclusive_scan_prefix_callback_array_kernelILj65ELj5ELN6hipcub18BlockScanAlgorithmE1E6__halfEvPT2_S4_S3_
                                        ; -- End function
	.section	.AMDGPU.csdata,"",@progbits
; Kernel info:
; codeLenInByte = 1004
; NumSgprs: 18
; NumVgprs: 26
; ScratchSize: 0
; MemoryBound: 0
; FloatMode: 240
; IeeeMode: 1
; LDSByteSize: 192 bytes/workgroup (compile time only)
; SGPRBlocks: 2
; VGPRBlocks: 3
; NumSGPRsForWavesPerEU: 18
; NumVGPRsForWavesPerEU: 26
; Occupancy: 16
; WaveLimiterHint : 0
; COMPUTE_PGM_RSRC2:SCRATCH_EN: 0
; COMPUTE_PGM_RSRC2:USER_SGPR: 15
; COMPUTE_PGM_RSRC2:TRAP_HANDLER: 0
; COMPUTE_PGM_RSRC2:TGID_X_EN: 1
; COMPUTE_PGM_RSRC2:TGID_Y_EN: 0
; COMPUTE_PGM_RSRC2:TGID_Z_EN: 0
; COMPUTE_PGM_RSRC2:TIDIG_COMP_CNT: 0
	.section	.text._Z43exclusive_scan_prefix_callback_array_kernelILj255ELj15ELN6hipcub18BlockScanAlgorithmE1EfEvPT2_S3_S2_,"axG",@progbits,_Z43exclusive_scan_prefix_callback_array_kernelILj255ELj15ELN6hipcub18BlockScanAlgorithmE1EfEvPT2_S3_S2_,comdat
	.protected	_Z43exclusive_scan_prefix_callback_array_kernelILj255ELj15ELN6hipcub18BlockScanAlgorithmE1EfEvPT2_S3_S2_ ; -- Begin function _Z43exclusive_scan_prefix_callback_array_kernelILj255ELj15ELN6hipcub18BlockScanAlgorithmE1EfEvPT2_S3_S2_
	.globl	_Z43exclusive_scan_prefix_callback_array_kernelILj255ELj15ELN6hipcub18BlockScanAlgorithmE1EfEvPT2_S3_S2_
	.p2align	8
	.type	_Z43exclusive_scan_prefix_callback_array_kernelILj255ELj15ELN6hipcub18BlockScanAlgorithmE1EfEvPT2_S3_S2_,@function
_Z43exclusive_scan_prefix_callback_array_kernelILj255ELj15ELN6hipcub18BlockScanAlgorithmE1EfEvPT2_S3_S2_: ; @_Z43exclusive_scan_prefix_callback_array_kernelILj255ELj15ELN6hipcub18BlockScanAlgorithmE1EfEvPT2_S3_S2_
; %bb.0:
	s_mov_b32 s8, s15
	s_load_b128 s[4:7], s[0:1], 0x0
	v_mad_u64_u32 v[1:2], null, 0xff, s8, v[0:1]
	v_lshrrev_b32_e32 v47, 5, v0
	s_delay_alu instid0(VALU_DEP_1) | instskip(NEXT) | instid1(VALU_DEP_3)
	v_add_lshl_u32 v47, v47, v0, 2
	v_mul_lo_u32 v27, v1, 15
	s_delay_alu instid0(VALU_DEP_1) | instskip(NEXT) | instid1(VALU_DEP_1)
	v_dual_mov_b32 v28, 0 :: v_dual_add_nc_u32 v1, 1, v27
	v_dual_mov_b32 v2, v28 :: v_dual_add_nc_u32 v3, 2, v27
	v_lshlrev_b64 v[9:10], 2, v[27:28]
	v_dual_mov_b32 v4, v28 :: v_dual_add_nc_u32 v5, 3, v27
	s_delay_alu instid0(VALU_DEP_3) | instskip(SKIP_1) | instid1(VALU_DEP_3)
	v_lshlrev_b64 v[11:12], 2, v[1:2]
	v_dual_mov_b32 v6, v28 :: v_dual_add_nc_u32 v7, 4, v27
	v_lshlrev_b64 v[13:14], 2, v[3:4]
	s_waitcnt lgkmcnt(0)
	v_add_co_u32 v1, vcc_lo, s4, v9
	v_mov_b32_e32 v8, v28
	v_add_co_ci_u32_e32 v2, vcc_lo, s5, v10, vcc_lo
	v_lshlrev_b64 v[15:16], 2, v[5:6]
	v_add_co_u32 v3, vcc_lo, s4, v11
	v_add_nc_u32_e32 v11, 5, v27
	v_add_co_ci_u32_e32 v4, vcc_lo, s5, v12, vcc_lo
	v_lshlrev_b64 v[17:18], 2, v[7:8]
	v_add_co_u32 v5, vcc_lo, s4, v13
	v_add_co_ci_u32_e32 v6, vcc_lo, s5, v14, vcc_lo
	v_add_co_u32 v7, vcc_lo, s4, v15
	v_add_co_ci_u32_e32 v8, vcc_lo, s5, v16, vcc_lo
	v_add_co_u32 v9, vcc_lo, s4, v17
	v_dual_mov_b32 v12, v28 :: v_dual_add_nc_u32 v13, 6, v27
	v_add_co_ci_u32_e32 v10, vcc_lo, s5, v18, vcc_lo
	s_clause 0x4
	global_load_b32 v31, v[1:2], off
	global_load_b32 v32, v[3:4], off
	;; [unrolled: 1-line block ×5, first 2 shown]
	v_dual_mov_b32 v14, v28 :: v_dual_add_nc_u32 v15, 7, v27
	v_lshlrev_b64 v[11:12], 2, v[11:12]
	v_dual_mov_b32 v16, v28 :: v_dual_add_nc_u32 v17, 8, v27
	s_delay_alu instid0(VALU_DEP_3) | instskip(SKIP_1) | instid1(VALU_DEP_4)
	v_lshlrev_b64 v[13:14], 2, v[13:14]
	v_dual_mov_b32 v18, v28 :: v_dual_add_nc_u32 v19, 9, v27
	v_add_co_u32 v11, vcc_lo, s4, v11
	s_delay_alu instid0(VALU_DEP_4)
	v_lshlrev_b64 v[15:16], 2, v[15:16]
	v_add_co_ci_u32_e32 v12, vcc_lo, s5, v12, vcc_lo
	v_add_co_u32 v13, vcc_lo, s4, v13
	v_add_co_ci_u32_e32 v14, vcc_lo, s5, v14, vcc_lo
	v_dual_mov_b32 v20, v28 :: v_dual_add_nc_u32 v21, 10, v27
	v_add_co_u32 v15, vcc_lo, s4, v15
	global_load_b32 v36, v[11:12], off
	v_lshlrev_b64 v[17:18], 2, v[17:18]
	v_add_co_ci_u32_e32 v16, vcc_lo, s5, v16, vcc_lo
	v_lshlrev_b64 v[19:20], 2, v[19:20]
	s_clause 0x1
	global_load_b32 v37, v[13:14], off
	global_load_b32 v38, v[15:16], off
	v_add_co_u32 v17, vcc_lo, s4, v17
	v_dual_mov_b32 v22, v28 :: v_dual_add_nc_u32 v23, 11, v27
	v_add_co_ci_u32_e32 v18, vcc_lo, s5, v18, vcc_lo
	v_add_co_u32 v19, vcc_lo, s4, v19
	v_dual_mov_b32 v24, v28 :: v_dual_add_nc_u32 v25, 12, v27
	v_add_co_ci_u32_e32 v20, vcc_lo, s5, v20, vcc_lo
	v_lshlrev_b64 v[21:22], 2, v[21:22]
	v_dual_mov_b32 v26, v28 :: v_dual_add_nc_u32 v29, 13, v27
	s_clause 0x1
	global_load_b32 v39, v[17:18], off
	global_load_b32 v40, v[19:20], off
	v_lshlrev_b64 v[23:24], 2, v[23:24]
	v_dual_mov_b32 v30, v28 :: v_dual_add_nc_u32 v27, 14, v27
	v_add_co_u32 v21, vcc_lo, s4, v21
	v_lshlrev_b64 v[25:26], 2, v[25:26]
	v_add_co_ci_u32_e32 v22, vcc_lo, s5, v22, vcc_lo
	v_add_co_u32 v23, vcc_lo, s4, v23
	v_add_co_ci_u32_e32 v24, vcc_lo, s5, v24, vcc_lo
	s_delay_alu instid0(VALU_DEP_4)
	v_add_co_u32 v25, vcc_lo, s4, v25
	global_load_b32 v41, v[21:22], off
	v_lshlrev_b64 v[29:30], 2, v[29:30]
	v_add_co_ci_u32_e32 v26, vcc_lo, s5, v26, vcc_lo
	v_lshlrev_b64 v[45:46], 2, v[27:28]
	s_clause 0x1
	global_load_b32 v43, v[23:24], off
	global_load_b32 v44, v[25:26], off
	v_add_co_u32 v27, vcc_lo, s4, v29
	v_add_co_ci_u32_e32 v28, vcc_lo, s5, v30, vcc_lo
	v_add_co_u32 v29, vcc_lo, s4, v45
	v_add_co_ci_u32_e32 v30, vcc_lo, s5, v46, vcc_lo
	s_clause 0x1
	global_load_b32 v42, v[27:28], off
	global_load_b32 v45, v[29:30], off
	v_cmp_gt_u32_e32 vcc_lo, 32, v0
	s_waitcnt vmcnt(13)
	v_add_f32_e32 v46, v31, v32
	s_waitcnt vmcnt(12)
	s_delay_alu instid0(VALU_DEP_1) | instskip(SKIP_1) | instid1(VALU_DEP_1)
	v_add_f32_e32 v46, v33, v46
	s_waitcnt vmcnt(11)
	v_add_f32_e32 v46, v34, v46
	s_waitcnt vmcnt(10)
	s_delay_alu instid0(VALU_DEP_1) | instskip(SKIP_1) | instid1(VALU_DEP_1)
	v_add_f32_e32 v46, v35, v46
	;; [unrolled: 5-line block ×6, first 2 shown]
	s_waitcnt vmcnt(1)
	v_add_f32_e32 v46, v42, v46
	s_waitcnt vmcnt(0)
	s_delay_alu instid0(VALU_DEP_1)
	v_add_f32_e32 v45, v45, v46
	ds_store_b32 v47, v45
	s_waitcnt lgkmcnt(0)
	s_barrier
	buffer_gl0_inv
	s_and_saveexec_b32 s3, vcc_lo
	s_cbranch_execz .LBB270_2
; %bb.1:
	v_and_b32_e32 v46, 0xfc, v0
	v_mbcnt_lo_u32_b32 v56, -1, 0
	s_delay_alu instid0(VALU_DEP_2) | instskip(NEXT) | instid1(VALU_DEP_2)
	v_lshl_or_b32 v54, v0, 5, v46
	v_and_b32_e32 v59, 16, v56
	ds_load_2addr_b32 v[46:47], v54 offset1:1
	ds_load_2addr_b32 v[48:49], v54 offset0:2 offset1:3
	ds_load_2addr_b32 v[50:51], v54 offset0:4 offset1:5
	;; [unrolled: 1-line block ×3, first 2 shown]
	v_and_b32_e32 v58, 15, v56
	s_delay_alu instid0(VALU_DEP_1) | instskip(SKIP_3) | instid1(VALU_DEP_1)
	v_cmp_eq_u32_e64 s2, 0, v58
	s_waitcnt lgkmcnt(3)
	v_add_f32_e32 v55, v46, v47
	s_waitcnt lgkmcnt(2)
	v_add_f32_e32 v55, v55, v48
	s_delay_alu instid0(VALU_DEP_1) | instskip(SKIP_1) | instid1(VALU_DEP_1)
	v_add_f32_e32 v55, v55, v49
	s_waitcnt lgkmcnt(1)
	v_add_f32_e32 v55, v55, v50
	s_delay_alu instid0(VALU_DEP_1) | instskip(SKIP_1) | instid1(VALU_DEP_1)
	v_add_f32_e32 v55, v55, v51
	s_waitcnt lgkmcnt(0)
	v_add_f32_e32 v55, v55, v52
	s_delay_alu instid0(VALU_DEP_1) | instskip(NEXT) | instid1(VALU_DEP_1)
	v_add_f32_e32 v55, v55, v53
	v_mov_b32_dpp v57, v55 row_shr:1 row_mask:0xf bank_mask:0xf
	s_delay_alu instid0(VALU_DEP_1) | instskip(NEXT) | instid1(VALU_DEP_1)
	v_add_f32_e32 v57, v55, v57
	v_cndmask_b32_e64 v55, v57, v55, s2
	v_cmp_lt_u32_e64 s2, 1, v58
	s_delay_alu instid0(VALU_DEP_2) | instskip(NEXT) | instid1(VALU_DEP_1)
	v_mov_b32_dpp v57, v55 row_shr:2 row_mask:0xf bank_mask:0xf
	v_add_f32_e32 v57, v55, v57
	s_delay_alu instid0(VALU_DEP_1) | instskip(SKIP_1) | instid1(VALU_DEP_2)
	v_cndmask_b32_e64 v55, v55, v57, s2
	v_cmp_lt_u32_e64 s2, 3, v58
	v_mov_b32_dpp v57, v55 row_shr:4 row_mask:0xf bank_mask:0xf
	s_delay_alu instid0(VALU_DEP_1) | instskip(NEXT) | instid1(VALU_DEP_1)
	v_add_f32_e32 v57, v55, v57
	v_cndmask_b32_e64 v55, v55, v57, s2
	v_cmp_lt_u32_e64 s2, 7, v58
	v_add_nc_u32_e32 v58, -1, v56
	s_delay_alu instid0(VALU_DEP_3) | instskip(NEXT) | instid1(VALU_DEP_1)
	v_mov_b32_dpp v57, v55 row_shr:8 row_mask:0xf bank_mask:0xf
	v_add_f32_e32 v57, v55, v57
	s_delay_alu instid0(VALU_DEP_1) | instskip(NEXT) | instid1(VALU_DEP_4)
	v_cndmask_b32_e64 v55, v55, v57, s2
	v_cmp_gt_i32_e64 s2, 0, v58
	ds_swizzle_b32 v57, v55 offset:swizzle(BROADCAST,32,15)
	v_cndmask_b32_e64 v56, v58, v56, s2
	v_cmp_eq_u32_e64 s2, 0, v59
	s_waitcnt lgkmcnt(0)
	s_delay_alu instid0(VALU_DEP_2) | instskip(NEXT) | instid1(VALU_DEP_1)
	v_dual_add_f32 v57, v55, v57 :: v_dual_lshlrev_b32 v56, 2, v56
	v_cndmask_b32_e64 v55, v57, v55, s2
	v_cmp_eq_u32_e64 s2, 0, v0
	ds_bpermute_b32 v55, v56, v55
	s_waitcnt lgkmcnt(0)
	v_add_f32_e32 v46, v46, v55
	s_delay_alu instid0(VALU_DEP_1) | instskip(NEXT) | instid1(VALU_DEP_1)
	v_cndmask_b32_e64 v46, v46, v45, s2
	v_add_f32_e32 v47, v47, v46
	s_delay_alu instid0(VALU_DEP_1) | instskip(NEXT) | instid1(VALU_DEP_1)
	v_add_f32_e32 v48, v48, v47
	v_add_f32_e32 v49, v49, v48
	s_delay_alu instid0(VALU_DEP_1) | instskip(NEXT) | instid1(VALU_DEP_1)
	v_add_f32_e32 v50, v50, v49
	;; [unrolled: 3-line block ×3, first 2 shown]
	v_add_f32_e32 v53, v53, v52
	ds_store_2addr_b32 v54, v46, v47 offset1:1
	ds_store_2addr_b32 v54, v48, v49 offset0:2 offset1:3
	ds_store_2addr_b32 v54, v50, v51 offset0:4 offset1:5
	;; [unrolled: 1-line block ×3, first 2 shown]
.LBB270_2:
	s_or_b32 exec_lo, exec_lo, s3
	v_cmp_eq_u32_e64 s2, 0, v0
	s_mov_b32 s4, exec_lo
	s_waitcnt lgkmcnt(0)
	s_barrier
	buffer_gl0_inv
	v_cmpx_ne_u32_e32 0, v0
	s_cbranch_execz .LBB270_4
; %bb.3:
	v_add_nc_u32_e32 v0, -1, v0
	s_delay_alu instid0(VALU_DEP_1) | instskip(NEXT) | instid1(VALU_DEP_1)
	v_lshrrev_b32_e32 v45, 5, v0
	v_add_lshl_u32 v0, v45, v0, 2
	ds_load_b32 v45, v0
.LBB270_4:
	s_or_b32 exec_lo, exec_lo, s4
	s_load_b32 s1, s[0:1], 0x10
	s_waitcnt lgkmcnt(0)
	v_mov_b32_e32 v0, s1
	s_and_saveexec_b32 s0, vcc_lo
	s_cbranch_execz .LBB270_8
; %bb.5:
	v_mov_b32_e32 v46, 0
	ds_load_b32 v0, v46 offset:1044
	s_and_saveexec_b32 s3, s2
	s_cbranch_execz .LBB270_7
; %bb.6:
	v_mov_b32_e32 v47, s1
	ds_store_b32 v46, v47
.LBB270_7:
	s_or_b32 exec_lo, exec_lo, s3
	s_waitcnt lgkmcnt(0)
	v_add_f32_e32 v0, s1, v0
.LBB270_8:
	s_or_b32 exec_lo, exec_lo, s0
	v_mov_b32_e32 v46, 0
	s_barrier
	buffer_gl0_inv
	ds_load_b32 v47, v46
	s_waitcnt lgkmcnt(0)
	v_add_f32_e32 v45, v45, v47
	s_delay_alu instid0(VALU_DEP_1) | instskip(NEXT) | instid1(VALU_DEP_1)
	v_cndmask_b32_e64 v45, v45, v47, s2
	v_add_f32_e32 v31, v31, v45
	s_delay_alu instid0(VALU_DEP_1) | instskip(NEXT) | instid1(VALU_DEP_1)
	v_add_f32_e32 v32, v32, v31
	v_add_f32_e32 v33, v33, v32
	s_delay_alu instid0(VALU_DEP_1) | instskip(NEXT) | instid1(VALU_DEP_1)
	v_add_f32_e32 v34, v34, v33
	;; [unrolled: 3-line block ×3, first 2 shown]
	v_add_f32_e32 v37, v37, v36
	s_delay_alu instid0(VALU_DEP_1)
	v_add_f32_e32 v38, v38, v37
	s_clause 0x7
	global_store_b32 v[1:2], v45, off
	global_store_b32 v[3:4], v31, off
	;; [unrolled: 1-line block ×8, first 2 shown]
	v_add_f32_e32 v39, v39, v38
	s_delay_alu instid0(VALU_DEP_1) | instskip(NEXT) | instid1(VALU_DEP_1)
	v_add_f32_e32 v40, v40, v39
	v_add_f32_e32 v41, v41, v40
	s_delay_alu instid0(VALU_DEP_1) | instskip(NEXT) | instid1(VALU_DEP_1)
	v_add_f32_e32 v43, v43, v41
	v_add_f32_e32 v44, v44, v43
	s_delay_alu instid0(VALU_DEP_1)
	v_add_f32_e32 v1, v42, v44
	s_clause 0x6
	global_store_b32 v[17:18], v38, off
	global_store_b32 v[19:20], v39, off
	;; [unrolled: 1-line block ×7, first 2 shown]
	s_and_saveexec_b32 s0, s2
	s_cbranch_execz .LBB270_10
; %bb.9:
	s_mov_b32 s9, 0
	s_delay_alu instid0(SALU_CYCLE_1) | instskip(NEXT) | instid1(SALU_CYCLE_1)
	s_lshl_b64 s[0:1], s[8:9], 2
	s_add_u32 s0, s6, s0
	s_addc_u32 s1, s7, s1
	global_store_b32 v46, v0, s[0:1]
.LBB270_10:
	s_nop 0
	s_sendmsg sendmsg(MSG_DEALLOC_VGPRS)
	s_endpgm
	.section	.rodata,"a",@progbits
	.p2align	6, 0x0
	.amdhsa_kernel _Z43exclusive_scan_prefix_callback_array_kernelILj255ELj15ELN6hipcub18BlockScanAlgorithmE1EfEvPT2_S3_S2_
		.amdhsa_group_segment_fixed_size 1056
		.amdhsa_private_segment_fixed_size 0
		.amdhsa_kernarg_size 20
		.amdhsa_user_sgpr_count 15
		.amdhsa_user_sgpr_dispatch_ptr 0
		.amdhsa_user_sgpr_queue_ptr 0
		.amdhsa_user_sgpr_kernarg_segment_ptr 1
		.amdhsa_user_sgpr_dispatch_id 0
		.amdhsa_user_sgpr_private_segment_size 0
		.amdhsa_wavefront_size32 1
		.amdhsa_uses_dynamic_stack 0
		.amdhsa_enable_private_segment 0
		.amdhsa_system_sgpr_workgroup_id_x 1
		.amdhsa_system_sgpr_workgroup_id_y 0
		.amdhsa_system_sgpr_workgroup_id_z 0
		.amdhsa_system_sgpr_workgroup_info 0
		.amdhsa_system_vgpr_workitem_id 0
		.amdhsa_next_free_vgpr 60
		.amdhsa_next_free_sgpr 16
		.amdhsa_reserve_vcc 1
		.amdhsa_float_round_mode_32 0
		.amdhsa_float_round_mode_16_64 0
		.amdhsa_float_denorm_mode_32 3
		.amdhsa_float_denorm_mode_16_64 3
		.amdhsa_dx10_clamp 1
		.amdhsa_ieee_mode 1
		.amdhsa_fp16_overflow 0
		.amdhsa_workgroup_processor_mode 1
		.amdhsa_memory_ordered 1
		.amdhsa_forward_progress 0
		.amdhsa_shared_vgpr_count 0
		.amdhsa_exception_fp_ieee_invalid_op 0
		.amdhsa_exception_fp_denorm_src 0
		.amdhsa_exception_fp_ieee_div_zero 0
		.amdhsa_exception_fp_ieee_overflow 0
		.amdhsa_exception_fp_ieee_underflow 0
		.amdhsa_exception_fp_ieee_inexact 0
		.amdhsa_exception_int_div_zero 0
	.end_amdhsa_kernel
	.section	.text._Z43exclusive_scan_prefix_callback_array_kernelILj255ELj15ELN6hipcub18BlockScanAlgorithmE1EfEvPT2_S3_S2_,"axG",@progbits,_Z43exclusive_scan_prefix_callback_array_kernelILj255ELj15ELN6hipcub18BlockScanAlgorithmE1EfEvPT2_S3_S2_,comdat
.Lfunc_end270:
	.size	_Z43exclusive_scan_prefix_callback_array_kernelILj255ELj15ELN6hipcub18BlockScanAlgorithmE1EfEvPT2_S3_S2_, .Lfunc_end270-_Z43exclusive_scan_prefix_callback_array_kernelILj255ELj15ELN6hipcub18BlockScanAlgorithmE1EfEvPT2_S3_S2_
                                        ; -- End function
	.section	.AMDGPU.csdata,"",@progbits
; Kernel info:
; codeLenInByte = 1680
; NumSgprs: 18
; NumVgprs: 60
; ScratchSize: 0
; MemoryBound: 0
; FloatMode: 240
; IeeeMode: 1
; LDSByteSize: 1056 bytes/workgroup (compile time only)
; SGPRBlocks: 2
; VGPRBlocks: 7
; NumSGPRsForWavesPerEU: 18
; NumVGPRsForWavesPerEU: 60
; Occupancy: 16
; WaveLimiterHint : 0
; COMPUTE_PGM_RSRC2:SCRATCH_EN: 0
; COMPUTE_PGM_RSRC2:USER_SGPR: 15
; COMPUTE_PGM_RSRC2:TRAP_HANDLER: 0
; COMPUTE_PGM_RSRC2:TGID_X_EN: 1
; COMPUTE_PGM_RSRC2:TGID_Y_EN: 0
; COMPUTE_PGM_RSRC2:TGID_Z_EN: 0
; COMPUTE_PGM_RSRC2:TIDIG_COMP_CNT: 0
	.section	.text._Z43exclusive_scan_prefix_callback_array_kernelILj162ELj7ELN6hipcub18BlockScanAlgorithmE1EfEvPT2_S3_S2_,"axG",@progbits,_Z43exclusive_scan_prefix_callback_array_kernelILj162ELj7ELN6hipcub18BlockScanAlgorithmE1EfEvPT2_S3_S2_,comdat
	.protected	_Z43exclusive_scan_prefix_callback_array_kernelILj162ELj7ELN6hipcub18BlockScanAlgorithmE1EfEvPT2_S3_S2_ ; -- Begin function _Z43exclusive_scan_prefix_callback_array_kernelILj162ELj7ELN6hipcub18BlockScanAlgorithmE1EfEvPT2_S3_S2_
	.globl	_Z43exclusive_scan_prefix_callback_array_kernelILj162ELj7ELN6hipcub18BlockScanAlgorithmE1EfEvPT2_S3_S2_
	.p2align	8
	.type	_Z43exclusive_scan_prefix_callback_array_kernelILj162ELj7ELN6hipcub18BlockScanAlgorithmE1EfEvPT2_S3_S2_,@function
_Z43exclusive_scan_prefix_callback_array_kernelILj162ELj7ELN6hipcub18BlockScanAlgorithmE1EfEvPT2_S3_S2_: ; @_Z43exclusive_scan_prefix_callback_array_kernelILj162ELj7ELN6hipcub18BlockScanAlgorithmE1EfEvPT2_S3_S2_
; %bb.0:
	s_mov_b32 s8, s15
	s_load_b128 s[4:7], s[0:1], 0x0
	v_mad_u64_u32 v[1:2], null, 0xa2, s8, v[0:1]
	s_delay_alu instid0(VALU_DEP_1) | instskip(NEXT) | instid1(VALU_DEP_1)
	v_mul_lo_u32 v11, v1, 7
	v_dual_mov_b32 v12, 0 :: v_dual_add_nc_u32 v1, 1, v11
	s_delay_alu instid0(VALU_DEP_1) | instskip(SKIP_2) | instid1(VALU_DEP_3)
	v_dual_mov_b32 v2, v12 :: v_dual_add_nc_u32 v3, 2, v11
	v_lshlrev_b64 v[9:10], 2, v[11:12]
	v_dual_mov_b32 v4, v12 :: v_dual_add_nc_u32 v5, 3, v11
	v_lshlrev_b64 v[13:14], 2, v[1:2]
	v_dual_mov_b32 v6, v12 :: v_dual_add_nc_u32 v7, 4, v11
	s_waitcnt lgkmcnt(0)
	s_delay_alu instid0(VALU_DEP_4)
	v_add_co_u32 v1, vcc_lo, s4, v9
	v_lshlrev_b64 v[15:16], 2, v[3:4]
	v_add_co_ci_u32_e32 v2, vcc_lo, s5, v10, vcc_lo
	v_mov_b32_e32 v8, v12
	v_add_co_u32 v3, vcc_lo, s4, v13
	v_add_nc_u32_e32 v13, 5, v11
	v_lshlrev_b64 v[17:18], 2, v[5:6]
	v_add_co_ci_u32_e32 v4, vcc_lo, s5, v14, vcc_lo
	v_add_co_u32 v5, vcc_lo, s4, v15
	v_lshlrev_b64 v[19:20], 2, v[7:8]
	v_add_co_ci_u32_e32 v6, vcc_lo, s5, v16, vcc_lo
	s_clause 0x1
	global_load_b32 v15, v[1:2], off
	global_load_b32 v16, v[3:4], off
	v_dual_mov_b32 v14, v12 :: v_dual_add_nc_u32 v11, 6, v11
	v_add_co_u32 v7, vcc_lo, s4, v17
	v_add_co_ci_u32_e32 v8, vcc_lo, s5, v18, vcc_lo
	v_add_co_u32 v9, vcc_lo, s4, v19
	global_load_b32 v17, v[5:6], off
	v_lshlrev_b64 v[13:14], 2, v[13:14]
	v_add_co_ci_u32_e32 v10, vcc_lo, s5, v20, vcc_lo
	v_lshlrev_b64 v[20:21], 2, v[11:12]
	s_clause 0x1
	global_load_b32 v18, v[7:8], off
	global_load_b32 v19, v[9:10], off
	v_add_co_u32 v11, vcc_lo, s4, v13
	v_add_co_ci_u32_e32 v12, vcc_lo, s5, v14, vcc_lo
	v_add_co_u32 v13, vcc_lo, s4, v20
	v_add_co_ci_u32_e32 v14, vcc_lo, s5, v21, vcc_lo
	s_clause 0x1
	global_load_b32 v20, v[11:12], off
	global_load_b32 v21, v[13:14], off
	v_cmp_gt_u32_e32 vcc_lo, 32, v0
	s_waitcnt vmcnt(5)
	v_add_f32_e32 v22, v15, v16
	s_waitcnt vmcnt(4)
	s_delay_alu instid0(VALU_DEP_1) | instskip(SKIP_1) | instid1(VALU_DEP_1)
	v_add_f32_e32 v22, v17, v22
	s_waitcnt vmcnt(3)
	v_add_f32_e32 v22, v18, v22
	s_waitcnt vmcnt(2)
	s_delay_alu instid0(VALU_DEP_1) | instskip(SKIP_1) | instid1(VALU_DEP_1)
	v_add_f32_e32 v22, v19, v22
	s_waitcnt vmcnt(1)
	v_dual_add_f32 v23, v20, v22 :: v_dual_lshlrev_b32 v22, 2, v0
	s_waitcnt vmcnt(0)
	s_delay_alu instid0(VALU_DEP_1)
	v_add_f32_e32 v21, v21, v23
	ds_store_b32 v22, v21
	s_waitcnt lgkmcnt(0)
	s_barrier
	buffer_gl0_inv
	s_and_saveexec_b32 s3, vcc_lo
	s_cbranch_execz .LBB271_2
; %bb.1:
	v_mul_u32_u24_e32 v23, 6, v0
	v_mbcnt_lo_u32_b32 v31, -1, 0
	s_delay_alu instid0(VALU_DEP_2) | instskip(NEXT) | instid1(VALU_DEP_2)
	v_lshlrev_b32_e32 v29, 2, v23
	v_and_b32_e32 v34, 16, v31
	ds_load_2addr_b32 v[23:24], v29 offset1:1
	ds_load_2addr_b32 v[25:26], v29 offset0:2 offset1:3
	ds_load_2addr_b32 v[27:28], v29 offset0:4 offset1:5
	v_and_b32_e32 v33, 15, v31
	s_delay_alu instid0(VALU_DEP_1) | instskip(SKIP_3) | instid1(VALU_DEP_1)
	v_cmp_eq_u32_e64 s2, 0, v33
	s_waitcnt lgkmcnt(2)
	v_add_f32_e32 v30, v23, v24
	s_waitcnt lgkmcnt(1)
	v_add_f32_e32 v30, v30, v25
	s_delay_alu instid0(VALU_DEP_1) | instskip(SKIP_1) | instid1(VALU_DEP_1)
	v_add_f32_e32 v30, v30, v26
	s_waitcnt lgkmcnt(0)
	v_add_f32_e32 v30, v30, v27
	s_delay_alu instid0(VALU_DEP_1) | instskip(NEXT) | instid1(VALU_DEP_1)
	v_add_f32_e32 v30, v30, v28
	v_mov_b32_dpp v32, v30 row_shr:1 row_mask:0xf bank_mask:0xf
	s_delay_alu instid0(VALU_DEP_1) | instskip(NEXT) | instid1(VALU_DEP_1)
	v_add_f32_e32 v32, v30, v32
	v_cndmask_b32_e64 v30, v32, v30, s2
	v_cmp_lt_u32_e64 s2, 1, v33
	s_delay_alu instid0(VALU_DEP_2) | instskip(NEXT) | instid1(VALU_DEP_1)
	v_mov_b32_dpp v32, v30 row_shr:2 row_mask:0xf bank_mask:0xf
	v_add_f32_e32 v32, v30, v32
	s_delay_alu instid0(VALU_DEP_1) | instskip(SKIP_1) | instid1(VALU_DEP_2)
	v_cndmask_b32_e64 v30, v30, v32, s2
	v_cmp_lt_u32_e64 s2, 3, v33
	v_mov_b32_dpp v32, v30 row_shr:4 row_mask:0xf bank_mask:0xf
	s_delay_alu instid0(VALU_DEP_1) | instskip(NEXT) | instid1(VALU_DEP_1)
	v_add_f32_e32 v32, v30, v32
	v_cndmask_b32_e64 v30, v30, v32, s2
	v_cmp_lt_u32_e64 s2, 7, v33
	v_add_nc_u32_e32 v33, -1, v31
	s_delay_alu instid0(VALU_DEP_3) | instskip(NEXT) | instid1(VALU_DEP_1)
	v_mov_b32_dpp v32, v30 row_shr:8 row_mask:0xf bank_mask:0xf
	v_add_f32_e32 v32, v30, v32
	s_delay_alu instid0(VALU_DEP_1) | instskip(NEXT) | instid1(VALU_DEP_4)
	v_cndmask_b32_e64 v30, v30, v32, s2
	v_cmp_gt_i32_e64 s2, 0, v33
	ds_swizzle_b32 v32, v30 offset:swizzle(BROADCAST,32,15)
	v_cndmask_b32_e64 v31, v33, v31, s2
	v_cmp_eq_u32_e64 s2, 0, v34
	s_waitcnt lgkmcnt(0)
	s_delay_alu instid0(VALU_DEP_2) | instskip(NEXT) | instid1(VALU_DEP_1)
	v_dual_add_f32 v32, v30, v32 :: v_dual_lshlrev_b32 v31, 2, v31
	v_cndmask_b32_e64 v30, v32, v30, s2
	v_cmp_eq_u32_e64 s2, 0, v0
	ds_bpermute_b32 v30, v31, v30
	s_waitcnt lgkmcnt(0)
	v_add_f32_e32 v23, v23, v30
	s_delay_alu instid0(VALU_DEP_1) | instskip(NEXT) | instid1(VALU_DEP_1)
	v_cndmask_b32_e64 v23, v23, v21, s2
	v_add_f32_e32 v24, v24, v23
	s_delay_alu instid0(VALU_DEP_1) | instskip(NEXT) | instid1(VALU_DEP_1)
	v_add_f32_e32 v25, v25, v24
	v_add_f32_e32 v26, v26, v25
	s_delay_alu instid0(VALU_DEP_1) | instskip(NEXT) | instid1(VALU_DEP_1)
	v_add_f32_e32 v27, v27, v26
	v_add_f32_e32 v28, v28, v27
	ds_store_2addr_b32 v29, v23, v24 offset1:1
	ds_store_2addr_b32 v29, v25, v26 offset0:2 offset1:3
	ds_store_2addr_b32 v29, v27, v28 offset0:4 offset1:5
.LBB271_2:
	s_or_b32 exec_lo, exec_lo, s3
	v_cmp_eq_u32_e64 s2, 0, v0
	s_mov_b32 s4, exec_lo
	s_waitcnt lgkmcnt(0)
	s_barrier
	buffer_gl0_inv
	v_cmpx_ne_u32_e32 0, v0
	s_cbranch_execz .LBB271_4
; %bb.3:
	v_add_nc_u32_e32 v0, -4, v22
	ds_load_b32 v21, v0
.LBB271_4:
	s_or_b32 exec_lo, exec_lo, s4
	s_load_b32 s1, s[0:1], 0x10
	s_waitcnt lgkmcnt(0)
	v_mov_b32_e32 v0, s1
	s_and_saveexec_b32 s0, vcc_lo
	s_cbranch_execz .LBB271_8
; %bb.5:
	v_mov_b32_e32 v22, 0
	ds_load_b32 v0, v22 offset:644
	s_and_saveexec_b32 s3, s2
	s_cbranch_execz .LBB271_7
; %bb.6:
	v_mov_b32_e32 v23, s1
	ds_store_b32 v22, v23
.LBB271_7:
	s_or_b32 exec_lo, exec_lo, s3
	s_waitcnt lgkmcnt(0)
	v_add_f32_e32 v0, s1, v0
.LBB271_8:
	s_or_b32 exec_lo, exec_lo, s0
	v_mov_b32_e32 v22, 0
	s_barrier
	buffer_gl0_inv
	ds_load_b32 v23, v22
	s_waitcnt lgkmcnt(0)
	v_add_f32_e32 v21, v21, v23
	s_delay_alu instid0(VALU_DEP_1) | instskip(NEXT) | instid1(VALU_DEP_1)
	v_cndmask_b32_e64 v21, v21, v23, s2
	v_add_f32_e32 v15, v15, v21
	s_delay_alu instid0(VALU_DEP_1) | instskip(NEXT) | instid1(VALU_DEP_1)
	v_add_f32_e32 v16, v16, v15
	v_add_f32_e32 v17, v17, v16
	s_delay_alu instid0(VALU_DEP_1) | instskip(NEXT) | instid1(VALU_DEP_1)
	v_add_f32_e32 v18, v18, v17
	v_add_f32_e32 v19, v19, v18
	s_delay_alu instid0(VALU_DEP_1)
	v_add_f32_e32 v20, v20, v19
	s_clause 0x6
	global_store_b32 v[1:2], v21, off
	global_store_b32 v[3:4], v15, off
	;; [unrolled: 1-line block ×7, first 2 shown]
	s_and_saveexec_b32 s0, s2
	s_cbranch_execz .LBB271_10
; %bb.9:
	s_mov_b32 s9, 0
	s_delay_alu instid0(SALU_CYCLE_1) | instskip(NEXT) | instid1(SALU_CYCLE_1)
	s_lshl_b64 s[0:1], s[8:9], 2
	s_add_u32 s0, s6, s0
	s_addc_u32 s1, s7, s1
	global_store_b32 v22, v0, s[0:1]
.LBB271_10:
	s_nop 0
	s_sendmsg sendmsg(MSG_DEALLOC_VGPRS)
	s_endpgm
	.section	.rodata,"a",@progbits
	.p2align	6, 0x0
	.amdhsa_kernel _Z43exclusive_scan_prefix_callback_array_kernelILj162ELj7ELN6hipcub18BlockScanAlgorithmE1EfEvPT2_S3_S2_
		.amdhsa_group_segment_fixed_size 768
		.amdhsa_private_segment_fixed_size 0
		.amdhsa_kernarg_size 20
		.amdhsa_user_sgpr_count 15
		.amdhsa_user_sgpr_dispatch_ptr 0
		.amdhsa_user_sgpr_queue_ptr 0
		.amdhsa_user_sgpr_kernarg_segment_ptr 1
		.amdhsa_user_sgpr_dispatch_id 0
		.amdhsa_user_sgpr_private_segment_size 0
		.amdhsa_wavefront_size32 1
		.amdhsa_uses_dynamic_stack 0
		.amdhsa_enable_private_segment 0
		.amdhsa_system_sgpr_workgroup_id_x 1
		.amdhsa_system_sgpr_workgroup_id_y 0
		.amdhsa_system_sgpr_workgroup_id_z 0
		.amdhsa_system_sgpr_workgroup_info 0
		.amdhsa_system_vgpr_workitem_id 0
		.amdhsa_next_free_vgpr 35
		.amdhsa_next_free_sgpr 16
		.amdhsa_reserve_vcc 1
		.amdhsa_float_round_mode_32 0
		.amdhsa_float_round_mode_16_64 0
		.amdhsa_float_denorm_mode_32 3
		.amdhsa_float_denorm_mode_16_64 3
		.amdhsa_dx10_clamp 1
		.amdhsa_ieee_mode 1
		.amdhsa_fp16_overflow 0
		.amdhsa_workgroup_processor_mode 1
		.amdhsa_memory_ordered 1
		.amdhsa_forward_progress 0
		.amdhsa_shared_vgpr_count 0
		.amdhsa_exception_fp_ieee_invalid_op 0
		.amdhsa_exception_fp_denorm_src 0
		.amdhsa_exception_fp_ieee_div_zero 0
		.amdhsa_exception_fp_ieee_overflow 0
		.amdhsa_exception_fp_ieee_underflow 0
		.amdhsa_exception_fp_ieee_inexact 0
		.amdhsa_exception_int_div_zero 0
	.end_amdhsa_kernel
	.section	.text._Z43exclusive_scan_prefix_callback_array_kernelILj162ELj7ELN6hipcub18BlockScanAlgorithmE1EfEvPT2_S3_S2_,"axG",@progbits,_Z43exclusive_scan_prefix_callback_array_kernelILj162ELj7ELN6hipcub18BlockScanAlgorithmE1EfEvPT2_S3_S2_,comdat
.Lfunc_end271:
	.size	_Z43exclusive_scan_prefix_callback_array_kernelILj162ELj7ELN6hipcub18BlockScanAlgorithmE1EfEvPT2_S3_S2_, .Lfunc_end271-_Z43exclusive_scan_prefix_callback_array_kernelILj162ELj7ELN6hipcub18BlockScanAlgorithmE1EfEvPT2_S3_S2_
                                        ; -- End function
	.section	.AMDGPU.csdata,"",@progbits
; Kernel info:
; codeLenInByte = 1100
; NumSgprs: 18
; NumVgprs: 35
; ScratchSize: 0
; MemoryBound: 0
; FloatMode: 240
; IeeeMode: 1
; LDSByteSize: 768 bytes/workgroup (compile time only)
; SGPRBlocks: 2
; VGPRBlocks: 4
; NumSGPRsForWavesPerEU: 18
; NumVGPRsForWavesPerEU: 35
; Occupancy: 15
; WaveLimiterHint : 0
; COMPUTE_PGM_RSRC2:SCRATCH_EN: 0
; COMPUTE_PGM_RSRC2:USER_SGPR: 15
; COMPUTE_PGM_RSRC2:TRAP_HANDLER: 0
; COMPUTE_PGM_RSRC2:TGID_X_EN: 1
; COMPUTE_PGM_RSRC2:TGID_Y_EN: 0
; COMPUTE_PGM_RSRC2:TGID_Z_EN: 0
; COMPUTE_PGM_RSRC2:TIDIG_COMP_CNT: 0
	.section	.text._Z43exclusive_scan_prefix_callback_array_kernelILj65ELj5ELN6hipcub18BlockScanAlgorithmE1EfEvPT2_S3_S2_,"axG",@progbits,_Z43exclusive_scan_prefix_callback_array_kernelILj65ELj5ELN6hipcub18BlockScanAlgorithmE1EfEvPT2_S3_S2_,comdat
	.protected	_Z43exclusive_scan_prefix_callback_array_kernelILj65ELj5ELN6hipcub18BlockScanAlgorithmE1EfEvPT2_S3_S2_ ; -- Begin function _Z43exclusive_scan_prefix_callback_array_kernelILj65ELj5ELN6hipcub18BlockScanAlgorithmE1EfEvPT2_S3_S2_
	.globl	_Z43exclusive_scan_prefix_callback_array_kernelILj65ELj5ELN6hipcub18BlockScanAlgorithmE1EfEvPT2_S3_S2_
	.p2align	8
	.type	_Z43exclusive_scan_prefix_callback_array_kernelILj65ELj5ELN6hipcub18BlockScanAlgorithmE1EfEvPT2_S3_S2_,@function
_Z43exclusive_scan_prefix_callback_array_kernelILj65ELj5ELN6hipcub18BlockScanAlgorithmE1EfEvPT2_S3_S2_: ; @_Z43exclusive_scan_prefix_callback_array_kernelILj65ELj5ELN6hipcub18BlockScanAlgorithmE1EfEvPT2_S3_S2_
; %bb.0:
	s_mov_b32 s8, s15
	s_load_b128 s[4:7], s[0:1], 0x0
	v_mad_u64_u32 v[1:2], null, 0x41, s8, v[0:1]
	s_delay_alu instid0(VALU_DEP_1) | instskip(NEXT) | instid1(VALU_DEP_1)
	v_lshl_add_u32 v1, v1, 2, v1
	v_dual_mov_b32 v2, 0 :: v_dual_add_nc_u32 v3, 1, v1
	s_delay_alu instid0(VALU_DEP_1) | instskip(SKIP_3) | instid1(VALU_DEP_4)
	v_dual_mov_b32 v4, v2 :: v_dual_add_nc_u32 v5, 2, v1
	v_lshlrev_b64 v[9:10], 2, v[1:2]
	v_dual_mov_b32 v6, v2 :: v_dual_add_nc_u32 v7, 3, v1
	v_dual_mov_b32 v8, v2 :: v_dual_add_nc_u32 v1, 4, v1
	v_lshlrev_b64 v[3:4], 2, v[3:4]
	s_delay_alu instid0(VALU_DEP_3) | instskip(NEXT) | instid1(VALU_DEP_3)
	v_lshlrev_b64 v[5:6], 2, v[5:6]
	v_lshlrev_b64 v[7:8], 2, v[7:8]
	s_delay_alu instid0(VALU_DEP_4)
	v_lshlrev_b64 v[14:15], 2, v[1:2]
	s_waitcnt lgkmcnt(0)
	v_add_co_u32 v1, vcc_lo, s4, v9
	v_add_co_ci_u32_e32 v2, vcc_lo, s5, v10, vcc_lo
	v_add_co_u32 v3, vcc_lo, s4, v3
	v_add_co_ci_u32_e32 v4, vcc_lo, s5, v4, vcc_lo
	;; [unrolled: 2-line block ×3, first 2 shown]
	s_clause 0x1
	global_load_b32 v11, v[1:2], off
	global_load_b32 v12, v[3:4], off
	v_add_co_u32 v7, vcc_lo, s4, v7
	v_add_co_ci_u32_e32 v8, vcc_lo, s5, v8, vcc_lo
	global_load_b32 v13, v[5:6], off
	v_add_co_u32 v9, vcc_lo, s4, v14
	v_add_co_ci_u32_e32 v10, vcc_lo, s5, v15, vcc_lo
	s_clause 0x1
	global_load_b32 v14, v[7:8], off
	global_load_b32 v15, v[9:10], off
	v_cmp_gt_u32_e32 vcc_lo, 32, v0
	s_waitcnt vmcnt(3)
	v_add_f32_e32 v16, v11, v12
	s_waitcnt vmcnt(2)
	s_delay_alu instid0(VALU_DEP_1) | instskip(SKIP_1) | instid1(VALU_DEP_1)
	v_add_f32_e32 v16, v13, v16
	s_waitcnt vmcnt(1)
	v_add_f32_e32 v17, v14, v16
	s_waitcnt vmcnt(0)
	s_delay_alu instid0(VALU_DEP_1)
	v_dual_add_f32 v15, v15, v17 :: v_dual_lshlrev_b32 v16, 2, v0
	ds_store_b32 v16, v15
	s_waitcnt lgkmcnt(0)
	s_barrier
	buffer_gl0_inv
	s_and_saveexec_b32 s3, vcc_lo
	s_cbranch_execz .LBB272_2
; %bb.1:
	v_mul_u32_u24_e32 v17, 3, v0
	v_mbcnt_lo_u32_b32 v22, -1, 0
	s_delay_alu instid0(VALU_DEP_2) | instskip(NEXT) | instid1(VALU_DEP_2)
	v_lshlrev_b32_e32 v19, 2, v17
	v_and_b32_e32 v25, 16, v22
	ds_load_2addr_b32 v[17:18], v19 offset1:1
	ds_load_b32 v20, v19 offset:8
	v_and_b32_e32 v24, 15, v22
	s_delay_alu instid0(VALU_DEP_1) | instskip(SKIP_3) | instid1(VALU_DEP_1)
	v_cmp_eq_u32_e64 s2, 0, v24
	s_waitcnt lgkmcnt(1)
	v_add_f32_e32 v21, v17, v18
	s_waitcnt lgkmcnt(0)
	v_add_f32_e32 v21, v21, v20
	s_delay_alu instid0(VALU_DEP_1) | instskip(NEXT) | instid1(VALU_DEP_1)
	v_mov_b32_dpp v23, v21 row_shr:1 row_mask:0xf bank_mask:0xf
	v_add_f32_e32 v23, v21, v23
	s_delay_alu instid0(VALU_DEP_1) | instskip(SKIP_1) | instid1(VALU_DEP_2)
	v_cndmask_b32_e64 v21, v23, v21, s2
	v_cmp_lt_u32_e64 s2, 1, v24
	v_mov_b32_dpp v23, v21 row_shr:2 row_mask:0xf bank_mask:0xf
	s_delay_alu instid0(VALU_DEP_1) | instskip(NEXT) | instid1(VALU_DEP_1)
	v_add_f32_e32 v23, v21, v23
	v_cndmask_b32_e64 v21, v21, v23, s2
	v_cmp_lt_u32_e64 s2, 3, v24
	s_delay_alu instid0(VALU_DEP_2) | instskip(NEXT) | instid1(VALU_DEP_1)
	v_mov_b32_dpp v23, v21 row_shr:4 row_mask:0xf bank_mask:0xf
	v_add_f32_e32 v23, v21, v23
	s_delay_alu instid0(VALU_DEP_1) | instskip(SKIP_2) | instid1(VALU_DEP_3)
	v_cndmask_b32_e64 v21, v21, v23, s2
	v_cmp_lt_u32_e64 s2, 7, v24
	v_add_nc_u32_e32 v24, -1, v22
	v_mov_b32_dpp v23, v21 row_shr:8 row_mask:0xf bank_mask:0xf
	s_delay_alu instid0(VALU_DEP_1) | instskip(NEXT) | instid1(VALU_DEP_1)
	v_add_f32_e32 v23, v21, v23
	v_cndmask_b32_e64 v21, v21, v23, s2
	s_delay_alu instid0(VALU_DEP_4) | instskip(SKIP_4) | instid1(VALU_DEP_2)
	v_cmp_gt_i32_e64 s2, 0, v24
	ds_swizzle_b32 v23, v21 offset:swizzle(BROADCAST,32,15)
	v_cndmask_b32_e64 v22, v24, v22, s2
	v_cmp_eq_u32_e64 s2, 0, v25
	s_waitcnt lgkmcnt(0)
	v_dual_add_f32 v23, v21, v23 :: v_dual_lshlrev_b32 v22, 2, v22
	s_delay_alu instid0(VALU_DEP_1) | instskip(SKIP_4) | instid1(VALU_DEP_1)
	v_cndmask_b32_e64 v21, v23, v21, s2
	v_cmp_eq_u32_e64 s2, 0, v0
	ds_bpermute_b32 v21, v22, v21
	s_waitcnt lgkmcnt(0)
	v_add_f32_e32 v17, v17, v21
	v_cndmask_b32_e64 v17, v17, v15, s2
	s_delay_alu instid0(VALU_DEP_1) | instskip(NEXT) | instid1(VALU_DEP_1)
	v_add_f32_e32 v18, v18, v17
	v_add_f32_e32 v20, v20, v18
	ds_store_2addr_b32 v19, v17, v18 offset1:1
	ds_store_b32 v19, v20 offset:8
.LBB272_2:
	s_or_b32 exec_lo, exec_lo, s3
	v_cmp_eq_u32_e64 s2, 0, v0
	s_mov_b32 s4, exec_lo
	s_waitcnt lgkmcnt(0)
	s_barrier
	buffer_gl0_inv
	v_cmpx_ne_u32_e32 0, v0
	s_cbranch_execz .LBB272_4
; %bb.3:
	v_add_nc_u32_e32 v0, -4, v16
	ds_load_b32 v15, v0
.LBB272_4:
	s_or_b32 exec_lo, exec_lo, s4
	s_load_b32 s1, s[0:1], 0x10
	s_waitcnt lgkmcnt(0)
	v_mov_b32_e32 v0, s1
	s_and_saveexec_b32 s0, vcc_lo
	s_cbranch_execz .LBB272_8
; %bb.5:
	v_mov_b32_e32 v16, 0
	ds_load_b32 v0, v16 offset:256
	s_and_saveexec_b32 s3, s2
	s_cbranch_execz .LBB272_7
; %bb.6:
	v_mov_b32_e32 v17, s1
	ds_store_b32 v16, v17
.LBB272_7:
	s_or_b32 exec_lo, exec_lo, s3
	s_waitcnt lgkmcnt(0)
	v_add_f32_e32 v0, s1, v0
.LBB272_8:
	s_or_b32 exec_lo, exec_lo, s0
	v_mov_b32_e32 v16, 0
	s_barrier
	buffer_gl0_inv
	ds_load_b32 v17, v16
	s_waitcnt lgkmcnt(0)
	v_add_f32_e32 v15, v15, v17
	s_delay_alu instid0(VALU_DEP_1) | instskip(NEXT) | instid1(VALU_DEP_1)
	v_cndmask_b32_e64 v15, v15, v17, s2
	v_add_f32_e32 v11, v11, v15
	s_delay_alu instid0(VALU_DEP_1) | instskip(NEXT) | instid1(VALU_DEP_1)
	v_add_f32_e32 v12, v12, v11
	v_add_f32_e32 v13, v13, v12
	s_delay_alu instid0(VALU_DEP_1)
	v_add_f32_e32 v14, v14, v13
	s_clause 0x4
	global_store_b32 v[1:2], v15, off
	global_store_b32 v[3:4], v11, off
	;; [unrolled: 1-line block ×5, first 2 shown]
	s_and_saveexec_b32 s0, s2
	s_cbranch_execz .LBB272_10
; %bb.9:
	s_mov_b32 s9, 0
	s_delay_alu instid0(SALU_CYCLE_1) | instskip(NEXT) | instid1(SALU_CYCLE_1)
	s_lshl_b64 s[0:1], s[8:9], 2
	s_add_u32 s0, s6, s0
	s_addc_u32 s1, s7, s1
	global_store_b32 v16, v0, s[0:1]
.LBB272_10:
	s_nop 0
	s_sendmsg sendmsg(MSG_DEALLOC_VGPRS)
	s_endpgm
	.section	.rodata,"a",@progbits
	.p2align	6, 0x0
	.amdhsa_kernel _Z43exclusive_scan_prefix_callback_array_kernelILj65ELj5ELN6hipcub18BlockScanAlgorithmE1EfEvPT2_S3_S2_
		.amdhsa_group_segment_fixed_size 384
		.amdhsa_private_segment_fixed_size 0
		.amdhsa_kernarg_size 20
		.amdhsa_user_sgpr_count 15
		.amdhsa_user_sgpr_dispatch_ptr 0
		.amdhsa_user_sgpr_queue_ptr 0
		.amdhsa_user_sgpr_kernarg_segment_ptr 1
		.amdhsa_user_sgpr_dispatch_id 0
		.amdhsa_user_sgpr_private_segment_size 0
		.amdhsa_wavefront_size32 1
		.amdhsa_uses_dynamic_stack 0
		.amdhsa_enable_private_segment 0
		.amdhsa_system_sgpr_workgroup_id_x 1
		.amdhsa_system_sgpr_workgroup_id_y 0
		.amdhsa_system_sgpr_workgroup_id_z 0
		.amdhsa_system_sgpr_workgroup_info 0
		.amdhsa_system_vgpr_workitem_id 0
		.amdhsa_next_free_vgpr 26
		.amdhsa_next_free_sgpr 16
		.amdhsa_reserve_vcc 1
		.amdhsa_float_round_mode_32 0
		.amdhsa_float_round_mode_16_64 0
		.amdhsa_float_denorm_mode_32 3
		.amdhsa_float_denorm_mode_16_64 3
		.amdhsa_dx10_clamp 1
		.amdhsa_ieee_mode 1
		.amdhsa_fp16_overflow 0
		.amdhsa_workgroup_processor_mode 1
		.amdhsa_memory_ordered 1
		.amdhsa_forward_progress 0
		.amdhsa_shared_vgpr_count 0
		.amdhsa_exception_fp_ieee_invalid_op 0
		.amdhsa_exception_fp_denorm_src 0
		.amdhsa_exception_fp_ieee_div_zero 0
		.amdhsa_exception_fp_ieee_overflow 0
		.amdhsa_exception_fp_ieee_underflow 0
		.amdhsa_exception_fp_ieee_inexact 0
		.amdhsa_exception_int_div_zero 0
	.end_amdhsa_kernel
	.section	.text._Z43exclusive_scan_prefix_callback_array_kernelILj65ELj5ELN6hipcub18BlockScanAlgorithmE1EfEvPT2_S3_S2_,"axG",@progbits,_Z43exclusive_scan_prefix_callback_array_kernelILj65ELj5ELN6hipcub18BlockScanAlgorithmE1EfEvPT2_S3_S2_,comdat
.Lfunc_end272:
	.size	_Z43exclusive_scan_prefix_callback_array_kernelILj65ELj5ELN6hipcub18BlockScanAlgorithmE1EfEvPT2_S3_S2_, .Lfunc_end272-_Z43exclusive_scan_prefix_callback_array_kernelILj65ELj5ELN6hipcub18BlockScanAlgorithmE1EfEvPT2_S3_S2_
                                        ; -- End function
	.section	.AMDGPU.csdata,"",@progbits
; Kernel info:
; codeLenInByte = 924
; NumSgprs: 18
; NumVgprs: 26
; ScratchSize: 0
; MemoryBound: 0
; FloatMode: 240
; IeeeMode: 1
; LDSByteSize: 384 bytes/workgroup (compile time only)
; SGPRBlocks: 2
; VGPRBlocks: 3
; NumSGPRsForWavesPerEU: 18
; NumVGPRsForWavesPerEU: 26
; Occupancy: 16
; WaveLimiterHint : 0
; COMPUTE_PGM_RSRC2:SCRATCH_EN: 0
; COMPUTE_PGM_RSRC2:USER_SGPR: 15
; COMPUTE_PGM_RSRC2:TRAP_HANDLER: 0
; COMPUTE_PGM_RSRC2:TGID_X_EN: 1
; COMPUTE_PGM_RSRC2:TGID_Y_EN: 0
; COMPUTE_PGM_RSRC2:TGID_Z_EN: 0
; COMPUTE_PGM_RSRC2:TIDIG_COMP_CNT: 0
	.section	.text._Z43exclusive_scan_prefix_callback_array_kernelILj37ELj2ELN6hipcub18BlockScanAlgorithmE1EfEvPT2_S3_S2_,"axG",@progbits,_Z43exclusive_scan_prefix_callback_array_kernelILj37ELj2ELN6hipcub18BlockScanAlgorithmE1EfEvPT2_S3_S2_,comdat
	.protected	_Z43exclusive_scan_prefix_callback_array_kernelILj37ELj2ELN6hipcub18BlockScanAlgorithmE1EfEvPT2_S3_S2_ ; -- Begin function _Z43exclusive_scan_prefix_callback_array_kernelILj37ELj2ELN6hipcub18BlockScanAlgorithmE1EfEvPT2_S3_S2_
	.globl	_Z43exclusive_scan_prefix_callback_array_kernelILj37ELj2ELN6hipcub18BlockScanAlgorithmE1EfEvPT2_S3_S2_
	.p2align	8
	.type	_Z43exclusive_scan_prefix_callback_array_kernelILj37ELj2ELN6hipcub18BlockScanAlgorithmE1EfEvPT2_S3_S2_,@function
_Z43exclusive_scan_prefix_callback_array_kernelILj37ELj2ELN6hipcub18BlockScanAlgorithmE1EfEvPT2_S3_S2_: ; @_Z43exclusive_scan_prefix_callback_array_kernelILj37ELj2ELN6hipcub18BlockScanAlgorithmE1EfEvPT2_S3_S2_
; %bb.0:
	s_load_b128 s[4:7], s[0:1], 0x0
	s_mul_i32 s2, s15, 37
	v_mov_b32_e32 v2, 0
	v_add_lshl_u32 v1, s2, v0, 1
	v_lshrrev_b32_e32 v5, 5, v0
	s_mov_b32 s8, s15
	s_delay_alu instid0(VALU_DEP_2) | instskip(NEXT) | instid1(VALU_DEP_2)
	v_lshlrev_b64 v[1:2], 2, v[1:2]
	v_add_lshl_u32 v5, v5, v0, 2
	s_waitcnt lgkmcnt(0)
	s_delay_alu instid0(VALU_DEP_2) | instskip(NEXT) | instid1(VALU_DEP_3)
	v_add_co_u32 v1, vcc_lo, s4, v1
	v_add_co_ci_u32_e32 v2, vcc_lo, s5, v2, vcc_lo
	v_cmp_gt_u32_e32 vcc_lo, 32, v0
	global_load_b64 v[3:4], v[1:2], off
	s_waitcnt vmcnt(0)
	v_add_f32_e32 v4, v3, v4
	ds_store_b32 v5, v4
	s_waitcnt lgkmcnt(0)
	s_barrier
	buffer_gl0_inv
	s_and_saveexec_b32 s3, vcc_lo
	s_cbranch_execz .LBB273_2
; %bb.1:
	v_lshrrev_b32_e32 v5, 2, v0
	v_mbcnt_lo_u32_b32 v9, -1, 0
	s_delay_alu instid0(VALU_DEP_2) | instskip(NEXT) | instid1(VALU_DEP_2)
	v_and_b32_e32 v5, 12, v5
	v_and_b32_e32 v12, 16, v9
	;; [unrolled: 1-line block ×3, first 2 shown]
	s_delay_alu instid0(VALU_DEP_3) | instskip(NEXT) | instid1(VALU_DEP_2)
	v_lshl_or_b32 v7, v0, 3, v5
	v_cmp_eq_u32_e64 s2, 0, v11
	ds_load_2addr_b32 v[5:6], v7 offset1:1
	s_waitcnt lgkmcnt(0)
	v_add_f32_e32 v8, v5, v6
	s_delay_alu instid0(VALU_DEP_1) | instskip(NEXT) | instid1(VALU_DEP_1)
	v_mov_b32_dpp v10, v8 row_shr:1 row_mask:0xf bank_mask:0xf
	v_add_f32_e32 v10, v8, v10
	s_delay_alu instid0(VALU_DEP_1) | instskip(SKIP_1) | instid1(VALU_DEP_2)
	v_cndmask_b32_e64 v8, v10, v8, s2
	v_cmp_lt_u32_e64 s2, 1, v11
	v_mov_b32_dpp v10, v8 row_shr:2 row_mask:0xf bank_mask:0xf
	s_delay_alu instid0(VALU_DEP_1) | instskip(NEXT) | instid1(VALU_DEP_1)
	v_add_f32_e32 v10, v8, v10
	v_cndmask_b32_e64 v8, v8, v10, s2
	v_cmp_lt_u32_e64 s2, 3, v11
	s_delay_alu instid0(VALU_DEP_2) | instskip(NEXT) | instid1(VALU_DEP_1)
	v_mov_b32_dpp v10, v8 row_shr:4 row_mask:0xf bank_mask:0xf
	v_add_f32_e32 v10, v8, v10
	s_delay_alu instid0(VALU_DEP_1) | instskip(SKIP_2) | instid1(VALU_DEP_3)
	v_cndmask_b32_e64 v8, v8, v10, s2
	v_cmp_lt_u32_e64 s2, 7, v11
	v_add_nc_u32_e32 v11, -1, v9
	v_mov_b32_dpp v10, v8 row_shr:8 row_mask:0xf bank_mask:0xf
	s_delay_alu instid0(VALU_DEP_1) | instskip(NEXT) | instid1(VALU_DEP_1)
	v_add_f32_e32 v10, v8, v10
	v_cndmask_b32_e64 v8, v8, v10, s2
	s_delay_alu instid0(VALU_DEP_4) | instskip(SKIP_4) | instid1(VALU_DEP_2)
	v_cmp_gt_i32_e64 s2, 0, v11
	ds_swizzle_b32 v10, v8 offset:swizzle(BROADCAST,32,15)
	v_cndmask_b32_e64 v9, v11, v9, s2
	v_cmp_eq_u32_e64 s2, 0, v12
	s_waitcnt lgkmcnt(0)
	v_dual_add_f32 v10, v8, v10 :: v_dual_lshlrev_b32 v9, 2, v9
	s_delay_alu instid0(VALU_DEP_1) | instskip(SKIP_4) | instid1(VALU_DEP_1)
	v_cndmask_b32_e64 v8, v10, v8, s2
	v_cmp_eq_u32_e64 s2, 0, v0
	ds_bpermute_b32 v8, v9, v8
	s_waitcnt lgkmcnt(0)
	v_add_f32_e32 v5, v5, v8
	v_cndmask_b32_e64 v5, v5, v4, s2
	s_delay_alu instid0(VALU_DEP_1)
	v_add_f32_e32 v6, v6, v5
	ds_store_2addr_b32 v7, v5, v6 offset1:1
.LBB273_2:
	s_or_b32 exec_lo, exec_lo, s3
	v_cmp_eq_u32_e64 s2, 0, v0
	s_mov_b32 s4, exec_lo
	s_waitcnt lgkmcnt(0)
	s_barrier
	buffer_gl0_inv
	v_cmpx_ne_u32_e32 0, v0
	s_cbranch_execz .LBB273_4
; %bb.3:
	v_add_nc_u32_e32 v0, -1, v0
	s_delay_alu instid0(VALU_DEP_1) | instskip(NEXT) | instid1(VALU_DEP_1)
	v_lshrrev_b32_e32 v4, 5, v0
	v_add_lshl_u32 v0, v4, v0, 2
	ds_load_b32 v4, v0
.LBB273_4:
	s_or_b32 exec_lo, exec_lo, s4
	s_load_b32 s1, s[0:1], 0x10
	s_waitcnt lgkmcnt(0)
	v_mov_b32_e32 v0, s1
	s_and_saveexec_b32 s0, vcc_lo
	s_cbranch_execz .LBB273_8
; %bb.5:
	v_mov_b32_e32 v5, 0
	ds_load_b32 v0, v5 offset:148
	s_and_saveexec_b32 s3, s2
	s_cbranch_execz .LBB273_7
; %bb.6:
	v_mov_b32_e32 v6, s1
	ds_store_b32 v5, v6
.LBB273_7:
	s_or_b32 exec_lo, exec_lo, s3
	s_waitcnt lgkmcnt(0)
	v_add_f32_e32 v0, s1, v0
.LBB273_8:
	s_or_b32 exec_lo, exec_lo, s0
	v_mov_b32_e32 v5, 0
	s_barrier
	buffer_gl0_inv
	ds_load_b32 v6, v5
	s_waitcnt lgkmcnt(0)
	v_add_f32_e32 v4, v4, v6
	s_delay_alu instid0(VALU_DEP_1) | instskip(NEXT) | instid1(VALU_DEP_1)
	v_cndmask_b32_e64 v6, v4, v6, s2
	v_add_f32_e32 v7, v3, v6
	global_store_b64 v[1:2], v[6:7], off
	s_and_saveexec_b32 s0, s2
	s_cbranch_execz .LBB273_10
; %bb.9:
	s_mov_b32 s9, 0
	s_delay_alu instid0(SALU_CYCLE_1) | instskip(NEXT) | instid1(SALU_CYCLE_1)
	s_lshl_b64 s[0:1], s[8:9], 2
	s_add_u32 s0, s6, s0
	s_addc_u32 s1, s7, s1
	global_store_b32 v5, v0, s[0:1]
.LBB273_10:
	s_nop 0
	s_sendmsg sendmsg(MSG_DEALLOC_VGPRS)
	s_endpgm
	.section	.rodata,"a",@progbits
	.p2align	6, 0x0
	.amdhsa_kernel _Z43exclusive_scan_prefix_callback_array_kernelILj37ELj2ELN6hipcub18BlockScanAlgorithmE1EfEvPT2_S3_S2_
		.amdhsa_group_segment_fixed_size 264
		.amdhsa_private_segment_fixed_size 0
		.amdhsa_kernarg_size 20
		.amdhsa_user_sgpr_count 15
		.amdhsa_user_sgpr_dispatch_ptr 0
		.amdhsa_user_sgpr_queue_ptr 0
		.amdhsa_user_sgpr_kernarg_segment_ptr 1
		.amdhsa_user_sgpr_dispatch_id 0
		.amdhsa_user_sgpr_private_segment_size 0
		.amdhsa_wavefront_size32 1
		.amdhsa_uses_dynamic_stack 0
		.amdhsa_enable_private_segment 0
		.amdhsa_system_sgpr_workgroup_id_x 1
		.amdhsa_system_sgpr_workgroup_id_y 0
		.amdhsa_system_sgpr_workgroup_id_z 0
		.amdhsa_system_sgpr_workgroup_info 0
		.amdhsa_system_vgpr_workitem_id 0
		.amdhsa_next_free_vgpr 13
		.amdhsa_next_free_sgpr 16
		.amdhsa_reserve_vcc 1
		.amdhsa_float_round_mode_32 0
		.amdhsa_float_round_mode_16_64 0
		.amdhsa_float_denorm_mode_32 3
		.amdhsa_float_denorm_mode_16_64 3
		.amdhsa_dx10_clamp 1
		.amdhsa_ieee_mode 1
		.amdhsa_fp16_overflow 0
		.amdhsa_workgroup_processor_mode 1
		.amdhsa_memory_ordered 1
		.amdhsa_forward_progress 0
		.amdhsa_shared_vgpr_count 0
		.amdhsa_exception_fp_ieee_invalid_op 0
		.amdhsa_exception_fp_denorm_src 0
		.amdhsa_exception_fp_ieee_div_zero 0
		.amdhsa_exception_fp_ieee_overflow 0
		.amdhsa_exception_fp_ieee_underflow 0
		.amdhsa_exception_fp_ieee_inexact 0
		.amdhsa_exception_int_div_zero 0
	.end_amdhsa_kernel
	.section	.text._Z43exclusive_scan_prefix_callback_array_kernelILj37ELj2ELN6hipcub18BlockScanAlgorithmE1EfEvPT2_S3_S2_,"axG",@progbits,_Z43exclusive_scan_prefix_callback_array_kernelILj37ELj2ELN6hipcub18BlockScanAlgorithmE1EfEvPT2_S3_S2_,comdat
.Lfunc_end273:
	.size	_Z43exclusive_scan_prefix_callback_array_kernelILj37ELj2ELN6hipcub18BlockScanAlgorithmE1EfEvPT2_S3_S2_, .Lfunc_end273-_Z43exclusive_scan_prefix_callback_array_kernelILj37ELj2ELN6hipcub18BlockScanAlgorithmE1EfEvPT2_S3_S2_
                                        ; -- End function
	.section	.AMDGPU.csdata,"",@progbits
; Kernel info:
; codeLenInByte = 676
; NumSgprs: 18
; NumVgprs: 13
; ScratchSize: 0
; MemoryBound: 0
; FloatMode: 240
; IeeeMode: 1
; LDSByteSize: 264 bytes/workgroup (compile time only)
; SGPRBlocks: 2
; VGPRBlocks: 1
; NumSGPRsForWavesPerEU: 18
; NumVGPRsForWavesPerEU: 13
; Occupancy: 16
; WaveLimiterHint : 0
; COMPUTE_PGM_RSRC2:SCRATCH_EN: 0
; COMPUTE_PGM_RSRC2:USER_SGPR: 15
; COMPUTE_PGM_RSRC2:TRAP_HANDLER: 0
; COMPUTE_PGM_RSRC2:TGID_X_EN: 1
; COMPUTE_PGM_RSRC2:TGID_Y_EN: 0
; COMPUTE_PGM_RSRC2:TGID_Z_EN: 0
; COMPUTE_PGM_RSRC2:TIDIG_COMP_CNT: 0
	.section	.text._Z43exclusive_scan_prefix_callback_array_kernelILj512ELj4ELN6hipcub18BlockScanAlgorithmE1EjEvPT2_S3_S2_,"axG",@progbits,_Z43exclusive_scan_prefix_callback_array_kernelILj512ELj4ELN6hipcub18BlockScanAlgorithmE1EjEvPT2_S3_S2_,comdat
	.protected	_Z43exclusive_scan_prefix_callback_array_kernelILj512ELj4ELN6hipcub18BlockScanAlgorithmE1EjEvPT2_S3_S2_ ; -- Begin function _Z43exclusive_scan_prefix_callback_array_kernelILj512ELj4ELN6hipcub18BlockScanAlgorithmE1EjEvPT2_S3_S2_
	.globl	_Z43exclusive_scan_prefix_callback_array_kernelILj512ELj4ELN6hipcub18BlockScanAlgorithmE1EjEvPT2_S3_S2_
	.p2align	8
	.type	_Z43exclusive_scan_prefix_callback_array_kernelILj512ELj4ELN6hipcub18BlockScanAlgorithmE1EjEvPT2_S3_S2_,@function
_Z43exclusive_scan_prefix_callback_array_kernelILj512ELj4ELN6hipcub18BlockScanAlgorithmE1EjEvPT2_S3_S2_: ; @_Z43exclusive_scan_prefix_callback_array_kernelILj512ELj4ELN6hipcub18BlockScanAlgorithmE1EjEvPT2_S3_S2_
; %bb.0:
	s_load_b128 s[4:7], s[0:1], 0x0
	v_lshlrev_b32_e32 v1, 2, v0
	s_mov_b32 s8, s15
	v_mov_b32_e32 v7, 0
	v_lshrrev_b32_e32 v8, 5, v0
	s_delay_alu instid0(VALU_DEP_3) | instskip(NEXT) | instid1(VALU_DEP_2)
	v_lshl_or_b32 v6, s8, 11, v1
	v_add_lshl_u32 v8, v8, v0, 2
	s_delay_alu instid0(VALU_DEP_2) | instskip(SKIP_1) | instid1(VALU_DEP_1)
	v_lshlrev_b64 v[1:2], 2, v[6:7]
	s_waitcnt lgkmcnt(0)
	v_add_co_u32 v5, vcc_lo, s4, v1
	s_delay_alu instid0(VALU_DEP_2) | instskip(SKIP_4) | instid1(VALU_DEP_1)
	v_add_co_ci_u32_e32 v6, vcc_lo, s5, v2, vcc_lo
	v_cmp_gt_u32_e32 vcc_lo, 32, v0
	global_load_b128 v[1:4], v[5:6], off
	s_waitcnt vmcnt(0)
	v_add_nc_u32_e32 v9, v2, v1
	v_add3_u32 v4, v9, v3, v4
	ds_store_b32 v8, v4
	s_waitcnt lgkmcnt(0)
	s_barrier
	buffer_gl0_inv
	s_and_saveexec_b32 s3, vcc_lo
	s_cbranch_execz .LBB274_2
; %bb.1:
	v_lshlrev_b32_e32 v8, 1, v0
	v_mbcnt_lo_u32_b32 v26, -1, 0
	s_delay_alu instid0(VALU_DEP_2) | instskip(NEXT) | instid1(VALU_DEP_2)
	v_and_b32_e32 v8, 0x3fc, v8
	v_and_b32_e32 v27, 15, v26
	v_bfe_i32 v29, v26, 4, 1
	s_delay_alu instid0(VALU_DEP_3) | instskip(NEXT) | instid1(VALU_DEP_3)
	v_lshl_or_b32 v24, v0, 6, v8
	v_cmp_ne_u32_e64 s2, 0, v27
	ds_load_2addr_b32 v[8:9], v24 offset1:1
	ds_load_2addr_b32 v[10:11], v24 offset0:2 offset1:3
	ds_load_2addr_b32 v[12:13], v24 offset0:4 offset1:5
	;; [unrolled: 1-line block ×4, first 2 shown]
	s_waitcnt lgkmcnt(4)
	v_add_nc_u32_e32 v18, v9, v8
	s_waitcnt lgkmcnt(3)
	s_delay_alu instid0(VALU_DEP_1)
	v_add3_u32 v20, v18, v10, v11
	ds_load_2addr_b32 v[18:19], v24 offset0:10 offset1:11
	s_waitcnt lgkmcnt(3)
	v_add3_u32 v25, v20, v12, v13
	ds_load_2addr_b32 v[20:21], v24 offset0:12 offset1:13
	ds_load_2addr_b32 v[22:23], v24 offset0:14 offset1:15
	s_waitcnt lgkmcnt(4)
	v_add3_u32 v25, v25, v14, v15
	s_waitcnt lgkmcnt(3)
	s_delay_alu instid0(VALU_DEP_1) | instskip(SKIP_1) | instid1(VALU_DEP_1)
	v_add3_u32 v25, v25, v16, v17
	s_waitcnt lgkmcnt(2)
	v_add3_u32 v25, v25, v18, v19
	s_waitcnt lgkmcnt(1)
	s_delay_alu instid0(VALU_DEP_1) | instskip(SKIP_1) | instid1(VALU_DEP_1)
	v_add3_u32 v25, v25, v20, v21
	s_waitcnt lgkmcnt(0)
	v_add3_u32 v25, v25, v22, v23
	s_delay_alu instid0(VALU_DEP_1) | instskip(NEXT) | instid1(VALU_DEP_1)
	v_mov_b32_dpp v28, v25 row_shr:1 row_mask:0xf bank_mask:0xf
	v_cndmask_b32_e64 v28, 0, v28, s2
	v_cmp_lt_u32_e64 s2, 1, v27
	s_delay_alu instid0(VALU_DEP_2) | instskip(NEXT) | instid1(VALU_DEP_1)
	v_add_nc_u32_e32 v25, v28, v25
	v_mov_b32_dpp v28, v25 row_shr:2 row_mask:0xf bank_mask:0xf
	s_delay_alu instid0(VALU_DEP_1) | instskip(SKIP_1) | instid1(VALU_DEP_2)
	v_cndmask_b32_e64 v28, 0, v28, s2
	v_cmp_lt_u32_e64 s2, 3, v27
	v_add_nc_u32_e32 v25, v25, v28
	s_delay_alu instid0(VALU_DEP_1) | instskip(NEXT) | instid1(VALU_DEP_1)
	v_mov_b32_dpp v28, v25 row_shr:4 row_mask:0xf bank_mask:0xf
	v_cndmask_b32_e64 v28, 0, v28, s2
	v_cmp_lt_u32_e64 s2, 7, v27
	s_delay_alu instid0(VALU_DEP_2) | instskip(NEXT) | instid1(VALU_DEP_1)
	v_add_nc_u32_e32 v25, v25, v28
	v_mov_b32_dpp v28, v25 row_shr:8 row_mask:0xf bank_mask:0xf
	s_delay_alu instid0(VALU_DEP_1) | instskip(SKIP_1) | instid1(VALU_DEP_2)
	v_cndmask_b32_e64 v27, 0, v28, s2
	v_add_nc_u32_e32 v28, -1, v26
	v_add_nc_u32_e32 v25, v25, v27
	s_delay_alu instid0(VALU_DEP_2) | instskip(SKIP_3) | instid1(VALU_DEP_2)
	v_cmp_gt_i32_e64 s2, 0, v28
	ds_swizzle_b32 v27, v25 offset:swizzle(BROADCAST,32,15)
	v_cndmask_b32_e64 v26, v28, v26, s2
	v_cmp_eq_u32_e64 s2, 0, v0
	v_lshlrev_b32_e32 v26, 2, v26
	s_waitcnt lgkmcnt(0)
	v_and_b32_e32 v27, v29, v27
	s_delay_alu instid0(VALU_DEP_1) | instskip(SKIP_3) | instid1(VALU_DEP_1)
	v_add_nc_u32_e32 v25, v25, v27
	ds_bpermute_b32 v25, v26, v25
	s_waitcnt lgkmcnt(0)
	v_add_nc_u32_e32 v8, v25, v8
	v_cndmask_b32_e64 v4, v8, v4, s2
	s_delay_alu instid0(VALU_DEP_1) | instskip(NEXT) | instid1(VALU_DEP_1)
	v_add_nc_u32_e32 v8, v4, v9
	v_add_nc_u32_e32 v9, v8, v10
	s_delay_alu instid0(VALU_DEP_1) | instskip(NEXT) | instid1(VALU_DEP_1)
	v_add_nc_u32_e32 v10, v9, v11
	v_add_nc_u32_e32 v11, v10, v12
	;; [unrolled: 3-line block ×7, first 2 shown]
	s_delay_alu instid0(VALU_DEP_1)
	v_add_nc_u32_e32 v22, v21, v23
	ds_store_2addr_b32 v24, v4, v8 offset1:1
	ds_store_2addr_b32 v24, v9, v10 offset0:2 offset1:3
	ds_store_2addr_b32 v24, v11, v12 offset0:4 offset1:5
	ds_store_2addr_b32 v24, v13, v14 offset0:6 offset1:7
	ds_store_2addr_b32 v24, v15, v16 offset0:8 offset1:9
	ds_store_2addr_b32 v24, v17, v18 offset0:10 offset1:11
	ds_store_2addr_b32 v24, v19, v20 offset0:12 offset1:13
	ds_store_2addr_b32 v24, v21, v22 offset0:14 offset1:15
.LBB274_2:
	s_or_b32 exec_lo, exec_lo, s3
	v_cmp_eq_u32_e64 s2, 0, v0
	s_mov_b32 s4, exec_lo
	s_waitcnt lgkmcnt(0)
	s_barrier
	buffer_gl0_inv
	v_cmpx_ne_u32_e32 0, v0
	s_cbranch_execz .LBB274_4
; %bb.3:
	v_add_nc_u32_e32 v0, -1, v0
	s_delay_alu instid0(VALU_DEP_1) | instskip(NEXT) | instid1(VALU_DEP_1)
	v_lshrrev_b32_e32 v4, 5, v0
	v_add_lshl_u32 v0, v4, v0, 2
	ds_load_b32 v7, v0
.LBB274_4:
	s_or_b32 exec_lo, exec_lo, s4
	s_load_b32 s1, s[0:1], 0x10
	s_waitcnt lgkmcnt(0)
	v_mov_b32_e32 v0, s1
	s_and_saveexec_b32 s0, vcc_lo
	s_cbranch_execz .LBB274_8
; %bb.5:
	v_mov_b32_e32 v4, 0
	ds_load_b32 v0, v4 offset:2104
	s_and_saveexec_b32 s3, s2
	s_cbranch_execz .LBB274_7
; %bb.6:
	v_mov_b32_e32 v8, s1
	ds_store_b32 v4, v8
.LBB274_7:
	s_or_b32 exec_lo, exec_lo, s3
	s_waitcnt lgkmcnt(0)
	v_add_nc_u32_e32 v0, s1, v0
.LBB274_8:
	s_or_b32 exec_lo, exec_lo, s0
	v_mov_b32_e32 v4, 0
	s_barrier
	buffer_gl0_inv
	ds_load_b32 v8, v4
	s_waitcnt lgkmcnt(0)
	v_add_nc_u32_e32 v7, v8, v7
	s_delay_alu instid0(VALU_DEP_1) | instskip(NEXT) | instid1(VALU_DEP_1)
	v_add_nc_u32_e32 v8, v7, v1
	v_add_nc_u32_e32 v9, v8, v2
	s_delay_alu instid0(VALU_DEP_1)
	v_add_nc_u32_e32 v10, v9, v3
	global_store_b128 v[5:6], v[7:10], off
	s_and_saveexec_b32 s0, s2
	s_cbranch_execz .LBB274_10
; %bb.9:
	s_mov_b32 s9, 0
	s_delay_alu instid0(SALU_CYCLE_1) | instskip(NEXT) | instid1(SALU_CYCLE_1)
	s_lshl_b64 s[0:1], s[8:9], 2
	s_add_u32 s0, s6, s0
	s_addc_u32 s1, s7, s1
	global_store_b32 v4, v0, s[0:1]
.LBB274_10:
	s_nop 0
	s_sendmsg sendmsg(MSG_DEALLOC_VGPRS)
	s_endpgm
	.section	.rodata,"a",@progbits
	.p2align	6, 0x0
	.amdhsa_kernel _Z43exclusive_scan_prefix_callback_array_kernelILj512ELj4ELN6hipcub18BlockScanAlgorithmE1EjEvPT2_S3_S2_
		.amdhsa_group_segment_fixed_size 2112
		.amdhsa_private_segment_fixed_size 0
		.amdhsa_kernarg_size 20
		.amdhsa_user_sgpr_count 15
		.amdhsa_user_sgpr_dispatch_ptr 0
		.amdhsa_user_sgpr_queue_ptr 0
		.amdhsa_user_sgpr_kernarg_segment_ptr 1
		.amdhsa_user_sgpr_dispatch_id 0
		.amdhsa_user_sgpr_private_segment_size 0
		.amdhsa_wavefront_size32 1
		.amdhsa_uses_dynamic_stack 0
		.amdhsa_enable_private_segment 0
		.amdhsa_system_sgpr_workgroup_id_x 1
		.amdhsa_system_sgpr_workgroup_id_y 0
		.amdhsa_system_sgpr_workgroup_id_z 0
		.amdhsa_system_sgpr_workgroup_info 0
		.amdhsa_system_vgpr_workitem_id 0
		.amdhsa_next_free_vgpr 30
		.amdhsa_next_free_sgpr 16
		.amdhsa_reserve_vcc 1
		.amdhsa_float_round_mode_32 0
		.amdhsa_float_round_mode_16_64 0
		.amdhsa_float_denorm_mode_32 3
		.amdhsa_float_denorm_mode_16_64 3
		.amdhsa_dx10_clamp 1
		.amdhsa_ieee_mode 1
		.amdhsa_fp16_overflow 0
		.amdhsa_workgroup_processor_mode 1
		.amdhsa_memory_ordered 1
		.amdhsa_forward_progress 0
		.amdhsa_shared_vgpr_count 0
		.amdhsa_exception_fp_ieee_invalid_op 0
		.amdhsa_exception_fp_denorm_src 0
		.amdhsa_exception_fp_ieee_div_zero 0
		.amdhsa_exception_fp_ieee_overflow 0
		.amdhsa_exception_fp_ieee_underflow 0
		.amdhsa_exception_fp_ieee_inexact 0
		.amdhsa_exception_int_div_zero 0
	.end_amdhsa_kernel
	.section	.text._Z43exclusive_scan_prefix_callback_array_kernelILj512ELj4ELN6hipcub18BlockScanAlgorithmE1EjEvPT2_S3_S2_,"axG",@progbits,_Z43exclusive_scan_prefix_callback_array_kernelILj512ELj4ELN6hipcub18BlockScanAlgorithmE1EjEvPT2_S3_S2_,comdat
.Lfunc_end274:
	.size	_Z43exclusive_scan_prefix_callback_array_kernelILj512ELj4ELN6hipcub18BlockScanAlgorithmE1EjEvPT2_S3_S2_, .Lfunc_end274-_Z43exclusive_scan_prefix_callback_array_kernelILj512ELj4ELN6hipcub18BlockScanAlgorithmE1EjEvPT2_S3_S2_
                                        ; -- End function
	.section	.AMDGPU.csdata,"",@progbits
; Kernel info:
; codeLenInByte = 980
; NumSgprs: 18
; NumVgprs: 30
; ScratchSize: 0
; MemoryBound: 0
; FloatMode: 240
; IeeeMode: 1
; LDSByteSize: 2112 bytes/workgroup (compile time only)
; SGPRBlocks: 2
; VGPRBlocks: 3
; NumSGPRsForWavesPerEU: 18
; NumVGPRsForWavesPerEU: 30
; Occupancy: 16
; WaveLimiterHint : 0
; COMPUTE_PGM_RSRC2:SCRATCH_EN: 0
; COMPUTE_PGM_RSRC2:USER_SGPR: 15
; COMPUTE_PGM_RSRC2:TRAP_HANDLER: 0
; COMPUTE_PGM_RSRC2:TGID_X_EN: 1
; COMPUTE_PGM_RSRC2:TGID_Y_EN: 0
; COMPUTE_PGM_RSRC2:TGID_Z_EN: 0
; COMPUTE_PGM_RSRC2:TIDIG_COMP_CNT: 0
	.section	.text._Z43exclusive_scan_prefix_callback_array_kernelILj256ELj3ELN6hipcub18BlockScanAlgorithmE1EiEvPT2_S3_S2_,"axG",@progbits,_Z43exclusive_scan_prefix_callback_array_kernelILj256ELj3ELN6hipcub18BlockScanAlgorithmE1EiEvPT2_S3_S2_,comdat
	.protected	_Z43exclusive_scan_prefix_callback_array_kernelILj256ELj3ELN6hipcub18BlockScanAlgorithmE1EiEvPT2_S3_S2_ ; -- Begin function _Z43exclusive_scan_prefix_callback_array_kernelILj256ELj3ELN6hipcub18BlockScanAlgorithmE1EiEvPT2_S3_S2_
	.globl	_Z43exclusive_scan_prefix_callback_array_kernelILj256ELj3ELN6hipcub18BlockScanAlgorithmE1EiEvPT2_S3_S2_
	.p2align	8
	.type	_Z43exclusive_scan_prefix_callback_array_kernelILj256ELj3ELN6hipcub18BlockScanAlgorithmE1EiEvPT2_S3_S2_,@function
_Z43exclusive_scan_prefix_callback_array_kernelILj256ELj3ELN6hipcub18BlockScanAlgorithmE1EiEvPT2_S3_S2_: ; @_Z43exclusive_scan_prefix_callback_array_kernelILj256ELj3ELN6hipcub18BlockScanAlgorithmE1EiEvPT2_S3_S2_
; %bb.0:
	s_mov_b32 s8, s15
	s_load_b128 s[4:7], s[0:1], 0x0
	v_lshl_or_b32 v1, s8, 8, v0
	v_lshrrev_b32_e32 v11, 5, v0
	s_delay_alu instid0(VALU_DEP_2) | instskip(SKIP_1) | instid1(VALU_DEP_3)
	v_lshl_add_u32 v1, v1, 1, v1
	v_mov_b32_e32 v2, 0
	v_add_lshl_u32 v11, v11, v0, 2
	s_delay_alu instid0(VALU_DEP_2) | instskip(SKIP_2) | instid1(VALU_DEP_3)
	v_dual_mov_b32 v4, v2 :: v_dual_add_nc_u32 v3, 1, v1
	v_lshlrev_b64 v[5:6], 2, v[1:2]
	v_add_nc_u32_e32 v1, 2, v1
	v_lshlrev_b64 v[7:8], 2, v[3:4]
	s_delay_alu instid0(VALU_DEP_2) | instskip(SKIP_1) | instid1(VALU_DEP_4)
	v_lshlrev_b64 v[9:10], 2, v[1:2]
	s_waitcnt lgkmcnt(0)
	v_add_co_u32 v3, vcc_lo, s4, v5
	v_add_co_ci_u32_e32 v4, vcc_lo, s5, v6, vcc_lo
	s_delay_alu instid0(VALU_DEP_4)
	v_add_co_u32 v5, vcc_lo, s4, v7
	v_add_co_ci_u32_e32 v6, vcc_lo, s5, v8, vcc_lo
	v_add_co_u32 v7, vcc_lo, s4, v9
	v_add_co_ci_u32_e32 v8, vcc_lo, s5, v10, vcc_lo
	s_clause 0x2
	global_load_b32 v1, v[3:4], off
	global_load_b32 v9, v[5:6], off
	;; [unrolled: 1-line block ×3, first 2 shown]
	v_cmp_gt_u32_e32 vcc_lo, 32, v0
	s_waitcnt vmcnt(0)
	v_add3_u32 v10, v9, v1, v10
	ds_store_b32 v11, v10
	s_waitcnt lgkmcnt(0)
	s_barrier
	buffer_gl0_inv
	s_and_saveexec_b32 s3, vcc_lo
	s_cbranch_execz .LBB275_2
; %bb.1:
	v_and_b32_e32 v11, 0xfc, v0
	v_mbcnt_lo_u32_b32 v21, -1, 0
	s_delay_alu instid0(VALU_DEP_2) | instskip(NEXT) | instid1(VALU_DEP_2)
	v_lshl_or_b32 v19, v0, 5, v11
	v_and_b32_e32 v22, 15, v21
	v_add_nc_u32_e32 v24, -1, v21
	ds_load_2addr_b32 v[11:12], v19 offset1:1
	ds_load_2addr_b32 v[13:14], v19 offset0:2 offset1:3
	ds_load_2addr_b32 v[15:16], v19 offset0:4 offset1:5
	ds_load_2addr_b32 v[17:18], v19 offset0:6 offset1:7
	v_cmp_ne_u32_e64 s2, 0, v22
	s_waitcnt lgkmcnt(3)
	v_add_nc_u32_e32 v20, v12, v11
	s_waitcnt lgkmcnt(2)
	s_delay_alu instid0(VALU_DEP_1) | instskip(SKIP_1) | instid1(VALU_DEP_1)
	v_add3_u32 v20, v20, v13, v14
	s_waitcnt lgkmcnt(1)
	v_add3_u32 v20, v20, v15, v16
	s_waitcnt lgkmcnt(0)
	s_delay_alu instid0(VALU_DEP_1) | instskip(NEXT) | instid1(VALU_DEP_1)
	v_add3_u32 v20, v20, v17, v18
	v_mov_b32_dpp v23, v20 row_shr:1 row_mask:0xf bank_mask:0xf
	s_delay_alu instid0(VALU_DEP_1) | instskip(SKIP_1) | instid1(VALU_DEP_2)
	v_cndmask_b32_e64 v23, 0, v23, s2
	v_cmp_lt_u32_e64 s2, 1, v22
	v_add_nc_u32_e32 v20, v23, v20
	s_delay_alu instid0(VALU_DEP_1) | instskip(NEXT) | instid1(VALU_DEP_1)
	v_mov_b32_dpp v23, v20 row_shr:2 row_mask:0xf bank_mask:0xf
	v_cndmask_b32_e64 v23, 0, v23, s2
	v_cmp_lt_u32_e64 s2, 3, v22
	s_delay_alu instid0(VALU_DEP_2) | instskip(NEXT) | instid1(VALU_DEP_1)
	v_add_nc_u32_e32 v20, v20, v23
	v_mov_b32_dpp v23, v20 row_shr:4 row_mask:0xf bank_mask:0xf
	s_delay_alu instid0(VALU_DEP_1) | instskip(SKIP_1) | instid1(VALU_DEP_2)
	v_cndmask_b32_e64 v23, 0, v23, s2
	v_cmp_lt_u32_e64 s2, 7, v22
	v_add_nc_u32_e32 v20, v20, v23
	s_delay_alu instid0(VALU_DEP_1) | instskip(NEXT) | instid1(VALU_DEP_1)
	v_mov_b32_dpp v23, v20 row_shr:8 row_mask:0xf bank_mask:0xf
	v_cndmask_b32_e64 v22, 0, v23, s2
	v_bfe_i32 v23, v21, 4, 1
	v_cmp_gt_i32_e64 s2, 0, v24
	s_delay_alu instid0(VALU_DEP_3) | instskip(NEXT) | instid1(VALU_DEP_2)
	v_add_nc_u32_e32 v20, v20, v22
	v_cndmask_b32_e64 v21, v24, v21, s2
	v_cmp_eq_u32_e64 s2, 0, v0
	ds_swizzle_b32 v22, v20 offset:swizzle(BROADCAST,32,15)
	v_lshlrev_b32_e32 v21, 2, v21
	s_waitcnt lgkmcnt(0)
	v_and_b32_e32 v22, v23, v22
	s_delay_alu instid0(VALU_DEP_1) | instskip(SKIP_3) | instid1(VALU_DEP_1)
	v_add_nc_u32_e32 v20, v20, v22
	ds_bpermute_b32 v20, v21, v20
	s_waitcnt lgkmcnt(0)
	v_add_nc_u32_e32 v11, v20, v11
	v_cndmask_b32_e64 v10, v11, v10, s2
	s_delay_alu instid0(VALU_DEP_1) | instskip(NEXT) | instid1(VALU_DEP_1)
	v_add_nc_u32_e32 v11, v10, v12
	v_add_nc_u32_e32 v12, v11, v13
	s_delay_alu instid0(VALU_DEP_1) | instskip(NEXT) | instid1(VALU_DEP_1)
	v_add_nc_u32_e32 v13, v12, v14
	v_add_nc_u32_e32 v14, v13, v15
	;; [unrolled: 3-line block ×3, first 2 shown]
	s_delay_alu instid0(VALU_DEP_1)
	v_add_nc_u32_e32 v17, v16, v18
	ds_store_2addr_b32 v19, v10, v11 offset1:1
	ds_store_2addr_b32 v19, v12, v13 offset0:2 offset1:3
	ds_store_2addr_b32 v19, v14, v15 offset0:4 offset1:5
	;; [unrolled: 1-line block ×3, first 2 shown]
.LBB275_2:
	s_or_b32 exec_lo, exec_lo, s3
	v_cmp_eq_u32_e64 s2, 0, v0
	s_mov_b32 s4, exec_lo
	s_waitcnt lgkmcnt(0)
	s_barrier
	buffer_gl0_inv
	v_cmpx_ne_u32_e32 0, v0
	s_cbranch_execz .LBB275_4
; %bb.3:
	v_add_nc_u32_e32 v0, -1, v0
	s_delay_alu instid0(VALU_DEP_1) | instskip(NEXT) | instid1(VALU_DEP_1)
	v_lshrrev_b32_e32 v2, 5, v0
	v_add_lshl_u32 v0, v2, v0, 2
	ds_load_b32 v2, v0
.LBB275_4:
	s_or_b32 exec_lo, exec_lo, s4
	s_load_b32 s1, s[0:1], 0x10
	s_waitcnt lgkmcnt(0)
	v_mov_b32_e32 v0, s1
	s_and_saveexec_b32 s0, vcc_lo
	s_cbranch_execz .LBB275_8
; %bb.5:
	v_mov_b32_e32 v10, 0
	ds_load_b32 v0, v10 offset:1048
	s_and_saveexec_b32 s3, s2
	s_cbranch_execz .LBB275_7
; %bb.6:
	v_mov_b32_e32 v11, s1
	ds_store_b32 v10, v11
.LBB275_7:
	s_or_b32 exec_lo, exec_lo, s3
	s_waitcnt lgkmcnt(0)
	v_add_nc_u32_e32 v0, s1, v0
.LBB275_8:
	s_or_b32 exec_lo, exec_lo, s0
	v_mov_b32_e32 v10, 0
	s_barrier
	buffer_gl0_inv
	ds_load_b32 v11, v10
	s_waitcnt lgkmcnt(0)
	v_add_nc_u32_e32 v2, v11, v2
	s_delay_alu instid0(VALU_DEP_1) | instskip(NEXT) | instid1(VALU_DEP_1)
	v_add_nc_u32_e32 v1, v2, v1
	v_add_nc_u32_e32 v9, v1, v9
	s_clause 0x2
	global_store_b32 v[3:4], v2, off
	global_store_b32 v[5:6], v1, off
	;; [unrolled: 1-line block ×3, first 2 shown]
	s_and_saveexec_b32 s0, s2
	s_cbranch_execz .LBB275_10
; %bb.9:
	s_mov_b32 s9, 0
	s_delay_alu instid0(SALU_CYCLE_1) | instskip(NEXT) | instid1(SALU_CYCLE_1)
	s_lshl_b64 s[0:1], s[8:9], 2
	s_add_u32 s0, s6, s0
	s_addc_u32 s1, s7, s1
	global_store_b32 v10, v0, s[0:1]
.LBB275_10:
	s_nop 0
	s_sendmsg sendmsg(MSG_DEALLOC_VGPRS)
	s_endpgm
	.section	.rodata,"a",@progbits
	.p2align	6, 0x0
	.amdhsa_kernel _Z43exclusive_scan_prefix_callback_array_kernelILj256ELj3ELN6hipcub18BlockScanAlgorithmE1EiEvPT2_S3_S2_
		.amdhsa_group_segment_fixed_size 1056
		.amdhsa_private_segment_fixed_size 0
		.amdhsa_kernarg_size 20
		.amdhsa_user_sgpr_count 15
		.amdhsa_user_sgpr_dispatch_ptr 0
		.amdhsa_user_sgpr_queue_ptr 0
		.amdhsa_user_sgpr_kernarg_segment_ptr 1
		.amdhsa_user_sgpr_dispatch_id 0
		.amdhsa_user_sgpr_private_segment_size 0
		.amdhsa_wavefront_size32 1
		.amdhsa_uses_dynamic_stack 0
		.amdhsa_enable_private_segment 0
		.amdhsa_system_sgpr_workgroup_id_x 1
		.amdhsa_system_sgpr_workgroup_id_y 0
		.amdhsa_system_sgpr_workgroup_id_z 0
		.amdhsa_system_sgpr_workgroup_info 0
		.amdhsa_system_vgpr_workitem_id 0
		.amdhsa_next_free_vgpr 25
		.amdhsa_next_free_sgpr 16
		.amdhsa_reserve_vcc 1
		.amdhsa_float_round_mode_32 0
		.amdhsa_float_round_mode_16_64 0
		.amdhsa_float_denorm_mode_32 3
		.amdhsa_float_denorm_mode_16_64 3
		.amdhsa_dx10_clamp 1
		.amdhsa_ieee_mode 1
		.amdhsa_fp16_overflow 0
		.amdhsa_workgroup_processor_mode 1
		.amdhsa_memory_ordered 1
		.amdhsa_forward_progress 0
		.amdhsa_shared_vgpr_count 0
		.amdhsa_exception_fp_ieee_invalid_op 0
		.amdhsa_exception_fp_denorm_src 0
		.amdhsa_exception_fp_ieee_div_zero 0
		.amdhsa_exception_fp_ieee_overflow 0
		.amdhsa_exception_fp_ieee_underflow 0
		.amdhsa_exception_fp_ieee_inexact 0
		.amdhsa_exception_int_div_zero 0
	.end_amdhsa_kernel
	.section	.text._Z43exclusive_scan_prefix_callback_array_kernelILj256ELj3ELN6hipcub18BlockScanAlgorithmE1EiEvPT2_S3_S2_,"axG",@progbits,_Z43exclusive_scan_prefix_callback_array_kernelILj256ELj3ELN6hipcub18BlockScanAlgorithmE1EiEvPT2_S3_S2_,comdat
.Lfunc_end275:
	.size	_Z43exclusive_scan_prefix_callback_array_kernelILj256ELj3ELN6hipcub18BlockScanAlgorithmE1EiEvPT2_S3_S2_, .Lfunc_end275-_Z43exclusive_scan_prefix_callback_array_kernelILj256ELj3ELN6hipcub18BlockScanAlgorithmE1EiEvPT2_S3_S2_
                                        ; -- End function
	.section	.AMDGPU.csdata,"",@progbits
; Kernel info:
; codeLenInByte = 892
; NumSgprs: 18
; NumVgprs: 25
; ScratchSize: 0
; MemoryBound: 0
; FloatMode: 240
; IeeeMode: 1
; LDSByteSize: 1056 bytes/workgroup (compile time only)
; SGPRBlocks: 2
; VGPRBlocks: 3
; NumSGPRsForWavesPerEU: 18
; NumVGPRsForWavesPerEU: 25
; Occupancy: 16
; WaveLimiterHint : 0
; COMPUTE_PGM_RSRC2:SCRATCH_EN: 0
; COMPUTE_PGM_RSRC2:USER_SGPR: 15
; COMPUTE_PGM_RSRC2:TRAP_HANDLER: 0
; COMPUTE_PGM_RSRC2:TGID_X_EN: 1
; COMPUTE_PGM_RSRC2:TGID_Y_EN: 0
; COMPUTE_PGM_RSRC2:TGID_Z_EN: 0
; COMPUTE_PGM_RSRC2:TIDIG_COMP_CNT: 0
	.section	.text._Z43exclusive_scan_prefix_callback_array_kernelILj32ELj2ELN6hipcub18BlockScanAlgorithmE1EfEvPT2_S3_S2_,"axG",@progbits,_Z43exclusive_scan_prefix_callback_array_kernelILj32ELj2ELN6hipcub18BlockScanAlgorithmE1EfEvPT2_S3_S2_,comdat
	.protected	_Z43exclusive_scan_prefix_callback_array_kernelILj32ELj2ELN6hipcub18BlockScanAlgorithmE1EfEvPT2_S3_S2_ ; -- Begin function _Z43exclusive_scan_prefix_callback_array_kernelILj32ELj2ELN6hipcub18BlockScanAlgorithmE1EfEvPT2_S3_S2_
	.globl	_Z43exclusive_scan_prefix_callback_array_kernelILj32ELj2ELN6hipcub18BlockScanAlgorithmE1EfEvPT2_S3_S2_
	.p2align	8
	.type	_Z43exclusive_scan_prefix_callback_array_kernelILj32ELj2ELN6hipcub18BlockScanAlgorithmE1EfEvPT2_S3_S2_,@function
_Z43exclusive_scan_prefix_callback_array_kernelILj32ELj2ELN6hipcub18BlockScanAlgorithmE1EfEvPT2_S3_S2_: ; @_Z43exclusive_scan_prefix_callback_array_kernelILj32ELj2ELN6hipcub18BlockScanAlgorithmE1EfEvPT2_S3_S2_
; %bb.0:
	s_load_b128 s[4:7], s[0:1], 0x0
	v_lshlrev_b32_e32 v1, 1, v0
	s_mov_b32 s2, s15
	v_mov_b32_e32 v5, 0
	s_mov_b32 s3, exec_lo
	s_delay_alu instid0(VALU_DEP_2) | instskip(NEXT) | instid1(VALU_DEP_1)
	v_lshl_or_b32 v4, s2, 6, v1
	v_lshlrev_b64 v[1:2], 2, v[4:5]
	s_waitcnt lgkmcnt(0)
	s_delay_alu instid0(VALU_DEP_1) | instskip(NEXT) | instid1(VALU_DEP_2)
	v_add_co_u32 v1, vcc_lo, s4, v1
	v_add_co_ci_u32_e32 v2, vcc_lo, s5, v2, vcc_lo
	global_load_b64 v[3:4], v[1:2], off
	s_waitcnt vmcnt(0)
	v_add_f32_e32 v6, v3, v4
	v_mbcnt_lo_u32_b32 v4, -1, 0
	s_delay_alu instid0(VALU_DEP_2) | instskip(NEXT) | instid1(VALU_DEP_1)
	v_mov_b32_dpp v7, v6 row_shr:1 row_mask:0xf bank_mask:0xf
	v_dual_add_f32 v7, v6, v7 :: v_dual_and_b32 v8, 15, v4
	s_delay_alu instid0(VALU_DEP_1) | instskip(NEXT) | instid1(VALU_DEP_2)
	v_cmp_eq_u32_e32 vcc_lo, 0, v8
	v_cndmask_b32_e32 v6, v7, v6, vcc_lo
	v_cmp_lt_u32_e32 vcc_lo, 1, v8
	s_delay_alu instid0(VALU_DEP_2) | instskip(NEXT) | instid1(VALU_DEP_1)
	v_mov_b32_dpp v7, v6 row_shr:2 row_mask:0xf bank_mask:0xf
	v_add_f32_e32 v7, v6, v7
	s_delay_alu instid0(VALU_DEP_1) | instskip(SKIP_1) | instid1(VALU_DEP_2)
	v_cndmask_b32_e32 v6, v6, v7, vcc_lo
	v_cmp_lt_u32_e32 vcc_lo, 3, v8
	v_mov_b32_dpp v7, v6 row_shr:4 row_mask:0xf bank_mask:0xf
	s_delay_alu instid0(VALU_DEP_1) | instskip(NEXT) | instid1(VALU_DEP_1)
	v_add_f32_e32 v7, v6, v7
	v_cndmask_b32_e32 v6, v6, v7, vcc_lo
	v_cmp_lt_u32_e32 vcc_lo, 7, v8
	v_and_b32_e32 v8, 16, v4
	s_delay_alu instid0(VALU_DEP_3) | instskip(NEXT) | instid1(VALU_DEP_1)
	v_mov_b32_dpp v7, v6 row_shr:8 row_mask:0xf bank_mask:0xf
	v_add_f32_e32 v7, v6, v7
	s_delay_alu instid0(VALU_DEP_1) | instskip(NEXT) | instid1(VALU_DEP_4)
	v_cndmask_b32_e32 v6, v6, v7, vcc_lo
	v_cmp_eq_u32_e32 vcc_lo, 0, v8
	ds_swizzle_b32 v7, v6 offset:swizzle(BROADCAST,32,15)
	s_waitcnt lgkmcnt(0)
	v_add_f32_e32 v7, v6, v7
	s_delay_alu instid0(VALU_DEP_1)
	v_cndmask_b32_e32 v6, v7, v6, vcc_lo
	v_cmpx_eq_u32_e32 31, v0
	s_cbranch_execz .LBB276_2
; %bb.1:
	ds_store_b32 v5, v6
.LBB276_2:
	s_or_b32 exec_lo, exec_lo, s3
	s_load_b32 s0, s[0:1], 0x10
	v_add_nc_u32_e32 v5, -1, v4
	s_mov_b32 s1, exec_lo
	s_waitcnt vmcnt(0) lgkmcnt(0)
	s_waitcnt_vscnt null, 0x0
	; wave barrier
	s_waitcnt lgkmcnt(0)
	buffer_gl0_inv
	v_cmp_gt_i32_e32 vcc_lo, 0, v5
	v_cndmask_b32_e32 v4, v5, v4, vcc_lo
	s_delay_alu instid0(VALU_DEP_1)
	v_lshlrev_b32_e32 v4, 2, v4
	ds_bpermute_b32 v5, v4, v6
	v_mov_b32_e32 v4, s0
	v_cmpx_gt_u32_e32 32, v0
	s_cbranch_execz .LBB276_6
; %bb.3:
	v_mov_b32_e32 v6, 0
	s_mov_b32 s3, exec_lo
	ds_load_b32 v4, v6
	v_cmpx_eq_u32_e32 0, v0
	s_cbranch_execz .LBB276_5
; %bb.4:
	v_mov_b32_e32 v7, s0
	ds_store_b32 v6, v7
.LBB276_5:
	s_or_b32 exec_lo, exec_lo, s3
	s_waitcnt lgkmcnt(0)
	v_add_f32_e32 v4, s0, v4
.LBB276_6:
	s_or_b32 exec_lo, exec_lo, s1
	v_mov_b32_e32 v6, 0
	s_waitcnt vmcnt(0) lgkmcnt(0)
	s_waitcnt_vscnt null, 0x0
	; wave barrier
	s_waitcnt lgkmcnt(0)
	buffer_gl0_inv
	v_cmp_eq_u32_e32 vcc_lo, 0, v0
	s_mov_b32 s3, 0
	ds_load_b32 v7, v6
	s_waitcnt lgkmcnt(0)
	v_add_f32_e32 v5, v7, v5
	s_delay_alu instid0(VALU_DEP_1) | instskip(NEXT) | instid1(VALU_DEP_1)
	v_cndmask_b32_e32 v7, v5, v7, vcc_lo
	v_add_f32_e32 v8, v3, v7
	global_store_b64 v[1:2], v[7:8], off
	s_and_saveexec_b32 s0, vcc_lo
	s_cbranch_execz .LBB276_8
; %bb.7:
	s_lshl_b64 s[0:1], s[2:3], 2
	s_delay_alu instid0(SALU_CYCLE_1)
	s_add_u32 s0, s6, s0
	s_addc_u32 s1, s7, s1
	global_store_b32 v6, v4, s[0:1]
.LBB276_8:
	s_nop 0
	s_sendmsg sendmsg(MSG_DEALLOC_VGPRS)
	s_endpgm
	.section	.rodata,"a",@progbits
	.p2align	6, 0x0
	.amdhsa_kernel _Z43exclusive_scan_prefix_callback_array_kernelILj32ELj2ELN6hipcub18BlockScanAlgorithmE1EfEvPT2_S3_S2_
		.amdhsa_group_segment_fixed_size 4
		.amdhsa_private_segment_fixed_size 0
		.amdhsa_kernarg_size 20
		.amdhsa_user_sgpr_count 15
		.amdhsa_user_sgpr_dispatch_ptr 0
		.amdhsa_user_sgpr_queue_ptr 0
		.amdhsa_user_sgpr_kernarg_segment_ptr 1
		.amdhsa_user_sgpr_dispatch_id 0
		.amdhsa_user_sgpr_private_segment_size 0
		.amdhsa_wavefront_size32 1
		.amdhsa_uses_dynamic_stack 0
		.amdhsa_enable_private_segment 0
		.amdhsa_system_sgpr_workgroup_id_x 1
		.amdhsa_system_sgpr_workgroup_id_y 0
		.amdhsa_system_sgpr_workgroup_id_z 0
		.amdhsa_system_sgpr_workgroup_info 0
		.amdhsa_system_vgpr_workitem_id 0
		.amdhsa_next_free_vgpr 9
		.amdhsa_next_free_sgpr 16
		.amdhsa_reserve_vcc 1
		.amdhsa_float_round_mode_32 0
		.amdhsa_float_round_mode_16_64 0
		.amdhsa_float_denorm_mode_32 3
		.amdhsa_float_denorm_mode_16_64 3
		.amdhsa_dx10_clamp 1
		.amdhsa_ieee_mode 1
		.amdhsa_fp16_overflow 0
		.amdhsa_workgroup_processor_mode 1
		.amdhsa_memory_ordered 1
		.amdhsa_forward_progress 0
		.amdhsa_shared_vgpr_count 0
		.amdhsa_exception_fp_ieee_invalid_op 0
		.amdhsa_exception_fp_denorm_src 0
		.amdhsa_exception_fp_ieee_div_zero 0
		.amdhsa_exception_fp_ieee_overflow 0
		.amdhsa_exception_fp_ieee_underflow 0
		.amdhsa_exception_fp_ieee_inexact 0
		.amdhsa_exception_int_div_zero 0
	.end_amdhsa_kernel
	.section	.text._Z43exclusive_scan_prefix_callback_array_kernelILj32ELj2ELN6hipcub18BlockScanAlgorithmE1EfEvPT2_S3_S2_,"axG",@progbits,_Z43exclusive_scan_prefix_callback_array_kernelILj32ELj2ELN6hipcub18BlockScanAlgorithmE1EfEvPT2_S3_S2_,comdat
.Lfunc_end276:
	.size	_Z43exclusive_scan_prefix_callback_array_kernelILj32ELj2ELN6hipcub18BlockScanAlgorithmE1EfEvPT2_S3_S2_, .Lfunc_end276-_Z43exclusive_scan_prefix_callback_array_kernelILj32ELj2ELN6hipcub18BlockScanAlgorithmE1EfEvPT2_S3_S2_
                                        ; -- End function
	.section	.AMDGPU.csdata,"",@progbits
; Kernel info:
; codeLenInByte = 488
; NumSgprs: 18
; NumVgprs: 9
; ScratchSize: 0
; MemoryBound: 0
; FloatMode: 240
; IeeeMode: 1
; LDSByteSize: 4 bytes/workgroup (compile time only)
; SGPRBlocks: 2
; VGPRBlocks: 1
; NumSGPRsForWavesPerEU: 18
; NumVGPRsForWavesPerEU: 9
; Occupancy: 16
; WaveLimiterHint : 0
; COMPUTE_PGM_RSRC2:SCRATCH_EN: 0
; COMPUTE_PGM_RSRC2:USER_SGPR: 15
; COMPUTE_PGM_RSRC2:TRAP_HANDLER: 0
; COMPUTE_PGM_RSRC2:TGID_X_EN: 1
; COMPUTE_PGM_RSRC2:TGID_Y_EN: 0
; COMPUTE_PGM_RSRC2:TGID_Z_EN: 0
; COMPUTE_PGM_RSRC2:TIDIG_COMP_CNT: 0
	.section	.text._Z43exclusive_scan_prefix_callback_array_kernelILj6ELj32ELN6hipcub18BlockScanAlgorithmE1EfEvPT2_S3_S2_,"axG",@progbits,_Z43exclusive_scan_prefix_callback_array_kernelILj6ELj32ELN6hipcub18BlockScanAlgorithmE1EfEvPT2_S3_S2_,comdat
	.protected	_Z43exclusive_scan_prefix_callback_array_kernelILj6ELj32ELN6hipcub18BlockScanAlgorithmE1EfEvPT2_S3_S2_ ; -- Begin function _Z43exclusive_scan_prefix_callback_array_kernelILj6ELj32ELN6hipcub18BlockScanAlgorithmE1EfEvPT2_S3_S2_
	.globl	_Z43exclusive_scan_prefix_callback_array_kernelILj6ELj32ELN6hipcub18BlockScanAlgorithmE1EfEvPT2_S3_S2_
	.p2align	8
	.type	_Z43exclusive_scan_prefix_callback_array_kernelILj6ELj32ELN6hipcub18BlockScanAlgorithmE1EfEvPT2_S3_S2_,@function
_Z43exclusive_scan_prefix_callback_array_kernelILj6ELj32ELN6hipcub18BlockScanAlgorithmE1EfEvPT2_S3_S2_: ; @_Z43exclusive_scan_prefix_callback_array_kernelILj6ELj32ELN6hipcub18BlockScanAlgorithmE1EfEvPT2_S3_S2_
; %bb.0:
	s_load_b128 s[4:7], s[0:1], 0x0
	s_mul_i32 s3, s15, 6
	v_mov_b32_e32 v35, 0
	v_add_lshl_u32 v34, s3, v0, 5
	s_mov_b32 s2, s15
	s_mov_b32 s3, exec_lo
	s_delay_alu instid0(VALU_DEP_1) | instskip(SKIP_1) | instid1(VALU_DEP_1)
	v_lshlrev_b64 v[1:2], 2, v[34:35]
	s_waitcnt lgkmcnt(0)
	v_add_co_u32 v33, vcc_lo, s4, v1
	s_delay_alu instid0(VALU_DEP_2)
	v_add_co_ci_u32_e32 v34, vcc_lo, s5, v2, vcc_lo
	s_clause 0x7
	global_load_b128 v[29:32], v[33:34], off
	global_load_b128 v[25:28], v[33:34], off offset:16
	global_load_b128 v[21:24], v[33:34], off offset:32
	;; [unrolled: 1-line block ×7, first 2 shown]
	s_waitcnt vmcnt(7)
	v_add_f32_e32 v36, v29, v30
	s_delay_alu instid0(VALU_DEP_1) | instskip(NEXT) | instid1(VALU_DEP_1)
	v_add_f32_e32 v36, v36, v31
	v_add_f32_e32 v36, v36, v32
	s_waitcnt vmcnt(6)
	s_delay_alu instid0(VALU_DEP_1) | instskip(NEXT) | instid1(VALU_DEP_1)
	v_add_f32_e32 v36, v36, v25
	v_add_f32_e32 v36, v36, v26
	s_delay_alu instid0(VALU_DEP_1) | instskip(NEXT) | instid1(VALU_DEP_1)
	v_add_f32_e32 v36, v36, v27
	v_add_f32_e32 v36, v36, v28
	s_waitcnt vmcnt(5)
	s_delay_alu instid0(VALU_DEP_1) | instskip(NEXT) | instid1(VALU_DEP_1)
	v_add_f32_e32 v36, v36, v21
	;; [unrolled: 7-line block ×7, first 2 shown]
	v_add_f32_e32 v36, v36, v2
	s_delay_alu instid0(VALU_DEP_1) | instskip(NEXT) | instid1(VALU_DEP_1)
	v_add_f32_e32 v36, v36, v3
	v_add_f32_e32 v36, v36, v4
	v_mbcnt_lo_u32_b32 v4, -1, 0
	s_delay_alu instid0(VALU_DEP_2) | instskip(NEXT) | instid1(VALU_DEP_1)
	v_mov_b32_dpp v37, v36 row_shr:1 row_mask:0xf bank_mask:0xf
	v_dual_add_f32 v37, v36, v37 :: v_dual_and_b32 v38, 7, v4
	s_delay_alu instid0(VALU_DEP_1) | instskip(NEXT) | instid1(VALU_DEP_2)
	v_cmp_eq_u32_e32 vcc_lo, 0, v38
	v_cndmask_b32_e32 v36, v37, v36, vcc_lo
	v_cmp_lt_u32_e32 vcc_lo, 1, v38
	s_delay_alu instid0(VALU_DEP_2) | instskip(NEXT) | instid1(VALU_DEP_1)
	v_mov_b32_dpp v37, v36 row_shr:2 row_mask:0xf bank_mask:0xf
	v_add_f32_e32 v37, v36, v37
	s_delay_alu instid0(VALU_DEP_1) | instskip(SKIP_1) | instid1(VALU_DEP_2)
	v_cndmask_b32_e32 v36, v36, v37, vcc_lo
	v_cmp_lt_u32_e32 vcc_lo, 3, v38
	v_mov_b32_dpp v37, v36 row_shr:4 row_mask:0xf bank_mask:0xf
	s_delay_alu instid0(VALU_DEP_1) | instskip(NEXT) | instid1(VALU_DEP_1)
	v_add_f32_e32 v37, v36, v37
	v_cndmask_b32_e32 v36, v36, v37, vcc_lo
	v_cmpx_eq_u32_e32 5, v0
	s_cbranch_execz .LBB277_2
; %bb.1:
	ds_store_b32 v35, v36
.LBB277_2:
	s_or_b32 exec_lo, exec_lo, s3
	v_and_b32_e32 v37, 24, v4
	s_load_b32 s0, s[0:1], 0x10
	v_add_nc_u32_e32 v35, -1, v4
	s_mov_b32 s1, exec_lo
	s_waitcnt vmcnt(0) lgkmcnt(0)
	s_waitcnt_vscnt null, 0x0
	; wave barrier
	s_waitcnt lgkmcnt(0)
	buffer_gl0_inv
	v_cmp_lt_i32_e32 vcc_lo, v35, v37
	v_cndmask_b32_e32 v4, v35, v4, vcc_lo
	s_delay_alu instid0(VALU_DEP_1)
	v_lshlrev_b32_e32 v4, 2, v4
	ds_bpermute_b32 v36, v4, v36
	v_mov_b32_e32 v4, s0
	v_cmpx_gt_u32_e32 32, v0
	s_cbranch_execz .LBB277_6
; %bb.3:
	v_mov_b32_e32 v35, 0
	s_mov_b32 s3, exec_lo
	ds_load_b32 v4, v35
	v_cmpx_eq_u32_e32 0, v0
	s_cbranch_execz .LBB277_5
; %bb.4:
	v_mov_b32_e32 v37, s0
	ds_store_b32 v35, v37
.LBB277_5:
	s_or_b32 exec_lo, exec_lo, s3
	s_waitcnt lgkmcnt(0)
	v_add_f32_e32 v4, s0, v4
.LBB277_6:
	s_or_b32 exec_lo, exec_lo, s1
	v_mov_b32_e32 v35, 0
	s_waitcnt vmcnt(0) lgkmcnt(0)
	s_waitcnt_vscnt null, 0x0
	; wave barrier
	s_waitcnt lgkmcnt(0)
	buffer_gl0_inv
	v_cmp_eq_u32_e32 vcc_lo, 0, v0
	s_mov_b32 s3, 0
	ds_load_b32 v37, v35
	s_waitcnt lgkmcnt(0)
	v_add_f32_e32 v36, v37, v36
	s_delay_alu instid0(VALU_DEP_1) | instskip(NEXT) | instid1(VALU_DEP_1)
	v_cndmask_b32_e32 v36, v36, v37, vcc_lo
	v_add_f32_e32 v37, v29, v36
	s_delay_alu instid0(VALU_DEP_1) | instskip(NEXT) | instid1(VALU_DEP_1)
	v_add_f32_e32 v38, v30, v37
	v_add_f32_e32 v39, v38, v31
	s_delay_alu instid0(VALU_DEP_1) | instskip(NEXT) | instid1(VALU_DEP_1)
	v_add_f32_e32 v29, v39, v32
	;; [unrolled: 3-line block ×4, first 2 shown]
	v_add_f32_e32 v26, v25, v21
	s_clause 0x1
	global_store_b128 v[33:34], v[36:39], off
	global_store_b128 v[33:34], v[29:32], off offset:16
	v_add_f32_e32 v27, v26, v22
	s_delay_alu instid0(VALU_DEP_1) | instskip(NEXT) | instid1(VALU_DEP_1)
	v_add_f32_e32 v28, v27, v23
	v_add_f32_e32 v21, v28, v24
	s_delay_alu instid0(VALU_DEP_1) | instskip(NEXT) | instid1(VALU_DEP_1)
	v_add_f32_e32 v22, v21, v13
	;; [unrolled: 3-line block ×10, first 2 shown]
	v_add_f32_e32 v2, v1, v2
	s_delay_alu instid0(VALU_DEP_1)
	v_add_f32_e32 v3, v2, v3
	s_clause 0x5
	global_store_b128 v[33:34], v[25:28], off offset:32
	global_store_b128 v[33:34], v[21:24], off offset:48
	;; [unrolled: 1-line block ×6, first 2 shown]
	s_and_saveexec_b32 s0, vcc_lo
	s_cbranch_execz .LBB277_8
; %bb.7:
	s_lshl_b64 s[0:1], s[2:3], 2
	s_delay_alu instid0(SALU_CYCLE_1)
	s_add_u32 s0, s6, s0
	s_addc_u32 s1, s7, s1
	global_store_b32 v35, v4, s[0:1]
.LBB277_8:
	s_nop 0
	s_sendmsg sendmsg(MSG_DEALLOC_VGPRS)
	s_endpgm
	.section	.rodata,"a",@progbits
	.p2align	6, 0x0
	.amdhsa_kernel _Z43exclusive_scan_prefix_callback_array_kernelILj6ELj32ELN6hipcub18BlockScanAlgorithmE1EfEvPT2_S3_S2_
		.amdhsa_group_segment_fixed_size 4
		.amdhsa_private_segment_fixed_size 0
		.amdhsa_kernarg_size 20
		.amdhsa_user_sgpr_count 15
		.amdhsa_user_sgpr_dispatch_ptr 0
		.amdhsa_user_sgpr_queue_ptr 0
		.amdhsa_user_sgpr_kernarg_segment_ptr 1
		.amdhsa_user_sgpr_dispatch_id 0
		.amdhsa_user_sgpr_private_segment_size 0
		.amdhsa_wavefront_size32 1
		.amdhsa_uses_dynamic_stack 0
		.amdhsa_enable_private_segment 0
		.amdhsa_system_sgpr_workgroup_id_x 1
		.amdhsa_system_sgpr_workgroup_id_y 0
		.amdhsa_system_sgpr_workgroup_id_z 0
		.amdhsa_system_sgpr_workgroup_info 0
		.amdhsa_system_vgpr_workitem_id 0
		.amdhsa_next_free_vgpr 40
		.amdhsa_next_free_sgpr 16
		.amdhsa_reserve_vcc 1
		.amdhsa_float_round_mode_32 0
		.amdhsa_float_round_mode_16_64 0
		.amdhsa_float_denorm_mode_32 3
		.amdhsa_float_denorm_mode_16_64 3
		.amdhsa_dx10_clamp 1
		.amdhsa_ieee_mode 1
		.amdhsa_fp16_overflow 0
		.amdhsa_workgroup_processor_mode 1
		.amdhsa_memory_ordered 1
		.amdhsa_forward_progress 0
		.amdhsa_shared_vgpr_count 0
		.amdhsa_exception_fp_ieee_invalid_op 0
		.amdhsa_exception_fp_denorm_src 0
		.amdhsa_exception_fp_ieee_div_zero 0
		.amdhsa_exception_fp_ieee_overflow 0
		.amdhsa_exception_fp_ieee_underflow 0
		.amdhsa_exception_fp_ieee_inexact 0
		.amdhsa_exception_int_div_zero 0
	.end_amdhsa_kernel
	.section	.text._Z43exclusive_scan_prefix_callback_array_kernelILj6ELj32ELN6hipcub18BlockScanAlgorithmE1EfEvPT2_S3_S2_,"axG",@progbits,_Z43exclusive_scan_prefix_callback_array_kernelILj6ELj32ELN6hipcub18BlockScanAlgorithmE1EfEvPT2_S3_S2_,comdat
.Lfunc_end277:
	.size	_Z43exclusive_scan_prefix_callback_array_kernelILj6ELj32ELN6hipcub18BlockScanAlgorithmE1EfEvPT2_S3_S2_, .Lfunc_end277-_Z43exclusive_scan_prefix_callback_array_kernelILj6ELj32ELN6hipcub18BlockScanAlgorithmE1EfEvPT2_S3_S2_
                                        ; -- End function
	.section	.AMDGPU.csdata,"",@progbits
; Kernel info:
; codeLenInByte = 944
; NumSgprs: 18
; NumVgprs: 40
; ScratchSize: 0
; MemoryBound: 0
; FloatMode: 240
; IeeeMode: 1
; LDSByteSize: 4 bytes/workgroup (compile time only)
; SGPRBlocks: 2
; VGPRBlocks: 4
; NumSGPRsForWavesPerEU: 18
; NumVGPRsForWavesPerEU: 40
; Occupancy: 16
; WaveLimiterHint : 0
; COMPUTE_PGM_RSRC2:SCRATCH_EN: 0
; COMPUTE_PGM_RSRC2:USER_SGPR: 15
; COMPUTE_PGM_RSRC2:TRAP_HANDLER: 0
; COMPUTE_PGM_RSRC2:TGID_X_EN: 1
; COMPUTE_PGM_RSRC2:TGID_Y_EN: 0
; COMPUTE_PGM_RSRC2:TGID_Z_EN: 0
; COMPUTE_PGM_RSRC2:TIDIG_COMP_CNT: 0
	.section	.text._Z43exclusive_scan_prefix_callback_array_kernelILj16ELj5ELN6hipcub18BlockScanAlgorithmE0E12hip_bfloat16EvPT2_S4_S3_,"axG",@progbits,_Z43exclusive_scan_prefix_callback_array_kernelILj16ELj5ELN6hipcub18BlockScanAlgorithmE0E12hip_bfloat16EvPT2_S4_S3_,comdat
	.protected	_Z43exclusive_scan_prefix_callback_array_kernelILj16ELj5ELN6hipcub18BlockScanAlgorithmE0E12hip_bfloat16EvPT2_S4_S3_ ; -- Begin function _Z43exclusive_scan_prefix_callback_array_kernelILj16ELj5ELN6hipcub18BlockScanAlgorithmE0E12hip_bfloat16EvPT2_S4_S3_
	.globl	_Z43exclusive_scan_prefix_callback_array_kernelILj16ELj5ELN6hipcub18BlockScanAlgorithmE0E12hip_bfloat16EvPT2_S4_S3_
	.p2align	8
	.type	_Z43exclusive_scan_prefix_callback_array_kernelILj16ELj5ELN6hipcub18BlockScanAlgorithmE0E12hip_bfloat16EvPT2_S4_S3_,@function
_Z43exclusive_scan_prefix_callback_array_kernelILj16ELj5ELN6hipcub18BlockScanAlgorithmE0E12hip_bfloat16EvPT2_S4_S3_: ; @_Z43exclusive_scan_prefix_callback_array_kernelILj16ELj5ELN6hipcub18BlockScanAlgorithmE0E12hip_bfloat16EvPT2_S4_S3_
; %bb.0:
	s_mov_b32 s2, s15
	s_load_b128 s[4:7], s[0:1], 0x0
	v_lshl_or_b32 v1, s2, 4, v0
	s_delay_alu instid0(VALU_DEP_1) | instskip(NEXT) | instid1(VALU_DEP_1)
	v_lshl_add_u32 v8, v1, 2, v1
	v_dual_mov_b32 v9, 0 :: v_dual_add_nc_u32 v10, 2, v8
	s_delay_alu instid0(VALU_DEP_1) | instskip(SKIP_3) | instid1(VALU_DEP_4)
	v_dual_mov_b32 v2, v9 :: v_dual_add_nc_u32 v1, 1, v8
	v_dual_mov_b32 v4, v9 :: v_dual_add_nc_u32 v3, 3, v8
	v_lshlrev_b64 v[5:6], 1, v[8:9]
	v_add_nc_u32_e32 v8, 4, v8
	v_lshlrev_b64 v[11:12], 1, v[1:2]
	s_delay_alu instid0(VALU_DEP_4) | instskip(NEXT) | instid1(VALU_DEP_3)
	v_lshlrev_b64 v[1:2], 1, v[3:4]
	v_lshlrev_b64 v[7:8], 1, v[8:9]
	s_waitcnt lgkmcnt(0)
	v_add_co_u32 v3, vcc_lo, s4, v5
	v_add_co_ci_u32_e32 v4, vcc_lo, s5, v6, vcc_lo
	s_delay_alu instid0(VALU_DEP_4)
	v_add_co_u32 v1, vcc_lo, s4, v1
	v_add_co_ci_u32_e32 v2, vcc_lo, s5, v2, vcc_lo
	v_add_co_u32 v5, vcc_lo, s4, v7
	v_add_co_ci_u32_e32 v6, vcc_lo, s5, v8, vcc_lo
	v_add_co_u32 v7, vcc_lo, s4, v11
	v_mov_b32_e32 v11, v9
	v_add_co_ci_u32_e32 v8, vcc_lo, s5, v12, vcc_lo
	s_clause 0x3
	global_load_u16 v13, v[1:2], off
	global_load_u16 v15, v[5:6], off
	;; [unrolled: 1-line block ×4, first 2 shown]
	v_lshlrev_b64 v[9:10], 1, v[10:11]
	s_delay_alu instid0(VALU_DEP_1) | instskip(NEXT) | instid1(VALU_DEP_2)
	v_add_co_u32 v9, vcc_lo, s4, v9
	v_add_co_ci_u32_e32 v10, vcc_lo, s5, v10, vcc_lo
	global_load_u16 v12, v[9:10], off
	s_waitcnt vmcnt(2)
	v_lshlrev_b32_e32 v14, 16, v14
	s_waitcnt vmcnt(1)
	v_lshlrev_b32_e32 v11, 16, v16
	s_delay_alu instid0(VALU_DEP_1) | instskip(NEXT) | instid1(VALU_DEP_1)
	v_add_f32_e32 v16, v14, v11
	v_and_b32_e32 v17, 0x7f800000, v16
	s_delay_alu instid0(VALU_DEP_1) | instskip(SKIP_1) | instid1(SALU_CYCLE_1)
	v_cmp_ne_u32_e32 vcc_lo, 0x7f800000, v17
                                        ; implicit-def: $vgpr17
	s_and_saveexec_b32 s3, vcc_lo
	s_xor_b32 s3, exec_lo, s3
; %bb.1:
	v_bfe_u32 v17, v16, 16, 1
	s_delay_alu instid0(VALU_DEP_1)
	v_add3_u32 v17, v16, v17, 0x7fff
                                        ; implicit-def: $vgpr16
; %bb.2:
	s_and_not1_saveexec_b32 s3, s3
; %bb.3:
	v_and_b32_e32 v17, 0xffff, v16
	v_or_b32_e32 v18, 0x10000, v16
	s_delay_alu instid0(VALU_DEP_2) | instskip(NEXT) | instid1(VALU_DEP_2)
	v_cmp_eq_u32_e32 vcc_lo, 0, v17
	v_cndmask_b32_e32 v17, v18, v16, vcc_lo
; %bb.4:
	s_or_b32 exec_lo, exec_lo, s3
	s_delay_alu instid0(VALU_DEP_1) | instskip(SKIP_2) | instid1(VALU_DEP_1)
	v_and_b32_e32 v16, 0xffff0000, v17
	s_waitcnt vmcnt(0)
	v_lshlrev_b32_e32 v12, 16, v12
	v_add_f32_e32 v16, v16, v12
	s_delay_alu instid0(VALU_DEP_1) | instskip(NEXT) | instid1(VALU_DEP_1)
	v_and_b32_e32 v17, 0x7f800000, v16
	v_cmp_ne_u32_e32 vcc_lo, 0x7f800000, v17
                                        ; implicit-def: $vgpr17
	s_and_saveexec_b32 s3, vcc_lo
	s_delay_alu instid0(SALU_CYCLE_1)
	s_xor_b32 s3, exec_lo, s3
; %bb.5:
	v_bfe_u32 v17, v16, 16, 1
	s_delay_alu instid0(VALU_DEP_1)
	v_add3_u32 v17, v16, v17, 0x7fff
                                        ; implicit-def: $vgpr16
; %bb.6:
	s_and_not1_saveexec_b32 s3, s3
; %bb.7:
	v_and_b32_e32 v17, 0xffff, v16
	v_or_b32_e32 v18, 0x10000, v16
	s_delay_alu instid0(VALU_DEP_2) | instskip(NEXT) | instid1(VALU_DEP_2)
	v_cmp_eq_u32_e32 vcc_lo, 0, v17
	v_cndmask_b32_e32 v17, v18, v16, vcc_lo
; %bb.8:
	s_or_b32 exec_lo, exec_lo, s3
	s_delay_alu instid0(VALU_DEP_1) | instskip(SKIP_1) | instid1(VALU_DEP_1)
	v_and_b32_e32 v16, 0xffff0000, v17
	v_lshlrev_b32_e32 v13, 16, v13
	v_add_f32_e32 v16, v16, v13
	s_delay_alu instid0(VALU_DEP_1) | instskip(NEXT) | instid1(VALU_DEP_1)
	v_and_b32_e32 v17, 0x7f800000, v16
	v_cmp_ne_u32_e32 vcc_lo, 0x7f800000, v17
                                        ; implicit-def: $vgpr17
	s_and_saveexec_b32 s3, vcc_lo
	s_delay_alu instid0(SALU_CYCLE_1)
	s_xor_b32 s3, exec_lo, s3
; %bb.9:
	v_bfe_u32 v17, v16, 16, 1
	s_delay_alu instid0(VALU_DEP_1)
	v_add3_u32 v17, v16, v17, 0x7fff
                                        ; implicit-def: $vgpr16
; %bb.10:
	s_and_not1_saveexec_b32 s3, s3
; %bb.11:
	v_and_b32_e32 v17, 0xffff, v16
	v_or_b32_e32 v18, 0x10000, v16
	s_delay_alu instid0(VALU_DEP_2) | instskip(NEXT) | instid1(VALU_DEP_2)
	v_cmp_eq_u32_e32 vcc_lo, 0, v17
	v_cndmask_b32_e32 v17, v18, v16, vcc_lo
; %bb.12:
	s_or_b32 exec_lo, exec_lo, s3
	s_delay_alu instid0(VALU_DEP_1) | instskip(SKIP_1) | instid1(VALU_DEP_1)
	v_and_b32_e32 v16, 0xffff0000, v17
	v_lshlrev_b32_e32 v15, 16, v15
	v_add_f32_e32 v15, v16, v15
	s_delay_alu instid0(VALU_DEP_1) | instskip(NEXT) | instid1(VALU_DEP_1)
	v_and_b32_e32 v16, 0x7f800000, v15
	v_cmp_ne_u32_e32 vcc_lo, 0x7f800000, v16
                                        ; implicit-def: $vgpr16
	s_and_saveexec_b32 s3, vcc_lo
	s_delay_alu instid0(SALU_CYCLE_1)
	s_xor_b32 s3, exec_lo, s3
; %bb.13:
	v_bfe_u32 v16, v15, 16, 1
	s_delay_alu instid0(VALU_DEP_1)
	v_add3_u32 v16, v15, v16, 0x7fff
                                        ; implicit-def: $vgpr15
; %bb.14:
	s_and_not1_saveexec_b32 s3, s3
; %bb.15:
	v_and_b32_e32 v16, 0xffff, v15
	v_or_b32_e32 v17, 0x10000, v15
	s_delay_alu instid0(VALU_DEP_2) | instskip(NEXT) | instid1(VALU_DEP_2)
	v_cmp_eq_u32_e32 vcc_lo, 0, v16
	v_cndmask_b32_e32 v16, v17, v15, vcc_lo
; %bb.16:
	s_or_b32 exec_lo, exec_lo, s3
	s_delay_alu instid0(VALU_DEP_1) | instskip(SKIP_2) | instid1(VALU_DEP_2)
	v_lshrrev_b32_e32 v18, 16, v16
	v_and_b32_e32 v17, 0xffff0000, v16
	s_mov_b32 s3, exec_lo
                                        ; implicit-def: $vgpr19
	v_mov_b32_dpp v15, v18 row_shr:1 row_mask:0xf bank_mask:0xf
	s_delay_alu instid0(VALU_DEP_1) | instskip(NEXT) | instid1(VALU_DEP_1)
	v_lshlrev_b32_e32 v15, 16, v15
	v_add_f32_e32 v15, v17, v15
	s_delay_alu instid0(VALU_DEP_1) | instskip(NEXT) | instid1(VALU_DEP_1)
	v_and_b32_e32 v16, 0x7f800000, v15
	v_cmpx_ne_u32_e32 0x7f800000, v16
	s_xor_b32 s3, exec_lo, s3
; %bb.17:
	v_bfe_u32 v16, v15, 16, 1
	s_delay_alu instid0(VALU_DEP_1)
	v_add3_u32 v19, v15, v16, 0x7fff
                                        ; implicit-def: $vgpr15
; %bb.18:
	s_and_not1_saveexec_b32 s3, s3
; %bb.19:
	v_and_b32_e32 v16, 0xffff, v15
	v_or_b32_e32 v19, 0x10000, v15
	s_delay_alu instid0(VALU_DEP_2) | instskip(NEXT) | instid1(VALU_DEP_2)
	v_cmp_eq_u32_e32 vcc_lo, 0, v16
	v_cndmask_b32_e32 v19, v19, v15, vcc_lo
; %bb.20:
	s_or_b32 exec_lo, exec_lo, s3
	v_mbcnt_lo_u32_b32 v15, -1, 0
	s_delay_alu instid0(VALU_DEP_2) | instskip(SKIP_1) | instid1(VALU_DEP_3)
	v_lshrrev_b32_e32 v20, 16, v19
	v_and_b32_e32 v19, 0xffff0000, v19
	v_and_b32_e32 v16, 15, v15
	s_delay_alu instid0(VALU_DEP_1) | instskip(NEXT) | instid1(VALU_DEP_3)
	v_cmp_eq_u32_e32 vcc_lo, 0, v16
	v_dual_cndmask_b32 v17, v19, v17 :: v_dual_cndmask_b32 v18, v20, v18
	s_delay_alu instid0(VALU_DEP_1) | instskip(NEXT) | instid1(VALU_DEP_1)
	v_mov_b32_dpp v20, v18 row_shr:2 row_mask:0xf bank_mask:0xf
	v_lshlrev_b32_e32 v19, 16, v20
	s_delay_alu instid0(VALU_DEP_1) | instskip(NEXT) | instid1(VALU_DEP_1)
	v_add_f32_e32 v20, v17, v19
	v_and_b32_e32 v19, 0x7f800000, v20
	s_delay_alu instid0(VALU_DEP_1) | instskip(SKIP_1) | instid1(SALU_CYCLE_1)
	v_cmp_ne_u32_e32 vcc_lo, 0x7f800000, v19
                                        ; implicit-def: $vgpr19
	s_and_saveexec_b32 s3, vcc_lo
	s_xor_b32 s3, exec_lo, s3
; %bb.21:
	v_bfe_u32 v19, v20, 16, 1
	s_delay_alu instid0(VALU_DEP_1)
	v_add3_u32 v19, v20, v19, 0x7fff
                                        ; implicit-def: $vgpr20
; %bb.22:
	s_and_not1_saveexec_b32 s3, s3
; %bb.23:
	v_and_b32_e32 v19, 0xffff, v20
	v_or_b32_e32 v21, 0x10000, v20
	s_delay_alu instid0(VALU_DEP_2) | instskip(NEXT) | instid1(VALU_DEP_2)
	v_cmp_eq_u32_e32 vcc_lo, 0, v19
	v_cndmask_b32_e32 v19, v21, v20, vcc_lo
; %bb.24:
	s_or_b32 exec_lo, exec_lo, s3
	s_delay_alu instid0(VALU_DEP_1) | instskip(SKIP_1) | instid1(VALU_DEP_2)
	v_lshrrev_b32_e32 v20, 16, v19
	v_cmp_lt_u32_e32 vcc_lo, 1, v16
	v_dual_cndmask_b32 v18, v18, v20 :: v_dual_and_b32 v19, 0xffff0000, v19
	s_delay_alu instid0(VALU_DEP_1) | instskip(NEXT) | instid1(VALU_DEP_2)
	v_cndmask_b32_e32 v17, v17, v19, vcc_lo
	v_mov_b32_dpp v20, v18 row_shr:4 row_mask:0xf bank_mask:0xf
	s_delay_alu instid0(VALU_DEP_1) | instskip(NEXT) | instid1(VALU_DEP_1)
	v_lshlrev_b32_e32 v19, 16, v20
	v_add_f32_e32 v20, v17, v19
	s_delay_alu instid0(VALU_DEP_1) | instskip(NEXT) | instid1(VALU_DEP_1)
	v_and_b32_e32 v19, 0x7f800000, v20
	v_cmp_ne_u32_e32 vcc_lo, 0x7f800000, v19
                                        ; implicit-def: $vgpr19
	s_and_saveexec_b32 s3, vcc_lo
	s_delay_alu instid0(SALU_CYCLE_1)
	s_xor_b32 s3, exec_lo, s3
; %bb.25:
	v_bfe_u32 v19, v20, 16, 1
	s_delay_alu instid0(VALU_DEP_1)
	v_add3_u32 v19, v20, v19, 0x7fff
                                        ; implicit-def: $vgpr20
; %bb.26:
	s_and_not1_saveexec_b32 s3, s3
; %bb.27:
	v_and_b32_e32 v19, 0xffff, v20
	v_or_b32_e32 v21, 0x10000, v20
	s_delay_alu instid0(VALU_DEP_2) | instskip(NEXT) | instid1(VALU_DEP_2)
	v_cmp_eq_u32_e32 vcc_lo, 0, v19
	v_cndmask_b32_e32 v19, v21, v20, vcc_lo
; %bb.28:
	s_or_b32 exec_lo, exec_lo, s3
	s_delay_alu instid0(VALU_DEP_1) | instskip(SKIP_1) | instid1(VALU_DEP_2)
	v_lshrrev_b32_e32 v20, 16, v19
	v_cmp_lt_u32_e32 vcc_lo, 3, v16
	v_dual_cndmask_b32 v18, v18, v20 :: v_dual_and_b32 v19, 0xffff0000, v19
	s_delay_alu instid0(VALU_DEP_1) | instskip(NEXT) | instid1(VALU_DEP_2)
	v_cndmask_b32_e32 v17, v17, v19, vcc_lo
	v_mov_b32_dpp v20, v18 row_shr:8 row_mask:0xf bank_mask:0xf
	s_delay_alu instid0(VALU_DEP_1) | instskip(NEXT) | instid1(VALU_DEP_1)
	v_lshlrev_b32_e32 v19, 16, v20
	v_add_f32_e32 v17, v17, v19
	s_delay_alu instid0(VALU_DEP_1) | instskip(NEXT) | instid1(VALU_DEP_1)
	v_and_b32_e32 v19, 0x7f800000, v17
	v_cmp_ne_u32_e32 vcc_lo, 0x7f800000, v19
                                        ; implicit-def: $vgpr19
	s_and_saveexec_b32 s3, vcc_lo
	s_delay_alu instid0(SALU_CYCLE_1)
	s_xor_b32 s3, exec_lo, s3
; %bb.29:
	v_bfe_u32 v19, v17, 16, 1
	s_delay_alu instid0(VALU_DEP_1)
	v_add3_u32 v19, v17, v19, 0x7fff
                                        ; implicit-def: $vgpr17
; %bb.30:
	s_and_not1_saveexec_b32 s3, s3
; %bb.31:
	v_and_b32_e32 v19, 0xffff, v17
	v_or_b32_e32 v20, 0x10000, v17
	s_delay_alu instid0(VALU_DEP_2) | instskip(NEXT) | instid1(VALU_DEP_2)
	v_cmp_eq_u32_e32 vcc_lo, 0, v19
	v_cndmask_b32_e32 v19, v20, v17, vcc_lo
; %bb.32:
	s_or_b32 exec_lo, exec_lo, s3
	s_delay_alu instid0(VALU_DEP_1) | instskip(SKIP_2) | instid1(VALU_DEP_2)
	v_lshrrev_b32_e32 v17, 16, v19
	v_cmp_lt_u32_e32 vcc_lo, 7, v16
	s_mov_b32 s3, exec_lo
	v_cndmask_b32_e32 v16, v18, v17, vcc_lo
	v_cmpx_eq_u32_e32 15, v0
	s_cbranch_execz .LBB278_34
; %bb.33:
	v_mov_b32_e32 v17, 0
	ds_store_b16 v17, v16
.LBB278_34:
	s_or_b32 exec_lo, exec_lo, s3
	v_add_nc_u32_e32 v17, -1, v15
	s_load_b32 s0, s[0:1], 0x10
	v_and_b32_e32 v18, 16, v15
	s_mov_b32 s3, -1
	s_mov_b32 s1, exec_lo
	s_waitcnt vmcnt(0) lgkmcnt(0)
	s_waitcnt_vscnt null, 0x0
	; wave barrier
	s_waitcnt lgkmcnt(0)
	buffer_gl0_inv
	v_cmp_lt_i32_e32 vcc_lo, v17, v18
	v_cndmask_b32_e32 v15, v17, v15, vcc_lo
	s_delay_alu instid0(VALU_DEP_1)
	v_lshlrev_b32_e32 v15, 2, v15
	ds_bpermute_b32 v17, v15, v16
	v_mov_b32_e32 v15, s0
	v_cmpx_gt_u32_e32 32, v0
	s_cbranch_execz .LBB278_42
; %bb.35:
	v_mov_b32_e32 v15, 0
	s_lshl_b32 s4, s0, 16
                                        ; implicit-def: $sgpr5
	ds_load_u16 v15, v15
	s_waitcnt lgkmcnt(0)
	v_lshlrev_b32_e32 v15, 16, v15
	s_delay_alu instid0(VALU_DEP_1) | instskip(NEXT) | instid1(VALU_DEP_1)
	v_add_f32_e32 v15, s4, v15
	v_and_b32_e32 v16, 0x7f800000, v15
	v_readfirstlane_b32 s4, v15
	s_delay_alu instid0(VALU_DEP_2)
	v_cmp_eq_u32_e32 vcc_lo, 0x7f800000, v16
	s_cbranch_vccnz .LBB278_37
; %bb.36:
	s_delay_alu instid0(VALU_DEP_2) | instskip(NEXT) | instid1(SALU_CYCLE_1)
	s_bfe_u32 s3, s4, 0x10010
	s_add_i32 s3, s4, s3
	s_delay_alu instid0(SALU_CYCLE_1)
	s_add_i32 s5, s3, 0x7fff
	s_mov_b32 s3, 0
.LBB278_37:
	s_delay_alu instid0(SALU_CYCLE_1)
	s_and_not1_b32 vcc_lo, exec_lo, s3
	s_cbranch_vccnz .LBB278_39
; %bb.38:
	s_and_b32 s3, s4, 0xffff
	s_or_b32 s5, s4, 0x10000
	s_cmp_eq_u32 s3, 0
	s_cselect_b32 s5, s4, s5
.LBB278_39:
	s_delay_alu instid0(SALU_CYCLE_1)
	s_lshr_b32 s3, s5, 16
	s_mov_b32 s4, exec_lo
	v_cmpx_eq_u32_e32 0, v0
	s_cbranch_execz .LBB278_41
; %bb.40:
	v_dual_mov_b32 v15, 0 :: v_dual_mov_b32 v16, s0
	ds_store_b16 v15, v16
.LBB278_41:
	s_or_b32 exec_lo, exec_lo, s4
	v_mov_b32_e32 v15, s3
.LBB278_42:
	s_or_b32 exec_lo, exec_lo, s1
	v_mov_b32_e32 v16, 0
	s_waitcnt vmcnt(0) lgkmcnt(0)
	s_waitcnt_vscnt null, 0x0
	; wave barrier
	s_waitcnt lgkmcnt(0)
	buffer_gl0_inv
	v_cmp_eq_u32_e32 vcc_lo, 0, v0
	s_mov_b32 s1, exec_lo
	ds_load_u16 v16, v16
	v_cmpx_ne_u32_e32 0, v0
	s_cbranch_execz .LBB278_48
; %bb.43:
	s_waitcnt lgkmcnt(0)
	v_lshlrev_b32_e32 v0, 16, v16
	v_lshlrev_b32_e32 v16, 16, v17
	s_delay_alu instid0(VALU_DEP_1) | instskip(NEXT) | instid1(VALU_DEP_1)
	v_add_f32_e32 v0, v16, v0
	v_and_b32_e32 v16, 0x7f800000, v0
	s_delay_alu instid0(VALU_DEP_1) | instskip(NEXT) | instid1(VALU_DEP_1)
	v_cmp_ne_u32_e64 s0, 0x7f800000, v16
                                        ; implicit-def: $vgpr16
	s_and_saveexec_b32 s3, s0
	s_delay_alu instid0(SALU_CYCLE_1)
	s_xor_b32 s0, exec_lo, s3
; %bb.44:
	v_bfe_u32 v16, v0, 16, 1
	s_delay_alu instid0(VALU_DEP_1)
	v_add3_u32 v16, v0, v16, 0x7fff
                                        ; implicit-def: $vgpr0
; %bb.45:
	s_and_not1_saveexec_b32 s3, s0
; %bb.46:
	v_and_b32_e32 v16, 0xffff, v0
	v_or_b32_e32 v17, 0x10000, v0
	s_delay_alu instid0(VALU_DEP_2) | instskip(NEXT) | instid1(VALU_DEP_1)
	v_cmp_eq_u32_e64 s0, 0, v16
	v_cndmask_b32_e64 v16, v17, v0, s0
; %bb.47:
	s_or_b32 exec_lo, exec_lo, s3
	s_delay_alu instid0(VALU_DEP_1)
	v_lshrrev_b32_e32 v16, 16, v16
.LBB278_48:
	s_or_b32 exec_lo, exec_lo, s1
	s_waitcnt lgkmcnt(0)
	s_delay_alu instid0(VALU_DEP_1) | instskip(NEXT) | instid1(VALU_DEP_1)
	v_lshlrev_b32_e32 v0, 16, v16
	v_add_f32_e32 v14, v14, v0
	s_delay_alu instid0(VALU_DEP_1) | instskip(NEXT) | instid1(VALU_DEP_1)
	v_and_b32_e32 v0, 0x7f800000, v14
	v_cmp_ne_u32_e64 s0, 0x7f800000, v0
                                        ; implicit-def: $vgpr0
	s_delay_alu instid0(VALU_DEP_1) | instskip(NEXT) | instid1(SALU_CYCLE_1)
	s_and_saveexec_b32 s1, s0
	s_xor_b32 s0, exec_lo, s1
; %bb.49:
	v_bfe_u32 v0, v14, 16, 1
	s_delay_alu instid0(VALU_DEP_1)
	v_add3_u32 v0, v14, v0, 0x7fff
                                        ; implicit-def: $vgpr14
; %bb.50:
	s_and_not1_saveexec_b32 s1, s0
; %bb.51:
	v_and_b32_e32 v0, 0xffff, v14
	v_or_b32_e32 v17, 0x10000, v14
	s_delay_alu instid0(VALU_DEP_2) | instskip(NEXT) | instid1(VALU_DEP_1)
	v_cmp_eq_u32_e64 s0, 0, v0
	v_cndmask_b32_e64 v0, v17, v14, s0
; %bb.52:
	s_or_b32 exec_lo, exec_lo, s1
	s_delay_alu instid0(VALU_DEP_1) | instskip(NEXT) | instid1(VALU_DEP_1)
	v_and_b32_e32 v14, 0xffff0000, v0
	v_add_f32_e32 v14, v11, v14
	s_delay_alu instid0(VALU_DEP_1) | instskip(NEXT) | instid1(VALU_DEP_1)
	v_and_b32_e32 v11, 0x7f800000, v14
	v_cmp_ne_u32_e64 s0, 0x7f800000, v11
                                        ; implicit-def: $vgpr11
	s_delay_alu instid0(VALU_DEP_1) | instskip(NEXT) | instid1(SALU_CYCLE_1)
	s_and_saveexec_b32 s1, s0
	s_xor_b32 s0, exec_lo, s1
; %bb.53:
	v_bfe_u32 v11, v14, 16, 1
	s_delay_alu instid0(VALU_DEP_1)
	v_add3_u32 v11, v14, v11, 0x7fff
                                        ; implicit-def: $vgpr14
; %bb.54:
	s_and_not1_saveexec_b32 s1, s0
; %bb.55:
	v_and_b32_e32 v11, 0xffff, v14
	v_or_b32_e32 v17, 0x10000, v14
	s_delay_alu instid0(VALU_DEP_2) | instskip(NEXT) | instid1(VALU_DEP_1)
	v_cmp_eq_u32_e64 s0, 0, v11
	v_cndmask_b32_e64 v11, v17, v14, s0
; %bb.56:
	s_or_b32 exec_lo, exec_lo, s1
	s_delay_alu instid0(VALU_DEP_1) | instskip(NEXT) | instid1(VALU_DEP_1)
	v_and_b32_e32 v14, 0xffff0000, v11
	v_add_f32_e32 v14, v14, v12
	s_delay_alu instid0(VALU_DEP_1) | instskip(NEXT) | instid1(VALU_DEP_1)
	v_and_b32_e32 v12, 0x7f800000, v14
	v_cmp_ne_u32_e64 s0, 0x7f800000, v12
                                        ; implicit-def: $vgpr12
	s_delay_alu instid0(VALU_DEP_1) | instskip(NEXT) | instid1(SALU_CYCLE_1)
	s_and_saveexec_b32 s1, s0
	s_xor_b32 s0, exec_lo, s1
; %bb.57:
	v_bfe_u32 v12, v14, 16, 1
	s_delay_alu instid0(VALU_DEP_1)
	v_add3_u32 v12, v14, v12, 0x7fff
                                        ; implicit-def: $vgpr14
; %bb.58:
	s_and_not1_saveexec_b32 s1, s0
; %bb.59:
	v_and_b32_e32 v12, 0xffff, v14
	v_or_b32_e32 v17, 0x10000, v14
	s_delay_alu instid0(VALU_DEP_2) | instskip(NEXT) | instid1(VALU_DEP_1)
	v_cmp_eq_u32_e64 s0, 0, v12
	v_cndmask_b32_e64 v12, v17, v14, s0
; %bb.60:
	s_or_b32 exec_lo, exec_lo, s1
	s_delay_alu instid0(VALU_DEP_1) | instskip(NEXT) | instid1(VALU_DEP_1)
	v_and_b32_e32 v14, 0xffff0000, v12
	v_add_f32_e32 v14, v14, v13
	s_delay_alu instid0(VALU_DEP_1) | instskip(NEXT) | instid1(VALU_DEP_1)
	v_and_b32_e32 v13, 0x7f800000, v14
	v_cmp_ne_u32_e64 s0, 0x7f800000, v13
                                        ; implicit-def: $vgpr13
	s_delay_alu instid0(VALU_DEP_1) | instskip(NEXT) | instid1(SALU_CYCLE_1)
	s_and_saveexec_b32 s1, s0
	s_xor_b32 s0, exec_lo, s1
; %bb.61:
	v_bfe_u32 v13, v14, 16, 1
	s_delay_alu instid0(VALU_DEP_1)
	v_add3_u32 v13, v14, v13, 0x7fff
                                        ; implicit-def: $vgpr14
; %bb.62:
	s_and_not1_saveexec_b32 s1, s0
; %bb.63:
	v_and_b32_e32 v13, 0xffff, v14
	v_or_b32_e32 v17, 0x10000, v14
	s_delay_alu instid0(VALU_DEP_2) | instskip(NEXT) | instid1(VALU_DEP_1)
	v_cmp_eq_u32_e64 s0, 0, v13
	v_cndmask_b32_e64 v13, v17, v14, s0
; %bb.64:
	s_or_b32 exec_lo, exec_lo, s1
	s_clause 0x4
	global_store_b16 v[3:4], v16, off
	global_store_d16_hi_b16 v[7:8], v0, off
	global_store_d16_hi_b16 v[9:10], v11, off
	;; [unrolled: 1-line block ×4, first 2 shown]
	s_and_saveexec_b32 s0, vcc_lo
	s_cbranch_execz .LBB278_66
; %bb.65:
	s_mov_b32 s3, 0
	v_mov_b32_e32 v0, 0
	s_lshl_b64 s[0:1], s[2:3], 1
	s_delay_alu instid0(SALU_CYCLE_1)
	s_add_u32 s0, s6, s0
	s_addc_u32 s1, s7, s1
	global_store_b16 v0, v15, s[0:1]
.LBB278_66:
	s_nop 0
	s_sendmsg sendmsg(MSG_DEALLOC_VGPRS)
	s_endpgm
	.section	.rodata,"a",@progbits
	.p2align	6, 0x0
	.amdhsa_kernel _Z43exclusive_scan_prefix_callback_array_kernelILj16ELj5ELN6hipcub18BlockScanAlgorithmE0E12hip_bfloat16EvPT2_S4_S3_
		.amdhsa_group_segment_fixed_size 2
		.amdhsa_private_segment_fixed_size 0
		.amdhsa_kernarg_size 20
		.amdhsa_user_sgpr_count 15
		.amdhsa_user_sgpr_dispatch_ptr 0
		.amdhsa_user_sgpr_queue_ptr 0
		.amdhsa_user_sgpr_kernarg_segment_ptr 1
		.amdhsa_user_sgpr_dispatch_id 0
		.amdhsa_user_sgpr_private_segment_size 0
		.amdhsa_wavefront_size32 1
		.amdhsa_uses_dynamic_stack 0
		.amdhsa_enable_private_segment 0
		.amdhsa_system_sgpr_workgroup_id_x 1
		.amdhsa_system_sgpr_workgroup_id_y 0
		.amdhsa_system_sgpr_workgroup_id_z 0
		.amdhsa_system_sgpr_workgroup_info 0
		.amdhsa_system_vgpr_workitem_id 0
		.amdhsa_next_free_vgpr 22
		.amdhsa_next_free_sgpr 16
		.amdhsa_reserve_vcc 1
		.amdhsa_float_round_mode_32 0
		.amdhsa_float_round_mode_16_64 0
		.amdhsa_float_denorm_mode_32 3
		.amdhsa_float_denorm_mode_16_64 3
		.amdhsa_dx10_clamp 1
		.amdhsa_ieee_mode 1
		.amdhsa_fp16_overflow 0
		.amdhsa_workgroup_processor_mode 1
		.amdhsa_memory_ordered 1
		.amdhsa_forward_progress 0
		.amdhsa_shared_vgpr_count 0
		.amdhsa_exception_fp_ieee_invalid_op 0
		.amdhsa_exception_fp_denorm_src 0
		.amdhsa_exception_fp_ieee_div_zero 0
		.amdhsa_exception_fp_ieee_overflow 0
		.amdhsa_exception_fp_ieee_underflow 0
		.amdhsa_exception_fp_ieee_inexact 0
		.amdhsa_exception_int_div_zero 0
	.end_amdhsa_kernel
	.section	.text._Z43exclusive_scan_prefix_callback_array_kernelILj16ELj5ELN6hipcub18BlockScanAlgorithmE0E12hip_bfloat16EvPT2_S4_S3_,"axG",@progbits,_Z43exclusive_scan_prefix_callback_array_kernelILj16ELj5ELN6hipcub18BlockScanAlgorithmE0E12hip_bfloat16EvPT2_S4_S3_,comdat
.Lfunc_end278:
	.size	_Z43exclusive_scan_prefix_callback_array_kernelILj16ELj5ELN6hipcub18BlockScanAlgorithmE0E12hip_bfloat16EvPT2_S4_S3_, .Lfunc_end278-_Z43exclusive_scan_prefix_callback_array_kernelILj16ELj5ELN6hipcub18BlockScanAlgorithmE0E12hip_bfloat16EvPT2_S4_S3_
                                        ; -- End function
	.section	.AMDGPU.csdata,"",@progbits
; Kernel info:
; codeLenInByte = 2308
; NumSgprs: 18
; NumVgprs: 22
; ScratchSize: 0
; MemoryBound: 0
; FloatMode: 240
; IeeeMode: 1
; LDSByteSize: 2 bytes/workgroup (compile time only)
; SGPRBlocks: 2
; VGPRBlocks: 2
; NumSGPRsForWavesPerEU: 18
; NumVGPRsForWavesPerEU: 22
; Occupancy: 16
; WaveLimiterHint : 0
; COMPUTE_PGM_RSRC2:SCRATCH_EN: 0
; COMPUTE_PGM_RSRC2:USER_SGPR: 15
; COMPUTE_PGM_RSRC2:TRAP_HANDLER: 0
; COMPUTE_PGM_RSRC2:TGID_X_EN: 1
; COMPUTE_PGM_RSRC2:TGID_Y_EN: 0
; COMPUTE_PGM_RSRC2:TGID_Z_EN: 0
; COMPUTE_PGM_RSRC2:TIDIG_COMP_CNT: 0
	.section	.text._Z43exclusive_scan_prefix_callback_array_kernelILj65ELj5ELN6hipcub18BlockScanAlgorithmE0E6__halfEvPT2_S4_S3_,"axG",@progbits,_Z43exclusive_scan_prefix_callback_array_kernelILj65ELj5ELN6hipcub18BlockScanAlgorithmE0E6__halfEvPT2_S4_S3_,comdat
	.protected	_Z43exclusive_scan_prefix_callback_array_kernelILj65ELj5ELN6hipcub18BlockScanAlgorithmE0E6__halfEvPT2_S4_S3_ ; -- Begin function _Z43exclusive_scan_prefix_callback_array_kernelILj65ELj5ELN6hipcub18BlockScanAlgorithmE0E6__halfEvPT2_S4_S3_
	.globl	_Z43exclusive_scan_prefix_callback_array_kernelILj65ELj5ELN6hipcub18BlockScanAlgorithmE0E6__halfEvPT2_S4_S3_
	.p2align	8
	.type	_Z43exclusive_scan_prefix_callback_array_kernelILj65ELj5ELN6hipcub18BlockScanAlgorithmE0E6__halfEvPT2_S4_S3_,@function
_Z43exclusive_scan_prefix_callback_array_kernelILj65ELj5ELN6hipcub18BlockScanAlgorithmE0E6__halfEvPT2_S4_S3_: ; @_Z43exclusive_scan_prefix_callback_array_kernelILj65ELj5ELN6hipcub18BlockScanAlgorithmE0E6__halfEvPT2_S4_S3_
; %bb.0:
	s_mov_b32 s2, s15
	s_load_b128 s[4:7], s[0:1], 0x0
	v_mad_u64_u32 v[1:2], null, 0x41, s2, v[0:1]
	s_mov_b32 s3, exec_lo
	s_delay_alu instid0(VALU_DEP_1) | instskip(NEXT) | instid1(VALU_DEP_1)
	v_lshl_add_u32 v1, v1, 2, v1
	v_dual_mov_b32 v2, 0 :: v_dual_add_nc_u32 v3, 1, v1
	s_delay_alu instid0(VALU_DEP_1) | instskip(SKIP_3) | instid1(VALU_DEP_4)
	v_dual_mov_b32 v4, v2 :: v_dual_add_nc_u32 v5, 2, v1
	v_lshlrev_b64 v[9:10], 1, v[1:2]
	v_dual_mov_b32 v6, v2 :: v_dual_add_nc_u32 v7, 3, v1
	v_dual_mov_b32 v8, v2 :: v_dual_add_nc_u32 v1, 4, v1
	v_lshlrev_b64 v[3:4], 1, v[3:4]
	s_delay_alu instid0(VALU_DEP_3) | instskip(NEXT) | instid1(VALU_DEP_3)
	v_lshlrev_b64 v[5:6], 1, v[5:6]
	v_lshlrev_b64 v[7:8], 1, v[7:8]
	s_delay_alu instid0(VALU_DEP_4)
	v_lshlrev_b64 v[14:15], 1, v[1:2]
	s_waitcnt lgkmcnt(0)
	v_add_co_u32 v1, vcc_lo, s4, v9
	v_add_co_ci_u32_e32 v2, vcc_lo, s5, v10, vcc_lo
	v_add_co_u32 v3, vcc_lo, s4, v3
	v_add_co_ci_u32_e32 v4, vcc_lo, s5, v4, vcc_lo
	;; [unrolled: 2-line block ×3, first 2 shown]
	s_clause 0x1
	global_load_u16 v11, v[1:2], off
	global_load_u16 v12, v[3:4], off
	v_add_co_u32 v7, vcc_lo, s4, v7
	v_add_co_ci_u32_e32 v8, vcc_lo, s5, v8, vcc_lo
	global_load_u16 v13, v[5:6], off
	v_add_co_u32 v9, vcc_lo, s4, v14
	v_add_co_ci_u32_e32 v10, vcc_lo, s5, v15, vcc_lo
	s_clause 0x1
	global_load_u16 v14, v[7:8], off
	global_load_u16 v15, v[9:10], off
	s_waitcnt vmcnt(3)
	v_add_f16_e32 v16, v11, v12
	s_waitcnt vmcnt(2)
	s_delay_alu instid0(VALU_DEP_1) | instskip(SKIP_1) | instid1(VALU_DEP_1)
	v_add_f16_e32 v16, v16, v13
	s_waitcnt vmcnt(1)
	v_add_f16_e32 v16, v16, v14
	s_waitcnt vmcnt(0)
	s_delay_alu instid0(VALU_DEP_1) | instskip(SKIP_1) | instid1(VALU_DEP_2)
	v_add_f16_e32 v16, v16, v15
	v_mbcnt_lo_u32_b32 v15, -1, 0
	v_and_b32_e32 v17, 0xffff, v16
	s_delay_alu instid0(VALU_DEP_2) | instskip(SKIP_1) | instid1(VALU_DEP_3)
	v_and_b32_e32 v18, 15, v15
	v_and_b32_e32 v19, 16, v15
	v_mov_b32_dpp v17, v17 row_shr:1 row_mask:0xf bank_mask:0xf
	s_delay_alu instid0(VALU_DEP_3) | instskip(NEXT) | instid1(VALU_DEP_2)
	v_cmp_eq_u32_e32 vcc_lo, 0, v18
	v_add_f16_e32 v17, v16, v17
	s_delay_alu instid0(VALU_DEP_1) | instskip(SKIP_1) | instid1(VALU_DEP_2)
	v_cndmask_b32_e32 v16, v17, v16, vcc_lo
	v_cmp_lt_u32_e32 vcc_lo, 1, v18
	v_and_b32_e32 v17, 0xffff, v16
	s_delay_alu instid0(VALU_DEP_1) | instskip(NEXT) | instid1(VALU_DEP_1)
	v_mov_b32_dpp v17, v17 row_shr:2 row_mask:0xf bank_mask:0xf
	v_add_f16_e32 v17, v16, v17
	s_delay_alu instid0(VALU_DEP_1) | instskip(SKIP_1) | instid1(VALU_DEP_2)
	v_cndmask_b32_e32 v16, v16, v17, vcc_lo
	v_cmp_lt_u32_e32 vcc_lo, 3, v18
	v_and_b32_e32 v17, 0xffff, v16
	s_delay_alu instid0(VALU_DEP_1) | instskip(NEXT) | instid1(VALU_DEP_1)
	v_mov_b32_dpp v17, v17 row_shr:4 row_mask:0xf bank_mask:0xf
	v_add_f16_e32 v17, v16, v17
	s_delay_alu instid0(VALU_DEP_1) | instskip(SKIP_2) | instid1(VALU_DEP_3)
	v_cndmask_b32_e32 v16, v16, v17, vcc_lo
	v_cmp_lt_u32_e32 vcc_lo, 7, v18
	v_and_b32_e32 v18, 0x60, v0
	v_and_b32_e32 v17, 0xffff, v16
	s_delay_alu instid0(VALU_DEP_2) | instskip(NEXT) | instid1(VALU_DEP_2)
	v_min_u32_e32 v18, 33, v18
	v_mov_b32_dpp v17, v17 row_shr:8 row_mask:0xf bank_mask:0xf
	s_delay_alu instid0(VALU_DEP_2) | instskip(NEXT) | instid1(VALU_DEP_2)
	v_add_nc_u32_e32 v18, 31, v18
	v_add_f16_e32 v17, v16, v17
	s_delay_alu instid0(VALU_DEP_1) | instskip(SKIP_1) | instid1(VALU_DEP_2)
	v_cndmask_b32_e32 v16, v16, v17, vcc_lo
	v_cmp_eq_u32_e32 vcc_lo, 0, v19
	v_and_b32_e32 v17, 0xffff, v16
	ds_swizzle_b32 v17, v17 offset:swizzle(BROADCAST,32,15)
	s_waitcnt lgkmcnt(0)
	v_add_f16_e32 v20, v16, v17
	v_lshrrev_b32_e32 v17, 5, v0
	s_delay_alu instid0(VALU_DEP_2)
	v_cndmask_b32_e32 v16, v20, v16, vcc_lo
	v_cmpx_eq_u32_e64 v18, v0
	s_cbranch_execz .LBB279_2
; %bb.1:
	s_delay_alu instid0(VALU_DEP_3)
	v_lshlrev_b32_e32 v18, 1, v17
	ds_store_b16 v18, v16
.LBB279_2:
	s_or_b32 exec_lo, exec_lo, s3
	s_load_b32 s1, s[0:1], 0x10
	s_mov_b32 s0, exec_lo
	s_waitcnt lgkmcnt(0)
	s_barrier
	buffer_gl0_inv
	v_cmpx_gt_u32_e32 3, v0
	s_cbranch_execz .LBB279_4
; %bb.3:
	v_and_b32_e32 v21, 3, v15
	s_delay_alu instid0(VALU_DEP_1) | instskip(SKIP_4) | instid1(VALU_DEP_1)
	v_cmp_eq_u32_e32 vcc_lo, 0, v21
	v_lshlrev_b32_e32 v18, 1, v0
	ds_load_u16 v19, v18
	s_waitcnt lgkmcnt(0)
	v_and_b32_e32 v20, 0xffff, v19
	v_mov_b32_dpp v20, v20 row_shr:1 row_mask:0xf bank_mask:0xf
	s_delay_alu instid0(VALU_DEP_1) | instskip(NEXT) | instid1(VALU_DEP_1)
	v_add_f16_e32 v20, v19, v20
	v_cndmask_b32_e32 v19, v20, v19, vcc_lo
	v_cmp_lt_u32_e32 vcc_lo, 1, v21
	s_delay_alu instid0(VALU_DEP_2) | instskip(NEXT) | instid1(VALU_DEP_1)
	v_and_b32_e32 v20, 0xffff, v19
	v_mov_b32_dpp v20, v20 row_shr:2 row_mask:0xf bank_mask:0xf
	s_delay_alu instid0(VALU_DEP_1) | instskip(NEXT) | instid1(VALU_DEP_1)
	v_add_f16_e32 v20, v19, v20
	v_cndmask_b32_e32 v19, v19, v20, vcc_lo
	ds_store_b16 v18, v19
.LBB279_4:
	s_or_b32 exec_lo, exec_lo, s0
	v_cmp_gt_u32_e32 vcc_lo, 32, v0
	s_mov_b32 s3, exec_lo
	s_waitcnt lgkmcnt(0)
	s_barrier
	buffer_gl0_inv
                                        ; implicit-def: $vgpr18
	v_cmpx_lt_u32_e32 31, v0
	s_cbranch_execz .LBB279_6
; %bb.5:
	v_lshl_add_u32 v17, v17, 1, -2
	ds_load_u16 v18, v17
	s_waitcnt lgkmcnt(0)
	v_add_f16_e32 v16, v16, v18
.LBB279_6:
	s_or_b32 exec_lo, exec_lo, s3
	v_add_nc_u32_e32 v17, -1, v15
	s_delay_alu instid0(VALU_DEP_2) | instskip(NEXT) | instid1(VALU_DEP_2)
	v_and_b32_e32 v16, 0xffff, v16
	v_cmp_gt_i32_e64 s0, 0, v17
	s_delay_alu instid0(VALU_DEP_1) | instskip(NEXT) | instid1(VALU_DEP_1)
	v_cndmask_b32_e64 v17, v17, v15, s0
	v_lshlrev_b32_e32 v17, 2, v17
	ds_bpermute_b32 v17, v17, v16
	v_mov_b32_e32 v16, s1
	s_and_saveexec_b32 s0, vcc_lo
	s_cbranch_execz .LBB279_10
; %bb.7:
	v_mov_b32_e32 v19, 0
	s_mov_b32 s3, exec_lo
	ds_load_u16 v16, v19 offset:4
	v_cmpx_eq_u32_e32 0, v0
	s_cbranch_execz .LBB279_9
; %bb.8:
	v_mov_b32_e32 v20, s1
	ds_store_b16 v19, v20 offset:4
.LBB279_9:
	s_or_b32 exec_lo, exec_lo, s3
	s_waitcnt lgkmcnt(0)
	v_add_f16_e32 v16, s1, v16
.LBB279_10:
	s_or_b32 exec_lo, exec_lo, s0
	v_cmp_eq_u32_e32 vcc_lo, 0, v15
	s_waitcnt lgkmcnt(0)
	s_barrier
	buffer_gl0_inv
	v_cndmask_b32_e32 v15, v17, v18, vcc_lo
	v_cmp_eq_u32_e32 vcc_lo, 0, v0
	v_mov_b32_e32 v19, 0
	ds_load_u16 v20, v19 offset:4
	s_waitcnt lgkmcnt(0)
	v_add_f16_e32 v15, v15, v20
	s_delay_alu instid0(VALU_DEP_1) | instskip(NEXT) | instid1(VALU_DEP_1)
	v_cndmask_b32_e32 v0, v15, v20, vcc_lo
	v_add_f16_e32 v11, v11, v0
	s_delay_alu instid0(VALU_DEP_1) | instskip(NEXT) | instid1(VALU_DEP_1)
	v_add_f16_e32 v12, v12, v11
	v_add_f16_e32 v13, v13, v12
	s_delay_alu instid0(VALU_DEP_1)
	v_add_f16_e32 v14, v14, v13
	s_clause 0x4
	global_store_b16 v[1:2], v0, off
	global_store_b16 v[3:4], v11, off
	;; [unrolled: 1-line block ×5, first 2 shown]
	s_and_saveexec_b32 s0, vcc_lo
	s_cbranch_execz .LBB279_12
; %bb.11:
	s_mov_b32 s3, 0
	s_delay_alu instid0(SALU_CYCLE_1) | instskip(NEXT) | instid1(SALU_CYCLE_1)
	s_lshl_b64 s[0:1], s[2:3], 1
	s_add_u32 s0, s6, s0
	s_addc_u32 s1, s7, s1
	global_store_b16 v19, v16, s[0:1]
.LBB279_12:
	s_nop 0
	s_sendmsg sendmsg(MSG_DEALLOC_VGPRS)
	s_endpgm
	.section	.rodata,"a",@progbits
	.p2align	6, 0x0
	.amdhsa_kernel _Z43exclusive_scan_prefix_callback_array_kernelILj65ELj5ELN6hipcub18BlockScanAlgorithmE0E6__halfEvPT2_S4_S3_
		.amdhsa_group_segment_fixed_size 6
		.amdhsa_private_segment_fixed_size 0
		.amdhsa_kernarg_size 20
		.amdhsa_user_sgpr_count 15
		.amdhsa_user_sgpr_dispatch_ptr 0
		.amdhsa_user_sgpr_queue_ptr 0
		.amdhsa_user_sgpr_kernarg_segment_ptr 1
		.amdhsa_user_sgpr_dispatch_id 0
		.amdhsa_user_sgpr_private_segment_size 0
		.amdhsa_wavefront_size32 1
		.amdhsa_uses_dynamic_stack 0
		.amdhsa_enable_private_segment 0
		.amdhsa_system_sgpr_workgroup_id_x 1
		.amdhsa_system_sgpr_workgroup_id_y 0
		.amdhsa_system_sgpr_workgroup_id_z 0
		.amdhsa_system_sgpr_workgroup_info 0
		.amdhsa_system_vgpr_workitem_id 0
		.amdhsa_next_free_vgpr 22
		.amdhsa_next_free_sgpr 16
		.amdhsa_reserve_vcc 1
		.amdhsa_float_round_mode_32 0
		.amdhsa_float_round_mode_16_64 0
		.amdhsa_float_denorm_mode_32 3
		.amdhsa_float_denorm_mode_16_64 3
		.amdhsa_dx10_clamp 1
		.amdhsa_ieee_mode 1
		.amdhsa_fp16_overflow 0
		.amdhsa_workgroup_processor_mode 1
		.amdhsa_memory_ordered 1
		.amdhsa_forward_progress 0
		.amdhsa_shared_vgpr_count 0
		.amdhsa_exception_fp_ieee_invalid_op 0
		.amdhsa_exception_fp_denorm_src 0
		.amdhsa_exception_fp_ieee_div_zero 0
		.amdhsa_exception_fp_ieee_overflow 0
		.amdhsa_exception_fp_ieee_underflow 0
		.amdhsa_exception_fp_ieee_inexact 0
		.amdhsa_exception_int_div_zero 0
	.end_amdhsa_kernel
	.section	.text._Z43exclusive_scan_prefix_callback_array_kernelILj65ELj5ELN6hipcub18BlockScanAlgorithmE0E6__halfEvPT2_S4_S3_,"axG",@progbits,_Z43exclusive_scan_prefix_callback_array_kernelILj65ELj5ELN6hipcub18BlockScanAlgorithmE0E6__halfEvPT2_S4_S3_,comdat
.Lfunc_end279:
	.size	_Z43exclusive_scan_prefix_callback_array_kernelILj65ELj5ELN6hipcub18BlockScanAlgorithmE0E6__halfEvPT2_S4_S3_, .Lfunc_end279-_Z43exclusive_scan_prefix_callback_array_kernelILj65ELj5ELN6hipcub18BlockScanAlgorithmE0E6__halfEvPT2_S4_S3_
                                        ; -- End function
	.section	.AMDGPU.csdata,"",@progbits
; Kernel info:
; codeLenInByte = 1016
; NumSgprs: 18
; NumVgprs: 22
; ScratchSize: 0
; MemoryBound: 0
; FloatMode: 240
; IeeeMode: 1
; LDSByteSize: 6 bytes/workgroup (compile time only)
; SGPRBlocks: 2
; VGPRBlocks: 2
; NumSGPRsForWavesPerEU: 18
; NumVGPRsForWavesPerEU: 22
; Occupancy: 16
; WaveLimiterHint : 0
; COMPUTE_PGM_RSRC2:SCRATCH_EN: 0
; COMPUTE_PGM_RSRC2:USER_SGPR: 15
; COMPUTE_PGM_RSRC2:TRAP_HANDLER: 0
; COMPUTE_PGM_RSRC2:TGID_X_EN: 1
; COMPUTE_PGM_RSRC2:TGID_Y_EN: 0
; COMPUTE_PGM_RSRC2:TGID_Z_EN: 0
; COMPUTE_PGM_RSRC2:TIDIG_COMP_CNT: 0
	.section	.text._Z43exclusive_scan_prefix_callback_array_kernelILj255ELj15ELN6hipcub18BlockScanAlgorithmE0EfEvPT2_S3_S2_,"axG",@progbits,_Z43exclusive_scan_prefix_callback_array_kernelILj255ELj15ELN6hipcub18BlockScanAlgorithmE0EfEvPT2_S3_S2_,comdat
	.protected	_Z43exclusive_scan_prefix_callback_array_kernelILj255ELj15ELN6hipcub18BlockScanAlgorithmE0EfEvPT2_S3_S2_ ; -- Begin function _Z43exclusive_scan_prefix_callback_array_kernelILj255ELj15ELN6hipcub18BlockScanAlgorithmE0EfEvPT2_S3_S2_
	.globl	_Z43exclusive_scan_prefix_callback_array_kernelILj255ELj15ELN6hipcub18BlockScanAlgorithmE0EfEvPT2_S3_S2_
	.p2align	8
	.type	_Z43exclusive_scan_prefix_callback_array_kernelILj255ELj15ELN6hipcub18BlockScanAlgorithmE0EfEvPT2_S3_S2_,@function
_Z43exclusive_scan_prefix_callback_array_kernelILj255ELj15ELN6hipcub18BlockScanAlgorithmE0EfEvPT2_S3_S2_: ; @_Z43exclusive_scan_prefix_callback_array_kernelILj255ELj15ELN6hipcub18BlockScanAlgorithmE0EfEvPT2_S3_S2_
; %bb.0:
	s_mov_b32 s8, s15
	s_load_b128 s[4:7], s[0:1], 0x0
	v_mad_u64_u32 v[1:2], null, 0xff, s8, v[0:1]
	s_mov_b32 s2, exec_lo
	s_delay_alu instid0(VALU_DEP_1) | instskip(NEXT) | instid1(VALU_DEP_1)
	v_mul_lo_u32 v27, v1, 15
	v_dual_mov_b32 v28, 0 :: v_dual_add_nc_u32 v1, 1, v27
	s_delay_alu instid0(VALU_DEP_1) | instskip(SKIP_2) | instid1(VALU_DEP_3)
	v_dual_mov_b32 v2, v28 :: v_dual_add_nc_u32 v3, 2, v27
	v_lshlrev_b64 v[9:10], 2, v[27:28]
	v_dual_mov_b32 v4, v28 :: v_dual_add_nc_u32 v5, 3, v27
	v_lshlrev_b64 v[11:12], 2, v[1:2]
	v_dual_mov_b32 v6, v28 :: v_dual_add_nc_u32 v7, 4, v27
	s_delay_alu instid0(VALU_DEP_3)
	v_lshlrev_b64 v[13:14], 2, v[3:4]
	s_waitcnt lgkmcnt(0)
	v_add_co_u32 v1, vcc_lo, s4, v9
	v_mov_b32_e32 v8, v28
	v_add_co_ci_u32_e32 v2, vcc_lo, s5, v10, vcc_lo
	v_lshlrev_b64 v[15:16], 2, v[5:6]
	v_add_co_u32 v3, vcc_lo, s4, v11
	v_add_nc_u32_e32 v11, 5, v27
	v_add_co_ci_u32_e32 v4, vcc_lo, s5, v12, vcc_lo
	v_lshlrev_b64 v[17:18], 2, v[7:8]
	v_add_co_u32 v5, vcc_lo, s4, v13
	v_add_co_ci_u32_e32 v6, vcc_lo, s5, v14, vcc_lo
	v_add_co_u32 v7, vcc_lo, s4, v15
	v_add_co_ci_u32_e32 v8, vcc_lo, s5, v16, vcc_lo
	v_add_co_u32 v9, vcc_lo, s4, v17
	v_dual_mov_b32 v12, v28 :: v_dual_add_nc_u32 v13, 6, v27
	v_add_co_ci_u32_e32 v10, vcc_lo, s5, v18, vcc_lo
	s_clause 0x4
	global_load_b32 v31, v[1:2], off
	global_load_b32 v32, v[3:4], off
	;; [unrolled: 1-line block ×5, first 2 shown]
	v_dual_mov_b32 v14, v28 :: v_dual_add_nc_u32 v15, 7, v27
	v_lshlrev_b64 v[11:12], 2, v[11:12]
	v_dual_mov_b32 v16, v28 :: v_dual_add_nc_u32 v17, 8, v27
	s_delay_alu instid0(VALU_DEP_3) | instskip(SKIP_1) | instid1(VALU_DEP_4)
	v_lshlrev_b64 v[13:14], 2, v[13:14]
	v_dual_mov_b32 v18, v28 :: v_dual_add_nc_u32 v19, 9, v27
	v_add_co_u32 v11, vcc_lo, s4, v11
	s_delay_alu instid0(VALU_DEP_4)
	v_lshlrev_b64 v[15:16], 2, v[15:16]
	v_add_co_ci_u32_e32 v12, vcc_lo, s5, v12, vcc_lo
	v_add_co_u32 v13, vcc_lo, s4, v13
	v_add_co_ci_u32_e32 v14, vcc_lo, s5, v14, vcc_lo
	v_dual_mov_b32 v20, v28 :: v_dual_add_nc_u32 v21, 10, v27
	v_add_co_u32 v15, vcc_lo, s4, v15
	global_load_b32 v36, v[11:12], off
	v_lshlrev_b64 v[17:18], 2, v[17:18]
	v_add_co_ci_u32_e32 v16, vcc_lo, s5, v16, vcc_lo
	v_lshlrev_b64 v[19:20], 2, v[19:20]
	s_clause 0x1
	global_load_b32 v37, v[13:14], off
	global_load_b32 v38, v[15:16], off
	v_add_co_u32 v17, vcc_lo, s4, v17
	v_dual_mov_b32 v22, v28 :: v_dual_add_nc_u32 v23, 11, v27
	v_add_co_ci_u32_e32 v18, vcc_lo, s5, v18, vcc_lo
	v_add_co_u32 v19, vcc_lo, s4, v19
	v_dual_mov_b32 v24, v28 :: v_dual_add_nc_u32 v25, 12, v27
	v_add_co_ci_u32_e32 v20, vcc_lo, s5, v20, vcc_lo
	v_lshlrev_b64 v[21:22], 2, v[21:22]
	v_dual_mov_b32 v26, v28 :: v_dual_add_nc_u32 v29, 13, v27
	s_clause 0x1
	global_load_b32 v39, v[17:18], off
	global_load_b32 v40, v[19:20], off
	v_lshlrev_b64 v[23:24], 2, v[23:24]
	v_dual_mov_b32 v30, v28 :: v_dual_add_nc_u32 v27, 14, v27
	v_add_co_u32 v21, vcc_lo, s4, v21
	v_lshlrev_b64 v[25:26], 2, v[25:26]
	v_add_co_ci_u32_e32 v22, vcc_lo, s5, v22, vcc_lo
	v_add_co_u32 v23, vcc_lo, s4, v23
	v_add_co_ci_u32_e32 v24, vcc_lo, s5, v24, vcc_lo
	s_delay_alu instid0(VALU_DEP_4)
	v_add_co_u32 v25, vcc_lo, s4, v25
	global_load_b32 v41, v[21:22], off
	v_lshlrev_b64 v[29:30], 2, v[29:30]
	v_add_co_ci_u32_e32 v26, vcc_lo, s5, v26, vcc_lo
	v_lshlrev_b64 v[45:46], 2, v[27:28]
	s_clause 0x1
	global_load_b32 v43, v[23:24], off
	global_load_b32 v44, v[25:26], off
	v_add_co_u32 v27, vcc_lo, s4, v29
	v_add_co_ci_u32_e32 v28, vcc_lo, s5, v30, vcc_lo
	v_add_co_u32 v29, vcc_lo, s4, v45
	v_add_co_ci_u32_e32 v30, vcc_lo, s5, v46, vcc_lo
	s_clause 0x1
	global_load_b32 v42, v[27:28], off
	global_load_b32 v45, v[29:30], off
	s_waitcnt vmcnt(13)
	v_add_f32_e32 v46, v31, v32
	s_waitcnt vmcnt(12)
	s_delay_alu instid0(VALU_DEP_1) | instskip(SKIP_1) | instid1(VALU_DEP_1)
	v_add_f32_e32 v46, v33, v46
	s_waitcnt vmcnt(11)
	v_add_f32_e32 v46, v34, v46
	s_waitcnt vmcnt(10)
	s_delay_alu instid0(VALU_DEP_1) | instskip(SKIP_1) | instid1(VALU_DEP_1)
	v_add_f32_e32 v46, v35, v46
	;; [unrolled: 5-line block ×6, first 2 shown]
	s_waitcnt vmcnt(1)
	v_add_f32_e32 v46, v42, v46
	s_waitcnt vmcnt(0)
	s_delay_alu instid0(VALU_DEP_1) | instskip(SKIP_1) | instid1(VALU_DEP_2)
	v_add_f32_e32 v46, v45, v46
	v_mbcnt_lo_u32_b32 v45, -1, 0
	v_mov_b32_dpp v47, v46 row_shr:1 row_mask:0xf bank_mask:0xf
	s_delay_alu instid0(VALU_DEP_2) | instskip(NEXT) | instid1(VALU_DEP_2)
	v_and_b32_e32 v49, 16, v45
	v_dual_add_f32 v47, v46, v47 :: v_dual_and_b32 v48, 15, v45
	s_delay_alu instid0(VALU_DEP_1) | instskip(NEXT) | instid1(VALU_DEP_2)
	v_cmp_eq_u32_e32 vcc_lo, 0, v48
	v_cndmask_b32_e32 v46, v47, v46, vcc_lo
	v_cmp_lt_u32_e32 vcc_lo, 1, v48
	s_delay_alu instid0(VALU_DEP_2) | instskip(NEXT) | instid1(VALU_DEP_1)
	v_mov_b32_dpp v47, v46 row_shr:2 row_mask:0xf bank_mask:0xf
	v_add_f32_e32 v47, v46, v47
	s_delay_alu instid0(VALU_DEP_1) | instskip(SKIP_1) | instid1(VALU_DEP_2)
	v_cndmask_b32_e32 v46, v46, v47, vcc_lo
	v_cmp_lt_u32_e32 vcc_lo, 3, v48
	v_mov_b32_dpp v47, v46 row_shr:4 row_mask:0xf bank_mask:0xf
	s_delay_alu instid0(VALU_DEP_1) | instskip(NEXT) | instid1(VALU_DEP_1)
	v_add_f32_e32 v47, v46, v47
	v_cndmask_b32_e32 v46, v46, v47, vcc_lo
	v_cmp_lt_u32_e32 vcc_lo, 7, v48
	v_and_b32_e32 v48, 0xe0, v0
	s_delay_alu instid0(VALU_DEP_1) | instskip(NEXT) | instid1(VALU_DEP_1)
	v_min_u32_e32 v48, 0xdf, v48
	v_add_nc_u32_e32 v48, 31, v48
	v_mov_b32_dpp v47, v46 row_shr:8 row_mask:0xf bank_mask:0xf
	s_delay_alu instid0(VALU_DEP_1) | instskip(NEXT) | instid1(VALU_DEP_1)
	v_add_f32_e32 v47, v46, v47
	v_cndmask_b32_e32 v46, v46, v47, vcc_lo
	v_cmp_eq_u32_e32 vcc_lo, 0, v49
	ds_swizzle_b32 v47, v46 offset:swizzle(BROADCAST,32,15)
	s_waitcnt lgkmcnt(0)
	v_add_f32_e32 v50, v46, v47
	v_lshrrev_b32_e32 v47, 5, v0
	s_delay_alu instid0(VALU_DEP_2)
	v_cndmask_b32_e32 v46, v50, v46, vcc_lo
	v_cmpx_eq_u32_e64 v48, v0
	s_cbranch_execz .LBB280_2
; %bb.1:
	s_delay_alu instid0(VALU_DEP_3)
	v_lshlrev_b32_e32 v48, 2, v47
	ds_store_b32 v48, v46
.LBB280_2:
	s_or_b32 exec_lo, exec_lo, s2
	s_delay_alu instid0(SALU_CYCLE_1)
	s_mov_b32 s2, exec_lo
	s_waitcnt lgkmcnt(0)
	s_barrier
	buffer_gl0_inv
	v_cmpx_gt_u32_e32 8, v0
	s_cbranch_execz .LBB280_4
; %bb.3:
	v_and_b32_e32 v51, 7, v45
	s_delay_alu instid0(VALU_DEP_1) | instskip(SKIP_4) | instid1(VALU_DEP_1)
	v_cmp_eq_u32_e32 vcc_lo, 0, v51
	v_lshlrev_b32_e32 v48, 2, v0
	ds_load_b32 v49, v48
	s_waitcnt lgkmcnt(0)
	v_mov_b32_dpp v50, v49 row_shr:1 row_mask:0xf bank_mask:0xf
	v_add_f32_e32 v50, v49, v50
	s_delay_alu instid0(VALU_DEP_1) | instskip(SKIP_1) | instid1(VALU_DEP_2)
	v_cndmask_b32_e32 v49, v50, v49, vcc_lo
	v_cmp_lt_u32_e32 vcc_lo, 1, v51
	v_mov_b32_dpp v50, v49 row_shr:2 row_mask:0xf bank_mask:0xf
	s_delay_alu instid0(VALU_DEP_1) | instskip(NEXT) | instid1(VALU_DEP_1)
	v_add_f32_e32 v50, v49, v50
	v_cndmask_b32_e32 v49, v49, v50, vcc_lo
	v_cmp_lt_u32_e32 vcc_lo, 3, v51
	s_delay_alu instid0(VALU_DEP_2) | instskip(NEXT) | instid1(VALU_DEP_1)
	v_mov_b32_dpp v50, v49 row_shr:4 row_mask:0xf bank_mask:0xf
	v_add_f32_e32 v50, v49, v50
	s_delay_alu instid0(VALU_DEP_1)
	v_cndmask_b32_e32 v49, v49, v50, vcc_lo
	ds_store_b32 v48, v49
.LBB280_4:
	s_or_b32 exec_lo, exec_lo, s2
	v_cmp_gt_u32_e32 vcc_lo, 32, v0
	s_mov_b32 s3, exec_lo
	s_waitcnt lgkmcnt(0)
	s_barrier
	buffer_gl0_inv
                                        ; implicit-def: $vgpr48
	v_cmpx_lt_u32_e32 31, v0
	s_cbranch_execz .LBB280_6
; %bb.5:
	v_lshl_add_u32 v47, v47, 2, -4
	ds_load_b32 v48, v47
	s_waitcnt lgkmcnt(0)
	v_add_f32_e32 v46, v46, v48
.LBB280_6:
	s_or_b32 exec_lo, exec_lo, s3
	s_load_b32 s0, s[0:1], 0x10
	v_add_nc_u32_e32 v47, -1, v45
	s_delay_alu instid0(VALU_DEP_1) | instskip(NEXT) | instid1(VALU_DEP_1)
	v_cmp_gt_i32_e64 s2, 0, v47
	v_cndmask_b32_e64 v47, v47, v45, s2
	s_delay_alu instid0(VALU_DEP_1)
	v_lshlrev_b32_e32 v47, 2, v47
	ds_bpermute_b32 v49, v47, v46
	s_waitcnt lgkmcnt(0)
	v_mov_b32_e32 v46, s0
	s_and_saveexec_b32 s1, vcc_lo
	s_cbranch_execz .LBB280_10
; %bb.7:
	v_mov_b32_e32 v47, 0
	s_mov_b32 s2, exec_lo
	ds_load_b32 v46, v47 offset:28
	v_cmpx_eq_u32_e32 0, v0
	s_cbranch_execz .LBB280_9
; %bb.8:
	v_mov_b32_e32 v50, s0
	ds_store_b32 v47, v50 offset:28
.LBB280_9:
	s_or_b32 exec_lo, exec_lo, s2
	s_waitcnt lgkmcnt(0)
	v_add_f32_e32 v46, s0, v46
.LBB280_10:
	s_or_b32 exec_lo, exec_lo, s1
	v_cmp_eq_u32_e32 vcc_lo, 0, v45
	s_barrier
	buffer_gl0_inv
	v_cndmask_b32_e32 v45, v49, v48, vcc_lo
	v_cmp_eq_u32_e32 vcc_lo, 0, v0
	v_mov_b32_e32 v47, 0
	ds_load_b32 v50, v47 offset:28
	s_waitcnt lgkmcnt(0)
	v_add_f32_e32 v45, v45, v50
	s_delay_alu instid0(VALU_DEP_1) | instskip(NEXT) | instid1(VALU_DEP_1)
	v_cndmask_b32_e32 v0, v45, v50, vcc_lo
	v_add_f32_e32 v31, v31, v0
	s_delay_alu instid0(VALU_DEP_1) | instskip(NEXT) | instid1(VALU_DEP_1)
	v_add_f32_e32 v32, v32, v31
	v_add_f32_e32 v33, v33, v32
	s_delay_alu instid0(VALU_DEP_1) | instskip(NEXT) | instid1(VALU_DEP_1)
	v_add_f32_e32 v34, v34, v33
	;; [unrolled: 3-line block ×6, first 2 shown]
	v_add_f32_e32 v44, v44, v43
	s_clause 0x7
	global_store_b32 v[1:2], v0, off
	global_store_b32 v[3:4], v31, off
	;; [unrolled: 1-line block ×8, first 2 shown]
	v_add_f32_e32 v0, v42, v44
	s_clause 0x6
	global_store_b32 v[17:18], v38, off
	global_store_b32 v[19:20], v39, off
	;; [unrolled: 1-line block ×7, first 2 shown]
	s_and_saveexec_b32 s0, vcc_lo
	s_cbranch_execz .LBB280_12
; %bb.11:
	s_mov_b32 s9, 0
	s_delay_alu instid0(SALU_CYCLE_1) | instskip(NEXT) | instid1(SALU_CYCLE_1)
	s_lshl_b64 s[0:1], s[8:9], 2
	s_add_u32 s0, s6, s0
	s_addc_u32 s1, s7, s1
	global_store_b32 v47, v46, s[0:1]
.LBB280_12:
	s_nop 0
	s_sendmsg sendmsg(MSG_DEALLOC_VGPRS)
	s_endpgm
	.section	.rodata,"a",@progbits
	.p2align	6, 0x0
	.amdhsa_kernel _Z43exclusive_scan_prefix_callback_array_kernelILj255ELj15ELN6hipcub18BlockScanAlgorithmE0EfEvPT2_S3_S2_
		.amdhsa_group_segment_fixed_size 32
		.amdhsa_private_segment_fixed_size 0
		.amdhsa_kernarg_size 20
		.amdhsa_user_sgpr_count 15
		.amdhsa_user_sgpr_dispatch_ptr 0
		.amdhsa_user_sgpr_queue_ptr 0
		.amdhsa_user_sgpr_kernarg_segment_ptr 1
		.amdhsa_user_sgpr_dispatch_id 0
		.amdhsa_user_sgpr_private_segment_size 0
		.amdhsa_wavefront_size32 1
		.amdhsa_uses_dynamic_stack 0
		.amdhsa_enable_private_segment 0
		.amdhsa_system_sgpr_workgroup_id_x 1
		.amdhsa_system_sgpr_workgroup_id_y 0
		.amdhsa_system_sgpr_workgroup_id_z 0
		.amdhsa_system_sgpr_workgroup_info 0
		.amdhsa_system_vgpr_workitem_id 0
		.amdhsa_next_free_vgpr 52
		.amdhsa_next_free_sgpr 16
		.amdhsa_reserve_vcc 1
		.amdhsa_float_round_mode_32 0
		.amdhsa_float_round_mode_16_64 0
		.amdhsa_float_denorm_mode_32 3
		.amdhsa_float_denorm_mode_16_64 3
		.amdhsa_dx10_clamp 1
		.amdhsa_ieee_mode 1
		.amdhsa_fp16_overflow 0
		.amdhsa_workgroup_processor_mode 1
		.amdhsa_memory_ordered 1
		.amdhsa_forward_progress 0
		.amdhsa_shared_vgpr_count 0
		.amdhsa_exception_fp_ieee_invalid_op 0
		.amdhsa_exception_fp_denorm_src 0
		.amdhsa_exception_fp_ieee_div_zero 0
		.amdhsa_exception_fp_ieee_overflow 0
		.amdhsa_exception_fp_ieee_underflow 0
		.amdhsa_exception_fp_ieee_inexact 0
		.amdhsa_exception_int_div_zero 0
	.end_amdhsa_kernel
	.section	.text._Z43exclusive_scan_prefix_callback_array_kernelILj255ELj15ELN6hipcub18BlockScanAlgorithmE0EfEvPT2_S3_S2_,"axG",@progbits,_Z43exclusive_scan_prefix_callback_array_kernelILj255ELj15ELN6hipcub18BlockScanAlgorithmE0EfEvPT2_S3_S2_,comdat
.Lfunc_end280:
	.size	_Z43exclusive_scan_prefix_callback_array_kernelILj255ELj15ELN6hipcub18BlockScanAlgorithmE0EfEvPT2_S3_S2_, .Lfunc_end280-_Z43exclusive_scan_prefix_callback_array_kernelILj255ELj15ELN6hipcub18BlockScanAlgorithmE0EfEvPT2_S3_S2_
                                        ; -- End function
	.section	.AMDGPU.csdata,"",@progbits
; Kernel info:
; codeLenInByte = 1592
; NumSgprs: 18
; NumVgprs: 52
; ScratchSize: 0
; MemoryBound: 0
; FloatMode: 240
; IeeeMode: 1
; LDSByteSize: 32 bytes/workgroup (compile time only)
; SGPRBlocks: 2
; VGPRBlocks: 6
; NumSGPRsForWavesPerEU: 18
; NumVGPRsForWavesPerEU: 52
; Occupancy: 16
; WaveLimiterHint : 0
; COMPUTE_PGM_RSRC2:SCRATCH_EN: 0
; COMPUTE_PGM_RSRC2:USER_SGPR: 15
; COMPUTE_PGM_RSRC2:TRAP_HANDLER: 0
; COMPUTE_PGM_RSRC2:TGID_X_EN: 1
; COMPUTE_PGM_RSRC2:TGID_Y_EN: 0
; COMPUTE_PGM_RSRC2:TGID_Z_EN: 0
; COMPUTE_PGM_RSRC2:TIDIG_COMP_CNT: 0
	.section	.text._Z43exclusive_scan_prefix_callback_array_kernelILj162ELj7ELN6hipcub18BlockScanAlgorithmE0EfEvPT2_S3_S2_,"axG",@progbits,_Z43exclusive_scan_prefix_callback_array_kernelILj162ELj7ELN6hipcub18BlockScanAlgorithmE0EfEvPT2_S3_S2_,comdat
	.protected	_Z43exclusive_scan_prefix_callback_array_kernelILj162ELj7ELN6hipcub18BlockScanAlgorithmE0EfEvPT2_S3_S2_ ; -- Begin function _Z43exclusive_scan_prefix_callback_array_kernelILj162ELj7ELN6hipcub18BlockScanAlgorithmE0EfEvPT2_S3_S2_
	.globl	_Z43exclusive_scan_prefix_callback_array_kernelILj162ELj7ELN6hipcub18BlockScanAlgorithmE0EfEvPT2_S3_S2_
	.p2align	8
	.type	_Z43exclusive_scan_prefix_callback_array_kernelILj162ELj7ELN6hipcub18BlockScanAlgorithmE0EfEvPT2_S3_S2_,@function
_Z43exclusive_scan_prefix_callback_array_kernelILj162ELj7ELN6hipcub18BlockScanAlgorithmE0EfEvPT2_S3_S2_: ; @_Z43exclusive_scan_prefix_callback_array_kernelILj162ELj7ELN6hipcub18BlockScanAlgorithmE0EfEvPT2_S3_S2_
; %bb.0:
	s_mov_b32 s8, s15
	s_load_b128 s[4:7], s[0:1], 0x0
	v_mad_u64_u32 v[1:2], null, 0xa2, s8, v[0:1]
	s_mov_b32 s2, exec_lo
	s_delay_alu instid0(VALU_DEP_1) | instskip(NEXT) | instid1(VALU_DEP_1)
	v_mul_lo_u32 v11, v1, 7
	v_dual_mov_b32 v12, 0 :: v_dual_add_nc_u32 v1, 1, v11
	s_delay_alu instid0(VALU_DEP_1) | instskip(SKIP_2) | instid1(VALU_DEP_3)
	v_dual_mov_b32 v2, v12 :: v_dual_add_nc_u32 v3, 2, v11
	v_lshlrev_b64 v[9:10], 2, v[11:12]
	v_dual_mov_b32 v4, v12 :: v_dual_add_nc_u32 v5, 3, v11
	v_lshlrev_b64 v[13:14], 2, v[1:2]
	v_dual_mov_b32 v6, v12 :: v_dual_add_nc_u32 v7, 4, v11
	s_waitcnt lgkmcnt(0)
	s_delay_alu instid0(VALU_DEP_4)
	v_add_co_u32 v1, vcc_lo, s4, v9
	v_lshlrev_b64 v[15:16], 2, v[3:4]
	v_add_co_ci_u32_e32 v2, vcc_lo, s5, v10, vcc_lo
	v_mov_b32_e32 v8, v12
	v_add_co_u32 v3, vcc_lo, s4, v13
	v_add_nc_u32_e32 v13, 5, v11
	v_lshlrev_b64 v[17:18], 2, v[5:6]
	v_add_co_ci_u32_e32 v4, vcc_lo, s5, v14, vcc_lo
	v_add_co_u32 v5, vcc_lo, s4, v15
	v_lshlrev_b64 v[19:20], 2, v[7:8]
	v_add_co_ci_u32_e32 v6, vcc_lo, s5, v16, vcc_lo
	s_clause 0x1
	global_load_b32 v15, v[1:2], off
	global_load_b32 v16, v[3:4], off
	v_dual_mov_b32 v14, v12 :: v_dual_add_nc_u32 v11, 6, v11
	v_add_co_u32 v7, vcc_lo, s4, v17
	v_add_co_ci_u32_e32 v8, vcc_lo, s5, v18, vcc_lo
	v_add_co_u32 v9, vcc_lo, s4, v19
	global_load_b32 v17, v[5:6], off
	v_lshlrev_b64 v[13:14], 2, v[13:14]
	v_add_co_ci_u32_e32 v10, vcc_lo, s5, v20, vcc_lo
	v_lshlrev_b64 v[20:21], 2, v[11:12]
	s_clause 0x1
	global_load_b32 v18, v[7:8], off
	global_load_b32 v19, v[9:10], off
	v_add_co_u32 v11, vcc_lo, s4, v13
	v_add_co_ci_u32_e32 v12, vcc_lo, s5, v14, vcc_lo
	v_add_co_u32 v13, vcc_lo, s4, v20
	v_add_co_ci_u32_e32 v14, vcc_lo, s5, v21, vcc_lo
	s_clause 0x1
	global_load_b32 v20, v[11:12], off
	global_load_b32 v21, v[13:14], off
	s_waitcnt vmcnt(5)
	v_add_f32_e32 v22, v15, v16
	s_waitcnt vmcnt(4)
	s_delay_alu instid0(VALU_DEP_1) | instskip(SKIP_1) | instid1(VALU_DEP_1)
	v_add_f32_e32 v22, v17, v22
	s_waitcnt vmcnt(3)
	v_add_f32_e32 v22, v18, v22
	s_waitcnt vmcnt(2)
	s_delay_alu instid0(VALU_DEP_1) | instskip(SKIP_1) | instid1(VALU_DEP_1)
	v_add_f32_e32 v22, v19, v22
	s_waitcnt vmcnt(1)
	v_add_f32_e32 v22, v20, v22
	s_waitcnt vmcnt(0)
	s_delay_alu instid0(VALU_DEP_1) | instskip(SKIP_1) | instid1(VALU_DEP_2)
	v_add_f32_e32 v22, v21, v22
	v_mbcnt_lo_u32_b32 v21, -1, 0
	v_mov_b32_dpp v23, v22 row_shr:1 row_mask:0xf bank_mask:0xf
	s_delay_alu instid0(VALU_DEP_2) | instskip(NEXT) | instid1(VALU_DEP_2)
	v_and_b32_e32 v25, 16, v21
	v_dual_add_f32 v23, v22, v23 :: v_dual_and_b32 v24, 15, v21
	s_delay_alu instid0(VALU_DEP_1) | instskip(NEXT) | instid1(VALU_DEP_2)
	v_cmp_eq_u32_e32 vcc_lo, 0, v24
	v_cndmask_b32_e32 v22, v23, v22, vcc_lo
	v_cmp_lt_u32_e32 vcc_lo, 1, v24
	s_delay_alu instid0(VALU_DEP_2) | instskip(NEXT) | instid1(VALU_DEP_1)
	v_mov_b32_dpp v23, v22 row_shr:2 row_mask:0xf bank_mask:0xf
	v_add_f32_e32 v23, v22, v23
	s_delay_alu instid0(VALU_DEP_1) | instskip(SKIP_1) | instid1(VALU_DEP_2)
	v_cndmask_b32_e32 v22, v22, v23, vcc_lo
	v_cmp_lt_u32_e32 vcc_lo, 3, v24
	v_mov_b32_dpp v23, v22 row_shr:4 row_mask:0xf bank_mask:0xf
	s_delay_alu instid0(VALU_DEP_1) | instskip(NEXT) | instid1(VALU_DEP_1)
	v_add_f32_e32 v23, v22, v23
	v_cndmask_b32_e32 v22, v22, v23, vcc_lo
	v_cmp_lt_u32_e32 vcc_lo, 7, v24
	v_and_b32_e32 v24, 0xe0, v0
	s_delay_alu instid0(VALU_DEP_1) | instskip(NEXT) | instid1(VALU_DEP_1)
	v_min_u32_e32 v24, 0x82, v24
	v_add_nc_u32_e32 v24, 31, v24
	v_mov_b32_dpp v23, v22 row_shr:8 row_mask:0xf bank_mask:0xf
	s_delay_alu instid0(VALU_DEP_1) | instskip(NEXT) | instid1(VALU_DEP_1)
	v_add_f32_e32 v23, v22, v23
	v_cndmask_b32_e32 v22, v22, v23, vcc_lo
	v_cmp_eq_u32_e32 vcc_lo, 0, v25
	ds_swizzle_b32 v23, v22 offset:swizzle(BROADCAST,32,15)
	s_waitcnt lgkmcnt(0)
	v_add_f32_e32 v26, v22, v23
	v_lshrrev_b32_e32 v23, 5, v0
	s_delay_alu instid0(VALU_DEP_2)
	v_cndmask_b32_e32 v22, v26, v22, vcc_lo
	v_cmpx_eq_u32_e64 v24, v0
	s_cbranch_execz .LBB281_2
; %bb.1:
	s_delay_alu instid0(VALU_DEP_3)
	v_lshlrev_b32_e32 v24, 2, v23
	ds_store_b32 v24, v22
.LBB281_2:
	s_or_b32 exec_lo, exec_lo, s2
	s_delay_alu instid0(SALU_CYCLE_1)
	s_mov_b32 s2, exec_lo
	s_waitcnt lgkmcnt(0)
	s_barrier
	buffer_gl0_inv
	v_cmpx_gt_u32_e32 6, v0
	s_cbranch_execz .LBB281_4
; %bb.3:
	v_and_b32_e32 v27, 7, v21
	s_delay_alu instid0(VALU_DEP_1) | instskip(SKIP_4) | instid1(VALU_DEP_1)
	v_cmp_eq_u32_e32 vcc_lo, 0, v27
	v_lshlrev_b32_e32 v24, 2, v0
	ds_load_b32 v25, v24
	s_waitcnt lgkmcnt(0)
	v_mov_b32_dpp v26, v25 row_shr:1 row_mask:0xf bank_mask:0xf
	v_add_f32_e32 v26, v25, v26
	s_delay_alu instid0(VALU_DEP_1) | instskip(SKIP_1) | instid1(VALU_DEP_2)
	v_cndmask_b32_e32 v25, v26, v25, vcc_lo
	v_cmp_lt_u32_e32 vcc_lo, 1, v27
	v_mov_b32_dpp v26, v25 row_shr:2 row_mask:0xf bank_mask:0xf
	s_delay_alu instid0(VALU_DEP_1) | instskip(NEXT) | instid1(VALU_DEP_1)
	v_add_f32_e32 v26, v25, v26
	v_cndmask_b32_e32 v25, v25, v26, vcc_lo
	v_cmp_lt_u32_e32 vcc_lo, 3, v27
	s_delay_alu instid0(VALU_DEP_2) | instskip(NEXT) | instid1(VALU_DEP_1)
	v_mov_b32_dpp v26, v25 row_shr:4 row_mask:0xf bank_mask:0xf
	v_add_f32_e32 v26, v25, v26
	s_delay_alu instid0(VALU_DEP_1)
	v_cndmask_b32_e32 v25, v25, v26, vcc_lo
	ds_store_b32 v24, v25
.LBB281_4:
	s_or_b32 exec_lo, exec_lo, s2
	v_cmp_gt_u32_e32 vcc_lo, 32, v0
	s_mov_b32 s3, exec_lo
	s_waitcnt lgkmcnt(0)
	s_barrier
	buffer_gl0_inv
                                        ; implicit-def: $vgpr24
	v_cmpx_lt_u32_e32 31, v0
	s_cbranch_execz .LBB281_6
; %bb.5:
	v_lshl_add_u32 v23, v23, 2, -4
	ds_load_b32 v24, v23
	s_waitcnt lgkmcnt(0)
	v_add_f32_e32 v22, v22, v24
.LBB281_6:
	s_or_b32 exec_lo, exec_lo, s3
	s_load_b32 s0, s[0:1], 0x10
	v_add_nc_u32_e32 v23, -1, v21
	s_delay_alu instid0(VALU_DEP_1) | instskip(NEXT) | instid1(VALU_DEP_1)
	v_cmp_gt_i32_e64 s2, 0, v23
	v_cndmask_b32_e64 v23, v23, v21, s2
	s_delay_alu instid0(VALU_DEP_1)
	v_lshlrev_b32_e32 v23, 2, v23
	ds_bpermute_b32 v23, v23, v22
	s_waitcnt lgkmcnt(0)
	v_mov_b32_e32 v22, s0
	s_and_saveexec_b32 s1, vcc_lo
	s_cbranch_execz .LBB281_10
; %bb.7:
	v_mov_b32_e32 v25, 0
	s_mov_b32 s2, exec_lo
	ds_load_b32 v22, v25 offset:20
	v_cmpx_eq_u32_e32 0, v0
	s_cbranch_execz .LBB281_9
; %bb.8:
	v_mov_b32_e32 v26, s0
	ds_store_b32 v25, v26 offset:20
.LBB281_9:
	s_or_b32 exec_lo, exec_lo, s2
	s_waitcnt lgkmcnt(0)
	v_add_f32_e32 v22, s0, v22
.LBB281_10:
	s_or_b32 exec_lo, exec_lo, s1
	v_cmp_eq_u32_e32 vcc_lo, 0, v21
	s_barrier
	buffer_gl0_inv
	v_cndmask_b32_e32 v21, v23, v24, vcc_lo
	v_cmp_eq_u32_e32 vcc_lo, 0, v0
	v_mov_b32_e32 v25, 0
	ds_load_b32 v26, v25 offset:20
	s_waitcnt lgkmcnt(0)
	v_add_f32_e32 v21, v21, v26
	s_delay_alu instid0(VALU_DEP_1) | instskip(NEXT) | instid1(VALU_DEP_1)
	v_cndmask_b32_e32 v0, v21, v26, vcc_lo
	v_add_f32_e32 v15, v15, v0
	s_delay_alu instid0(VALU_DEP_1) | instskip(NEXT) | instid1(VALU_DEP_1)
	v_add_f32_e32 v16, v16, v15
	v_add_f32_e32 v17, v17, v16
	s_delay_alu instid0(VALU_DEP_1) | instskip(NEXT) | instid1(VALU_DEP_1)
	v_add_f32_e32 v18, v18, v17
	v_add_f32_e32 v19, v19, v18
	s_delay_alu instid0(VALU_DEP_1)
	v_add_f32_e32 v20, v20, v19
	s_clause 0x6
	global_store_b32 v[1:2], v0, off
	global_store_b32 v[3:4], v15, off
	;; [unrolled: 1-line block ×7, first 2 shown]
	s_and_saveexec_b32 s0, vcc_lo
	s_cbranch_execz .LBB281_12
; %bb.11:
	s_mov_b32 s9, 0
	s_delay_alu instid0(SALU_CYCLE_1) | instskip(NEXT) | instid1(SALU_CYCLE_1)
	s_lshl_b64 s[0:1], s[8:9], 2
	s_add_u32 s0, s6, s0
	s_addc_u32 s1, s7, s1
	global_store_b32 v25, v22, s[0:1]
.LBB281_12:
	s_nop 0
	s_sendmsg sendmsg(MSG_DEALLOC_VGPRS)
	s_endpgm
	.section	.rodata,"a",@progbits
	.p2align	6, 0x0
	.amdhsa_kernel _Z43exclusive_scan_prefix_callback_array_kernelILj162ELj7ELN6hipcub18BlockScanAlgorithmE0EfEvPT2_S3_S2_
		.amdhsa_group_segment_fixed_size 24
		.amdhsa_private_segment_fixed_size 0
		.amdhsa_kernarg_size 20
		.amdhsa_user_sgpr_count 15
		.amdhsa_user_sgpr_dispatch_ptr 0
		.amdhsa_user_sgpr_queue_ptr 0
		.amdhsa_user_sgpr_kernarg_segment_ptr 1
		.amdhsa_user_sgpr_dispatch_id 0
		.amdhsa_user_sgpr_private_segment_size 0
		.amdhsa_wavefront_size32 1
		.amdhsa_uses_dynamic_stack 0
		.amdhsa_enable_private_segment 0
		.amdhsa_system_sgpr_workgroup_id_x 1
		.amdhsa_system_sgpr_workgroup_id_y 0
		.amdhsa_system_sgpr_workgroup_id_z 0
		.amdhsa_system_sgpr_workgroup_info 0
		.amdhsa_system_vgpr_workitem_id 0
		.amdhsa_next_free_vgpr 28
		.amdhsa_next_free_sgpr 16
		.amdhsa_reserve_vcc 1
		.amdhsa_float_round_mode_32 0
		.amdhsa_float_round_mode_16_64 0
		.amdhsa_float_denorm_mode_32 3
		.amdhsa_float_denorm_mode_16_64 3
		.amdhsa_dx10_clamp 1
		.amdhsa_ieee_mode 1
		.amdhsa_fp16_overflow 0
		.amdhsa_workgroup_processor_mode 1
		.amdhsa_memory_ordered 1
		.amdhsa_forward_progress 0
		.amdhsa_shared_vgpr_count 0
		.amdhsa_exception_fp_ieee_invalid_op 0
		.amdhsa_exception_fp_denorm_src 0
		.amdhsa_exception_fp_ieee_div_zero 0
		.amdhsa_exception_fp_ieee_overflow 0
		.amdhsa_exception_fp_ieee_underflow 0
		.amdhsa_exception_fp_ieee_inexact 0
		.amdhsa_exception_int_div_zero 0
	.end_amdhsa_kernel
	.section	.text._Z43exclusive_scan_prefix_callback_array_kernelILj162ELj7ELN6hipcub18BlockScanAlgorithmE0EfEvPT2_S3_S2_,"axG",@progbits,_Z43exclusive_scan_prefix_callback_array_kernelILj162ELj7ELN6hipcub18BlockScanAlgorithmE0EfEvPT2_S3_S2_,comdat
.Lfunc_end281:
	.size	_Z43exclusive_scan_prefix_callback_array_kernelILj162ELj7ELN6hipcub18BlockScanAlgorithmE0EfEvPT2_S3_S2_, .Lfunc_end281-_Z43exclusive_scan_prefix_callback_array_kernelILj162ELj7ELN6hipcub18BlockScanAlgorithmE0EfEvPT2_S3_S2_
                                        ; -- End function
	.section	.AMDGPU.csdata,"",@progbits
; Kernel info:
; codeLenInByte = 1092
; NumSgprs: 18
; NumVgprs: 28
; ScratchSize: 0
; MemoryBound: 0
; FloatMode: 240
; IeeeMode: 1
; LDSByteSize: 24 bytes/workgroup (compile time only)
; SGPRBlocks: 2
; VGPRBlocks: 3
; NumSGPRsForWavesPerEU: 18
; NumVGPRsForWavesPerEU: 28
; Occupancy: 15
; WaveLimiterHint : 0
; COMPUTE_PGM_RSRC2:SCRATCH_EN: 0
; COMPUTE_PGM_RSRC2:USER_SGPR: 15
; COMPUTE_PGM_RSRC2:TRAP_HANDLER: 0
; COMPUTE_PGM_RSRC2:TGID_X_EN: 1
; COMPUTE_PGM_RSRC2:TGID_Y_EN: 0
; COMPUTE_PGM_RSRC2:TGID_Z_EN: 0
; COMPUTE_PGM_RSRC2:TIDIG_COMP_CNT: 0
	.section	.text._Z43exclusive_scan_prefix_callback_array_kernelILj65ELj5ELN6hipcub18BlockScanAlgorithmE0EfEvPT2_S3_S2_,"axG",@progbits,_Z43exclusive_scan_prefix_callback_array_kernelILj65ELj5ELN6hipcub18BlockScanAlgorithmE0EfEvPT2_S3_S2_,comdat
	.protected	_Z43exclusive_scan_prefix_callback_array_kernelILj65ELj5ELN6hipcub18BlockScanAlgorithmE0EfEvPT2_S3_S2_ ; -- Begin function _Z43exclusive_scan_prefix_callback_array_kernelILj65ELj5ELN6hipcub18BlockScanAlgorithmE0EfEvPT2_S3_S2_
	.globl	_Z43exclusive_scan_prefix_callback_array_kernelILj65ELj5ELN6hipcub18BlockScanAlgorithmE0EfEvPT2_S3_S2_
	.p2align	8
	.type	_Z43exclusive_scan_prefix_callback_array_kernelILj65ELj5ELN6hipcub18BlockScanAlgorithmE0EfEvPT2_S3_S2_,@function
_Z43exclusive_scan_prefix_callback_array_kernelILj65ELj5ELN6hipcub18BlockScanAlgorithmE0EfEvPT2_S3_S2_: ; @_Z43exclusive_scan_prefix_callback_array_kernelILj65ELj5ELN6hipcub18BlockScanAlgorithmE0EfEvPT2_S3_S2_
; %bb.0:
	s_mov_b32 s8, s15
	s_load_b128 s[4:7], s[0:1], 0x0
	v_mad_u64_u32 v[1:2], null, 0x41, s8, v[0:1]
	s_mov_b32 s2, exec_lo
	s_delay_alu instid0(VALU_DEP_1) | instskip(NEXT) | instid1(VALU_DEP_1)
	v_lshl_add_u32 v1, v1, 2, v1
	v_dual_mov_b32 v2, 0 :: v_dual_add_nc_u32 v3, 1, v1
	s_delay_alu instid0(VALU_DEP_1) | instskip(SKIP_3) | instid1(VALU_DEP_4)
	v_dual_mov_b32 v4, v2 :: v_dual_add_nc_u32 v5, 2, v1
	v_lshlrev_b64 v[9:10], 2, v[1:2]
	v_dual_mov_b32 v6, v2 :: v_dual_add_nc_u32 v7, 3, v1
	v_dual_mov_b32 v8, v2 :: v_dual_add_nc_u32 v1, 4, v1
	v_lshlrev_b64 v[3:4], 2, v[3:4]
	s_delay_alu instid0(VALU_DEP_3) | instskip(NEXT) | instid1(VALU_DEP_3)
	v_lshlrev_b64 v[5:6], 2, v[5:6]
	v_lshlrev_b64 v[7:8], 2, v[7:8]
	s_delay_alu instid0(VALU_DEP_4)
	v_lshlrev_b64 v[14:15], 2, v[1:2]
	s_waitcnt lgkmcnt(0)
	v_add_co_u32 v1, vcc_lo, s4, v9
	v_add_co_ci_u32_e32 v2, vcc_lo, s5, v10, vcc_lo
	v_add_co_u32 v3, vcc_lo, s4, v3
	v_add_co_ci_u32_e32 v4, vcc_lo, s5, v4, vcc_lo
	v_add_co_u32 v5, vcc_lo, s4, v5
	v_add_co_ci_u32_e32 v6, vcc_lo, s5, v6, vcc_lo
	s_clause 0x1
	global_load_b32 v11, v[1:2], off
	global_load_b32 v12, v[3:4], off
	v_add_co_u32 v7, vcc_lo, s4, v7
	v_add_co_ci_u32_e32 v8, vcc_lo, s5, v8, vcc_lo
	global_load_b32 v13, v[5:6], off
	v_add_co_u32 v9, vcc_lo, s4, v14
	v_add_co_ci_u32_e32 v10, vcc_lo, s5, v15, vcc_lo
	s_clause 0x1
	global_load_b32 v14, v[7:8], off
	global_load_b32 v15, v[9:10], off
	s_waitcnt vmcnt(3)
	v_add_f32_e32 v16, v11, v12
	s_waitcnt vmcnt(2)
	s_delay_alu instid0(VALU_DEP_1) | instskip(SKIP_1) | instid1(VALU_DEP_1)
	v_add_f32_e32 v16, v13, v16
	s_waitcnt vmcnt(1)
	v_add_f32_e32 v16, v14, v16
	s_waitcnt vmcnt(0)
	s_delay_alu instid0(VALU_DEP_1) | instskip(SKIP_1) | instid1(VALU_DEP_2)
	v_add_f32_e32 v16, v15, v16
	v_mbcnt_lo_u32_b32 v15, -1, 0
	v_mov_b32_dpp v17, v16 row_shr:1 row_mask:0xf bank_mask:0xf
	s_delay_alu instid0(VALU_DEP_2) | instskip(NEXT) | instid1(VALU_DEP_2)
	v_and_b32_e32 v19, 16, v15
	v_dual_add_f32 v17, v16, v17 :: v_dual_and_b32 v18, 15, v15
	s_delay_alu instid0(VALU_DEP_1) | instskip(NEXT) | instid1(VALU_DEP_2)
	v_cmp_eq_u32_e32 vcc_lo, 0, v18
	v_cndmask_b32_e32 v16, v17, v16, vcc_lo
	v_cmp_lt_u32_e32 vcc_lo, 1, v18
	s_delay_alu instid0(VALU_DEP_2) | instskip(NEXT) | instid1(VALU_DEP_1)
	v_mov_b32_dpp v17, v16 row_shr:2 row_mask:0xf bank_mask:0xf
	v_add_f32_e32 v17, v16, v17
	s_delay_alu instid0(VALU_DEP_1) | instskip(SKIP_1) | instid1(VALU_DEP_2)
	v_cndmask_b32_e32 v16, v16, v17, vcc_lo
	v_cmp_lt_u32_e32 vcc_lo, 3, v18
	v_mov_b32_dpp v17, v16 row_shr:4 row_mask:0xf bank_mask:0xf
	s_delay_alu instid0(VALU_DEP_1) | instskip(NEXT) | instid1(VALU_DEP_1)
	v_add_f32_e32 v17, v16, v17
	v_cndmask_b32_e32 v16, v16, v17, vcc_lo
	v_cmp_lt_u32_e32 vcc_lo, 7, v18
	v_and_b32_e32 v18, 0x60, v0
	s_delay_alu instid0(VALU_DEP_1) | instskip(NEXT) | instid1(VALU_DEP_1)
	v_min_u32_e32 v18, 33, v18
	v_add_nc_u32_e32 v18, 31, v18
	v_mov_b32_dpp v17, v16 row_shr:8 row_mask:0xf bank_mask:0xf
	s_delay_alu instid0(VALU_DEP_1) | instskip(NEXT) | instid1(VALU_DEP_1)
	v_add_f32_e32 v17, v16, v17
	v_cndmask_b32_e32 v16, v16, v17, vcc_lo
	v_cmp_eq_u32_e32 vcc_lo, 0, v19
	ds_swizzle_b32 v17, v16 offset:swizzle(BROADCAST,32,15)
	s_waitcnt lgkmcnt(0)
	v_add_f32_e32 v20, v16, v17
	v_lshrrev_b32_e32 v17, 5, v0
	s_delay_alu instid0(VALU_DEP_2)
	v_cndmask_b32_e32 v16, v20, v16, vcc_lo
	v_cmpx_eq_u32_e64 v18, v0
	s_cbranch_execz .LBB282_2
; %bb.1:
	s_delay_alu instid0(VALU_DEP_3)
	v_lshlrev_b32_e32 v18, 2, v17
	ds_store_b32 v18, v16
.LBB282_2:
	s_or_b32 exec_lo, exec_lo, s2
	s_delay_alu instid0(SALU_CYCLE_1)
	s_mov_b32 s2, exec_lo
	s_waitcnt lgkmcnt(0)
	s_barrier
	buffer_gl0_inv
	v_cmpx_gt_u32_e32 3, v0
	s_cbranch_execz .LBB282_4
; %bb.3:
	v_and_b32_e32 v21, 3, v15
	s_delay_alu instid0(VALU_DEP_1) | instskip(SKIP_4) | instid1(VALU_DEP_1)
	v_cmp_eq_u32_e32 vcc_lo, 0, v21
	v_lshlrev_b32_e32 v18, 2, v0
	ds_load_b32 v19, v18
	s_waitcnt lgkmcnt(0)
	v_mov_b32_dpp v20, v19 row_shr:1 row_mask:0xf bank_mask:0xf
	v_add_f32_e32 v20, v19, v20
	s_delay_alu instid0(VALU_DEP_1) | instskip(SKIP_1) | instid1(VALU_DEP_2)
	v_cndmask_b32_e32 v19, v20, v19, vcc_lo
	v_cmp_lt_u32_e32 vcc_lo, 1, v21
	v_mov_b32_dpp v20, v19 row_shr:2 row_mask:0xf bank_mask:0xf
	s_delay_alu instid0(VALU_DEP_1) | instskip(NEXT) | instid1(VALU_DEP_1)
	v_add_f32_e32 v20, v19, v20
	v_cndmask_b32_e32 v19, v19, v20, vcc_lo
	ds_store_b32 v18, v19
.LBB282_4:
	s_or_b32 exec_lo, exec_lo, s2
	v_cmp_gt_u32_e32 vcc_lo, 32, v0
	s_mov_b32 s3, exec_lo
	s_waitcnt lgkmcnt(0)
	s_barrier
	buffer_gl0_inv
                                        ; implicit-def: $vgpr18
	v_cmpx_lt_u32_e32 31, v0
	s_cbranch_execz .LBB282_6
; %bb.5:
	v_lshl_add_u32 v17, v17, 2, -4
	ds_load_b32 v18, v17
	s_waitcnt lgkmcnt(0)
	v_add_f32_e32 v16, v16, v18
.LBB282_6:
	s_or_b32 exec_lo, exec_lo, s3
	s_load_b32 s0, s[0:1], 0x10
	v_add_nc_u32_e32 v17, -1, v15
	s_delay_alu instid0(VALU_DEP_1) | instskip(NEXT) | instid1(VALU_DEP_1)
	v_cmp_gt_i32_e64 s2, 0, v17
	v_cndmask_b32_e64 v17, v17, v15, s2
	s_delay_alu instid0(VALU_DEP_1)
	v_lshlrev_b32_e32 v17, 2, v17
	ds_bpermute_b32 v17, v17, v16
	s_waitcnt lgkmcnt(0)
	v_mov_b32_e32 v16, s0
	s_and_saveexec_b32 s1, vcc_lo
	s_cbranch_execz .LBB282_10
; %bb.7:
	v_mov_b32_e32 v19, 0
	s_mov_b32 s2, exec_lo
	ds_load_b32 v16, v19 offset:8
	v_cmpx_eq_u32_e32 0, v0
	s_cbranch_execz .LBB282_9
; %bb.8:
	v_mov_b32_e32 v20, s0
	ds_store_b32 v19, v20 offset:8
.LBB282_9:
	s_or_b32 exec_lo, exec_lo, s2
	s_waitcnt lgkmcnt(0)
	v_add_f32_e32 v16, s0, v16
.LBB282_10:
	s_or_b32 exec_lo, exec_lo, s1
	v_cmp_eq_u32_e32 vcc_lo, 0, v15
	s_barrier
	buffer_gl0_inv
	v_cndmask_b32_e32 v15, v17, v18, vcc_lo
	v_cmp_eq_u32_e32 vcc_lo, 0, v0
	v_mov_b32_e32 v19, 0
	ds_load_b32 v20, v19 offset:8
	s_waitcnt lgkmcnt(0)
	v_add_f32_e32 v15, v15, v20
	s_delay_alu instid0(VALU_DEP_1) | instskip(NEXT) | instid1(VALU_DEP_1)
	v_cndmask_b32_e32 v0, v15, v20, vcc_lo
	v_add_f32_e32 v11, v11, v0
	s_delay_alu instid0(VALU_DEP_1) | instskip(NEXT) | instid1(VALU_DEP_1)
	v_add_f32_e32 v12, v12, v11
	v_add_f32_e32 v13, v13, v12
	s_delay_alu instid0(VALU_DEP_1)
	v_add_f32_e32 v14, v14, v13
	s_clause 0x4
	global_store_b32 v[1:2], v0, off
	global_store_b32 v[3:4], v11, off
	;; [unrolled: 1-line block ×5, first 2 shown]
	s_and_saveexec_b32 s0, vcc_lo
	s_cbranch_execz .LBB282_12
; %bb.11:
	s_mov_b32 s9, 0
	s_delay_alu instid0(SALU_CYCLE_1) | instskip(NEXT) | instid1(SALU_CYCLE_1)
	s_lshl_b64 s[0:1], s[8:9], 2
	s_add_u32 s0, s6, s0
	s_addc_u32 s1, s7, s1
	global_store_b32 v19, v16, s[0:1]
.LBB282_12:
	s_nop 0
	s_sendmsg sendmsg(MSG_DEALLOC_VGPRS)
	s_endpgm
	.section	.rodata,"a",@progbits
	.p2align	6, 0x0
	.amdhsa_kernel _Z43exclusive_scan_prefix_callback_array_kernelILj65ELj5ELN6hipcub18BlockScanAlgorithmE0EfEvPT2_S3_S2_
		.amdhsa_group_segment_fixed_size 12
		.amdhsa_private_segment_fixed_size 0
		.amdhsa_kernarg_size 20
		.amdhsa_user_sgpr_count 15
		.amdhsa_user_sgpr_dispatch_ptr 0
		.amdhsa_user_sgpr_queue_ptr 0
		.amdhsa_user_sgpr_kernarg_segment_ptr 1
		.amdhsa_user_sgpr_dispatch_id 0
		.amdhsa_user_sgpr_private_segment_size 0
		.amdhsa_wavefront_size32 1
		.amdhsa_uses_dynamic_stack 0
		.amdhsa_enable_private_segment 0
		.amdhsa_system_sgpr_workgroup_id_x 1
		.amdhsa_system_sgpr_workgroup_id_y 0
		.amdhsa_system_sgpr_workgroup_id_z 0
		.amdhsa_system_sgpr_workgroup_info 0
		.amdhsa_system_vgpr_workitem_id 0
		.amdhsa_next_free_vgpr 22
		.amdhsa_next_free_sgpr 16
		.amdhsa_reserve_vcc 1
		.amdhsa_float_round_mode_32 0
		.amdhsa_float_round_mode_16_64 0
		.amdhsa_float_denorm_mode_32 3
		.amdhsa_float_denorm_mode_16_64 3
		.amdhsa_dx10_clamp 1
		.amdhsa_ieee_mode 1
		.amdhsa_fp16_overflow 0
		.amdhsa_workgroup_processor_mode 1
		.amdhsa_memory_ordered 1
		.amdhsa_forward_progress 0
		.amdhsa_shared_vgpr_count 0
		.amdhsa_exception_fp_ieee_invalid_op 0
		.amdhsa_exception_fp_denorm_src 0
		.amdhsa_exception_fp_ieee_div_zero 0
		.amdhsa_exception_fp_ieee_overflow 0
		.amdhsa_exception_fp_ieee_underflow 0
		.amdhsa_exception_fp_ieee_inexact 0
		.amdhsa_exception_int_div_zero 0
	.end_amdhsa_kernel
	.section	.text._Z43exclusive_scan_prefix_callback_array_kernelILj65ELj5ELN6hipcub18BlockScanAlgorithmE0EfEvPT2_S3_S2_,"axG",@progbits,_Z43exclusive_scan_prefix_callback_array_kernelILj65ELj5ELN6hipcub18BlockScanAlgorithmE0EfEvPT2_S3_S2_,comdat
.Lfunc_end282:
	.size	_Z43exclusive_scan_prefix_callback_array_kernelILj65ELj5ELN6hipcub18BlockScanAlgorithmE0EfEvPT2_S3_S2_, .Lfunc_end282-_Z43exclusive_scan_prefix_callback_array_kernelILj65ELj5ELN6hipcub18BlockScanAlgorithmE0EfEvPT2_S3_S2_
                                        ; -- End function
	.section	.AMDGPU.csdata,"",@progbits
; Kernel info:
; codeLenInByte = 940
; NumSgprs: 18
; NumVgprs: 22
; ScratchSize: 0
; MemoryBound: 0
; FloatMode: 240
; IeeeMode: 1
; LDSByteSize: 12 bytes/workgroup (compile time only)
; SGPRBlocks: 2
; VGPRBlocks: 2
; NumSGPRsForWavesPerEU: 18
; NumVGPRsForWavesPerEU: 22
; Occupancy: 16
; WaveLimiterHint : 0
; COMPUTE_PGM_RSRC2:SCRATCH_EN: 0
; COMPUTE_PGM_RSRC2:USER_SGPR: 15
; COMPUTE_PGM_RSRC2:TRAP_HANDLER: 0
; COMPUTE_PGM_RSRC2:TGID_X_EN: 1
; COMPUTE_PGM_RSRC2:TGID_Y_EN: 0
; COMPUTE_PGM_RSRC2:TGID_Z_EN: 0
; COMPUTE_PGM_RSRC2:TIDIG_COMP_CNT: 0
	.section	.text._Z43exclusive_scan_prefix_callback_array_kernelILj37ELj2ELN6hipcub18BlockScanAlgorithmE0EfEvPT2_S3_S2_,"axG",@progbits,_Z43exclusive_scan_prefix_callback_array_kernelILj37ELj2ELN6hipcub18BlockScanAlgorithmE0EfEvPT2_S3_S2_,comdat
	.protected	_Z43exclusive_scan_prefix_callback_array_kernelILj37ELj2ELN6hipcub18BlockScanAlgorithmE0EfEvPT2_S3_S2_ ; -- Begin function _Z43exclusive_scan_prefix_callback_array_kernelILj37ELj2ELN6hipcub18BlockScanAlgorithmE0EfEvPT2_S3_S2_
	.globl	_Z43exclusive_scan_prefix_callback_array_kernelILj37ELj2ELN6hipcub18BlockScanAlgorithmE0EfEvPT2_S3_S2_
	.p2align	8
	.type	_Z43exclusive_scan_prefix_callback_array_kernelILj37ELj2ELN6hipcub18BlockScanAlgorithmE0EfEvPT2_S3_S2_,@function
_Z43exclusive_scan_prefix_callback_array_kernelILj37ELj2ELN6hipcub18BlockScanAlgorithmE0EfEvPT2_S3_S2_: ; @_Z43exclusive_scan_prefix_callback_array_kernelILj37ELj2ELN6hipcub18BlockScanAlgorithmE0EfEvPT2_S3_S2_
; %bb.0:
	s_load_b128 s[4:7], s[0:1], 0x0
	s_mul_i32 s2, s15, 37
	v_mov_b32_e32 v2, 0
	v_add_lshl_u32 v1, s2, v0, 1
	s_mov_b32 s8, s15
	s_mov_b32 s2, exec_lo
	s_delay_alu instid0(VALU_DEP_1) | instskip(SKIP_1) | instid1(VALU_DEP_1)
	v_lshlrev_b64 v[1:2], 2, v[1:2]
	s_waitcnt lgkmcnt(0)
	v_add_co_u32 v1, vcc_lo, s4, v1
	s_delay_alu instid0(VALU_DEP_2) | instskip(SKIP_4) | instid1(VALU_DEP_2)
	v_add_co_ci_u32_e32 v2, vcc_lo, s5, v2, vcc_lo
	global_load_b64 v[3:4], v[1:2], off
	s_waitcnt vmcnt(0)
	v_add_f32_e32 v5, v3, v4
	v_mbcnt_lo_u32_b32 v4, -1, 0
	v_mov_b32_dpp v6, v5 row_shr:1 row_mask:0xf bank_mask:0xf
	s_delay_alu instid0(VALU_DEP_2) | instskip(SKIP_1) | instid1(VALU_DEP_3)
	v_and_b32_e32 v7, 15, v4
	v_and_b32_e32 v8, 16, v4
	v_add_f32_e32 v6, v5, v6
	s_delay_alu instid0(VALU_DEP_3) | instskip(NEXT) | instid1(VALU_DEP_2)
	v_cmp_eq_u32_e32 vcc_lo, 0, v7
	v_cndmask_b32_e32 v5, v6, v5, vcc_lo
	v_cmp_lt_u32_e32 vcc_lo, 1, v7
	s_delay_alu instid0(VALU_DEP_2) | instskip(NEXT) | instid1(VALU_DEP_1)
	v_mov_b32_dpp v6, v5 row_shr:2 row_mask:0xf bank_mask:0xf
	v_add_f32_e32 v6, v5, v6
	s_delay_alu instid0(VALU_DEP_1) | instskip(SKIP_1) | instid1(VALU_DEP_2)
	v_cndmask_b32_e32 v5, v5, v6, vcc_lo
	v_cmp_lt_u32_e32 vcc_lo, 3, v7
	v_mov_b32_dpp v6, v5 row_shr:4 row_mask:0xf bank_mask:0xf
	s_delay_alu instid0(VALU_DEP_1) | instskip(NEXT) | instid1(VALU_DEP_1)
	v_add_f32_e32 v6, v5, v6
	v_cndmask_b32_e32 v5, v5, v6, vcc_lo
	v_cmp_lt_u32_e32 vcc_lo, 7, v7
	v_and_b32_e32 v7, 32, v0
	s_delay_alu instid0(VALU_DEP_1) | instskip(NEXT) | instid1(VALU_DEP_1)
	v_min_u32_e32 v7, 5, v7
	v_add_nc_u32_e32 v9, 31, v7
	v_mov_b32_dpp v6, v5 row_shr:8 row_mask:0xf bank_mask:0xf
	v_lshrrev_b32_e32 v7, 5, v0
	s_delay_alu instid0(VALU_DEP_2) | instskip(NEXT) | instid1(VALU_DEP_1)
	v_add_f32_e32 v6, v5, v6
	v_cndmask_b32_e32 v5, v5, v6, vcc_lo
	v_cmp_eq_u32_e32 vcc_lo, 0, v8
	ds_swizzle_b32 v6, v5 offset:swizzle(BROADCAST,32,15)
	s_waitcnt lgkmcnt(0)
	v_add_f32_e32 v6, v5, v6
	s_delay_alu instid0(VALU_DEP_1)
	v_cndmask_b32_e32 v5, v6, v5, vcc_lo
	v_cmpx_eq_u32_e64 v9, v0
	s_cbranch_execz .LBB283_2
; %bb.1:
	v_lshlrev_b32_e32 v6, 2, v7
	ds_store_b32 v6, v5
.LBB283_2:
	s_or_b32 exec_lo, exec_lo, s2
	s_delay_alu instid0(SALU_CYCLE_1)
	s_mov_b32 s2, exec_lo
	s_waitcnt lgkmcnt(0)
	s_barrier
	buffer_gl0_inv
	v_cmpx_gt_u32_e32 2, v0
	s_cbranch_execz .LBB283_4
; %bb.3:
	v_lshlrev_b32_e32 v6, 2, v0
	v_and_b32_e32 v10, 1, v4
	ds_load_b32 v8, v6
	v_cmp_eq_u32_e32 vcc_lo, 0, v10
	s_waitcnt lgkmcnt(0)
	v_mov_b32_dpp v9, v8 row_shr:1 row_mask:0xf bank_mask:0xf
	s_delay_alu instid0(VALU_DEP_1) | instskip(NEXT) | instid1(VALU_DEP_1)
	v_add_f32_e32 v9, v8, v9
	v_cndmask_b32_e32 v8, v9, v8, vcc_lo
	ds_store_b32 v6, v8
.LBB283_4:
	s_or_b32 exec_lo, exec_lo, s2
	v_cmp_gt_u32_e32 vcc_lo, 32, v0
	s_mov_b32 s3, exec_lo
	s_waitcnt lgkmcnt(0)
	s_barrier
	buffer_gl0_inv
                                        ; implicit-def: $vgpr6
	v_cmpx_lt_u32_e32 31, v0
	s_cbranch_execz .LBB283_6
; %bb.5:
	v_lshl_add_u32 v6, v7, 2, -4
	ds_load_b32 v6, v6
	s_waitcnt lgkmcnt(0)
	v_add_f32_e32 v5, v5, v6
.LBB283_6:
	s_or_b32 exec_lo, exec_lo, s3
	v_add_nc_u32_e32 v7, -1, v4
	s_load_b32 s0, s[0:1], 0x10
	s_delay_alu instid0(VALU_DEP_1) | instskip(NEXT) | instid1(VALU_DEP_1)
	v_cmp_gt_i32_e64 s2, 0, v7
	v_cndmask_b32_e64 v7, v7, v4, s2
	s_delay_alu instid0(VALU_DEP_1)
	v_lshlrev_b32_e32 v7, 2, v7
	ds_bpermute_b32 v7, v7, v5
	s_waitcnt lgkmcnt(0)
	v_mov_b32_e32 v5, s0
	s_and_saveexec_b32 s1, vcc_lo
	s_cbranch_execz .LBB283_10
; %bb.7:
	v_mov_b32_e32 v8, 0
	s_mov_b32 s2, exec_lo
	ds_load_b32 v5, v8 offset:4
	v_cmpx_eq_u32_e32 0, v0
	s_cbranch_execz .LBB283_9
; %bb.8:
	v_mov_b32_e32 v9, s0
	ds_store_b32 v8, v9 offset:4
.LBB283_9:
	s_or_b32 exec_lo, exec_lo, s2
	s_waitcnt lgkmcnt(0)
	v_add_f32_e32 v5, s0, v5
.LBB283_10:
	s_or_b32 exec_lo, exec_lo, s1
	v_mov_b32_e32 v8, 0
	s_barrier
	buffer_gl0_inv
	v_cmp_eq_u32_e32 vcc_lo, 0, v4
	ds_load_b32 v9, v8 offset:4
	v_cndmask_b32_e32 v4, v7, v6, vcc_lo
	v_cmp_eq_u32_e32 vcc_lo, 0, v0
	s_waitcnt lgkmcnt(0)
	s_delay_alu instid0(VALU_DEP_2) | instskip(NEXT) | instid1(VALU_DEP_1)
	v_add_f32_e32 v4, v4, v9
	v_cndmask_b32_e32 v6, v4, v9, vcc_lo
	s_delay_alu instid0(VALU_DEP_1)
	v_add_f32_e32 v7, v3, v6
	global_store_b64 v[1:2], v[6:7], off
	s_and_saveexec_b32 s0, vcc_lo
	s_cbranch_execz .LBB283_12
; %bb.11:
	s_mov_b32 s9, 0
	s_delay_alu instid0(SALU_CYCLE_1) | instskip(NEXT) | instid1(SALU_CYCLE_1)
	s_lshl_b64 s[0:1], s[8:9], 2
	s_add_u32 s0, s6, s0
	s_addc_u32 s1, s7, s1
	global_store_b32 v8, v5, s[0:1]
.LBB283_12:
	s_nop 0
	s_sendmsg sendmsg(MSG_DEALLOC_VGPRS)
	s_endpgm
	.section	.rodata,"a",@progbits
	.p2align	6, 0x0
	.amdhsa_kernel _Z43exclusive_scan_prefix_callback_array_kernelILj37ELj2ELN6hipcub18BlockScanAlgorithmE0EfEvPT2_S3_S2_
		.amdhsa_group_segment_fixed_size 8
		.amdhsa_private_segment_fixed_size 0
		.amdhsa_kernarg_size 20
		.amdhsa_user_sgpr_count 15
		.amdhsa_user_sgpr_dispatch_ptr 0
		.amdhsa_user_sgpr_queue_ptr 0
		.amdhsa_user_sgpr_kernarg_segment_ptr 1
		.amdhsa_user_sgpr_dispatch_id 0
		.amdhsa_user_sgpr_private_segment_size 0
		.amdhsa_wavefront_size32 1
		.amdhsa_uses_dynamic_stack 0
		.amdhsa_enable_private_segment 0
		.amdhsa_system_sgpr_workgroup_id_x 1
		.amdhsa_system_sgpr_workgroup_id_y 0
		.amdhsa_system_sgpr_workgroup_id_z 0
		.amdhsa_system_sgpr_workgroup_info 0
		.amdhsa_system_vgpr_workitem_id 0
		.amdhsa_next_free_vgpr 11
		.amdhsa_next_free_sgpr 16
		.amdhsa_reserve_vcc 1
		.amdhsa_float_round_mode_32 0
		.amdhsa_float_round_mode_16_64 0
		.amdhsa_float_denorm_mode_32 3
		.amdhsa_float_denorm_mode_16_64 3
		.amdhsa_dx10_clamp 1
		.amdhsa_ieee_mode 1
		.amdhsa_fp16_overflow 0
		.amdhsa_workgroup_processor_mode 1
		.amdhsa_memory_ordered 1
		.amdhsa_forward_progress 0
		.amdhsa_shared_vgpr_count 0
		.amdhsa_exception_fp_ieee_invalid_op 0
		.amdhsa_exception_fp_denorm_src 0
		.amdhsa_exception_fp_ieee_div_zero 0
		.amdhsa_exception_fp_ieee_overflow 0
		.amdhsa_exception_fp_ieee_underflow 0
		.amdhsa_exception_fp_ieee_inexact 0
		.amdhsa_exception_int_div_zero 0
	.end_amdhsa_kernel
	.section	.text._Z43exclusive_scan_prefix_callback_array_kernelILj37ELj2ELN6hipcub18BlockScanAlgorithmE0EfEvPT2_S3_S2_,"axG",@progbits,_Z43exclusive_scan_prefix_callback_array_kernelILj37ELj2ELN6hipcub18BlockScanAlgorithmE0EfEvPT2_S3_S2_,comdat
.Lfunc_end283:
	.size	_Z43exclusive_scan_prefix_callback_array_kernelILj37ELj2ELN6hipcub18BlockScanAlgorithmE0EfEvPT2_S3_S2_, .Lfunc_end283-_Z43exclusive_scan_prefix_callback_array_kernelILj37ELj2ELN6hipcub18BlockScanAlgorithmE0EfEvPT2_S3_S2_
                                        ; -- End function
	.section	.AMDGPU.csdata,"",@progbits
; Kernel info:
; codeLenInByte = 656
; NumSgprs: 18
; NumVgprs: 11
; ScratchSize: 0
; MemoryBound: 0
; FloatMode: 240
; IeeeMode: 1
; LDSByteSize: 8 bytes/workgroup (compile time only)
; SGPRBlocks: 2
; VGPRBlocks: 1
; NumSGPRsForWavesPerEU: 18
; NumVGPRsForWavesPerEU: 11
; Occupancy: 16
; WaveLimiterHint : 0
; COMPUTE_PGM_RSRC2:SCRATCH_EN: 0
; COMPUTE_PGM_RSRC2:USER_SGPR: 15
; COMPUTE_PGM_RSRC2:TRAP_HANDLER: 0
; COMPUTE_PGM_RSRC2:TGID_X_EN: 1
; COMPUTE_PGM_RSRC2:TGID_Y_EN: 0
; COMPUTE_PGM_RSRC2:TGID_Z_EN: 0
; COMPUTE_PGM_RSRC2:TIDIG_COMP_CNT: 0
	.section	.text._Z43exclusive_scan_prefix_callback_array_kernelILj512ELj4ELN6hipcub18BlockScanAlgorithmE0EiEvPT2_S3_S2_,"axG",@progbits,_Z43exclusive_scan_prefix_callback_array_kernelILj512ELj4ELN6hipcub18BlockScanAlgorithmE0EiEvPT2_S3_S2_,comdat
	.protected	_Z43exclusive_scan_prefix_callback_array_kernelILj512ELj4ELN6hipcub18BlockScanAlgorithmE0EiEvPT2_S3_S2_ ; -- Begin function _Z43exclusive_scan_prefix_callback_array_kernelILj512ELj4ELN6hipcub18BlockScanAlgorithmE0EiEvPT2_S3_S2_
	.globl	_Z43exclusive_scan_prefix_callback_array_kernelILj512ELj4ELN6hipcub18BlockScanAlgorithmE0EiEvPT2_S3_S2_
	.p2align	8
	.type	_Z43exclusive_scan_prefix_callback_array_kernelILj512ELj4ELN6hipcub18BlockScanAlgorithmE0EiEvPT2_S3_S2_,@function
_Z43exclusive_scan_prefix_callback_array_kernelILj512ELj4ELN6hipcub18BlockScanAlgorithmE0EiEvPT2_S3_S2_: ; @_Z43exclusive_scan_prefix_callback_array_kernelILj512ELj4ELN6hipcub18BlockScanAlgorithmE0EiEvPT2_S3_S2_
; %bb.0:
	s_load_b128 s[4:7], s[0:1], 0x0
	v_lshlrev_b32_e32 v8, 2, v0
	s_mov_b32 s8, s15
	v_mbcnt_lo_u32_b32 v7, -1, 0
	v_mov_b32_e32 v2, 0
	v_or_b32_e32 v11, 31, v0
	v_lshl_or_b32 v1, s8, 11, v8
	s_mov_b32 s9, exec_lo
	s_delay_alu instid0(VALU_DEP_1) | instskip(SKIP_1) | instid1(VALU_DEP_1)
	v_lshlrev_b64 v[1:2], 2, v[1:2]
	s_waitcnt lgkmcnt(0)
	v_add_co_u32 v5, vcc_lo, s4, v1
	s_delay_alu instid0(VALU_DEP_2) | instskip(SKIP_3) | instid1(VALU_DEP_1)
	v_add_co_ci_u32_e32 v6, vcc_lo, s5, v2, vcc_lo
	global_load_b128 v[1:4], v[5:6], off
	s_waitcnt vmcnt(0)
	v_add_nc_u32_e32 v9, v2, v1
	v_add3_u32 v4, v9, v3, v4
	v_and_b32_e32 v9, 15, v7
	s_delay_alu instid0(VALU_DEP_2) | instskip(NEXT) | instid1(VALU_DEP_2)
	v_mov_b32_dpp v10, v4 row_shr:1 row_mask:0xf bank_mask:0xf
	v_cmp_eq_u32_e32 vcc_lo, 0, v9
	v_cmp_lt_u32_e64 s2, 1, v9
	v_cmp_lt_u32_e64 s3, 3, v9
	;; [unrolled: 1-line block ×3, first 2 shown]
	v_cndmask_b32_e64 v10, v10, 0, vcc_lo
	s_delay_alu instid0(VALU_DEP_1) | instskip(NEXT) | instid1(VALU_DEP_1)
	v_add_nc_u32_e32 v4, v10, v4
	v_mov_b32_dpp v10, v4 row_shr:2 row_mask:0xf bank_mask:0xf
	s_delay_alu instid0(VALU_DEP_1) | instskip(NEXT) | instid1(VALU_DEP_1)
	v_cndmask_b32_e64 v10, 0, v10, s2
	v_add_nc_u32_e32 v4, v4, v10
	s_delay_alu instid0(VALU_DEP_1) | instskip(NEXT) | instid1(VALU_DEP_1)
	v_mov_b32_dpp v10, v4 row_shr:4 row_mask:0xf bank_mask:0xf
	v_cndmask_b32_e64 v10, 0, v10, s3
	s_delay_alu instid0(VALU_DEP_1) | instskip(NEXT) | instid1(VALU_DEP_1)
	v_add_nc_u32_e32 v4, v4, v10
	v_mov_b32_dpp v10, v4 row_shr:8 row_mask:0xf bank_mask:0xf
	s_delay_alu instid0(VALU_DEP_1) | instskip(SKIP_1) | instid1(VALU_DEP_2)
	v_cndmask_b32_e64 v9, 0, v10, s4
	v_bfe_i32 v10, v7, 4, 1
	v_add_nc_u32_e32 v4, v4, v9
	ds_swizzle_b32 v9, v4 offset:swizzle(BROADCAST,32,15)
	s_waitcnt lgkmcnt(0)
	v_and_b32_e32 v10, v10, v9
	v_lshrrev_b32_e32 v9, 5, v0
	s_delay_alu instid0(VALU_DEP_2)
	v_add_nc_u32_e32 v4, v4, v10
	v_cmpx_eq_u32_e64 v11, v0
	s_cbranch_execz .LBB284_2
; %bb.1:
	s_delay_alu instid0(VALU_DEP_3)
	v_lshlrev_b32_e32 v10, 2, v9
	ds_store_b32 v10, v4
.LBB284_2:
	s_or_b32 exec_lo, exec_lo, s9
	s_delay_alu instid0(SALU_CYCLE_1)
	s_mov_b32 s9, exec_lo
	s_waitcnt lgkmcnt(0)
	s_barrier
	buffer_gl0_inv
	v_cmpx_gt_u32_e32 16, v0
	s_cbranch_execz .LBB284_4
; %bb.3:
	ds_load_b32 v10, v8
	s_waitcnt lgkmcnt(0)
	v_mov_b32_dpp v11, v10 row_shr:1 row_mask:0xf bank_mask:0xf
	s_delay_alu instid0(VALU_DEP_1) | instskip(NEXT) | instid1(VALU_DEP_1)
	v_cndmask_b32_e64 v11, v11, 0, vcc_lo
	v_add_nc_u32_e32 v10, v11, v10
	s_delay_alu instid0(VALU_DEP_1) | instskip(NEXT) | instid1(VALU_DEP_1)
	v_mov_b32_dpp v11, v10 row_shr:2 row_mask:0xf bank_mask:0xf
	v_cndmask_b32_e64 v11, 0, v11, s2
	s_delay_alu instid0(VALU_DEP_1) | instskip(NEXT) | instid1(VALU_DEP_1)
	v_add_nc_u32_e32 v10, v10, v11
	v_mov_b32_dpp v11, v10 row_shr:4 row_mask:0xf bank_mask:0xf
	s_delay_alu instid0(VALU_DEP_1) | instskip(NEXT) | instid1(VALU_DEP_1)
	v_cndmask_b32_e64 v11, 0, v11, s3
	v_add_nc_u32_e32 v10, v10, v11
	s_delay_alu instid0(VALU_DEP_1) | instskip(NEXT) | instid1(VALU_DEP_1)
	v_mov_b32_dpp v11, v10 row_shr:8 row_mask:0xf bank_mask:0xf
	v_cndmask_b32_e64 v11, 0, v11, s4
	s_delay_alu instid0(VALU_DEP_1)
	v_add_nc_u32_e32 v10, v10, v11
	ds_store_b32 v8, v10
.LBB284_4:
	s_or_b32 exec_lo, exec_lo, s9
	v_cmp_gt_u32_e32 vcc_lo, 32, v0
	s_mov_b32 s3, exec_lo
	s_waitcnt lgkmcnt(0)
	s_barrier
	buffer_gl0_inv
                                        ; implicit-def: $vgpr8
	v_cmpx_lt_u32_e32 31, v0
	s_cbranch_execz .LBB284_6
; %bb.5:
	v_lshl_add_u32 v8, v9, 2, -4
	ds_load_b32 v8, v8
	s_waitcnt lgkmcnt(0)
	v_add_nc_u32_e32 v4, v8, v4
.LBB284_6:
	s_or_b32 exec_lo, exec_lo, s3
	s_load_b32 s0, s[0:1], 0x10
	v_add_nc_u32_e32 v9, -1, v7
	s_delay_alu instid0(VALU_DEP_1) | instskip(NEXT) | instid1(VALU_DEP_1)
	v_cmp_gt_i32_e64 s2, 0, v9
	v_cndmask_b32_e64 v9, v9, v7, s2
	s_delay_alu instid0(VALU_DEP_1)
	v_lshlrev_b32_e32 v9, 2, v9
	ds_bpermute_b32 v9, v9, v4
	s_waitcnt lgkmcnt(0)
	v_mov_b32_e32 v4, s0
	s_and_saveexec_b32 s1, vcc_lo
	s_cbranch_execz .LBB284_10
; %bb.7:
	v_mov_b32_e32 v10, 0
	s_mov_b32 s2, exec_lo
	ds_load_b32 v4, v10 offset:60
	v_cmpx_eq_u32_e32 0, v0
	s_cbranch_execz .LBB284_9
; %bb.8:
	v_mov_b32_e32 v11, s0
	ds_store_b32 v10, v11 offset:60
.LBB284_9:
	s_or_b32 exec_lo, exec_lo, s2
	s_waitcnt lgkmcnt(0)
	v_add_nc_u32_e32 v4, s0, v4
.LBB284_10:
	s_or_b32 exec_lo, exec_lo, s1
	v_cmp_eq_u32_e32 vcc_lo, 0, v7
	v_mov_b32_e32 v10, 0
	s_barrier
	buffer_gl0_inv
	v_cndmask_b32_e32 v7, v9, v8, vcc_lo
	ds_load_b32 v11, v10 offset:60
	v_cmp_eq_u32_e32 vcc_lo, 0, v0
	v_cndmask_b32_e64 v0, v7, 0, vcc_lo
	s_waitcnt lgkmcnt(0)
	s_delay_alu instid0(VALU_DEP_1) | instskip(NEXT) | instid1(VALU_DEP_1)
	v_add_nc_u32_e32 v0, v11, v0
	v_add_nc_u32_e32 v1, v0, v1
	s_delay_alu instid0(VALU_DEP_1) | instskip(NEXT) | instid1(VALU_DEP_1)
	v_add_nc_u32_e32 v2, v1, v2
	v_add_nc_u32_e32 v3, v2, v3
	global_store_b128 v[5:6], v[0:3], off
	s_and_saveexec_b32 s0, vcc_lo
	s_cbranch_execz .LBB284_12
; %bb.11:
	s_mov_b32 s9, 0
	s_delay_alu instid0(SALU_CYCLE_1) | instskip(NEXT) | instid1(SALU_CYCLE_1)
	s_lshl_b64 s[0:1], s[8:9], 2
	s_add_u32 s0, s6, s0
	s_addc_u32 s1, s7, s1
	global_store_b32 v10, v4, s[0:1]
.LBB284_12:
	s_nop 0
	s_sendmsg sendmsg(MSG_DEALLOC_VGPRS)
	s_endpgm
	.section	.rodata,"a",@progbits
	.p2align	6, 0x0
	.amdhsa_kernel _Z43exclusive_scan_prefix_callback_array_kernelILj512ELj4ELN6hipcub18BlockScanAlgorithmE0EiEvPT2_S3_S2_
		.amdhsa_group_segment_fixed_size 64
		.amdhsa_private_segment_fixed_size 0
		.amdhsa_kernarg_size 20
		.amdhsa_user_sgpr_count 15
		.amdhsa_user_sgpr_dispatch_ptr 0
		.amdhsa_user_sgpr_queue_ptr 0
		.amdhsa_user_sgpr_kernarg_segment_ptr 1
		.amdhsa_user_sgpr_dispatch_id 0
		.amdhsa_user_sgpr_private_segment_size 0
		.amdhsa_wavefront_size32 1
		.amdhsa_uses_dynamic_stack 0
		.amdhsa_enable_private_segment 0
		.amdhsa_system_sgpr_workgroup_id_x 1
		.amdhsa_system_sgpr_workgroup_id_y 0
		.amdhsa_system_sgpr_workgroup_id_z 0
		.amdhsa_system_sgpr_workgroup_info 0
		.amdhsa_system_vgpr_workitem_id 0
		.amdhsa_next_free_vgpr 12
		.amdhsa_next_free_sgpr 16
		.amdhsa_reserve_vcc 1
		.amdhsa_float_round_mode_32 0
		.amdhsa_float_round_mode_16_64 0
		.amdhsa_float_denorm_mode_32 3
		.amdhsa_float_denorm_mode_16_64 3
		.amdhsa_dx10_clamp 1
		.amdhsa_ieee_mode 1
		.amdhsa_fp16_overflow 0
		.amdhsa_workgroup_processor_mode 1
		.amdhsa_memory_ordered 1
		.amdhsa_forward_progress 0
		.amdhsa_shared_vgpr_count 0
		.amdhsa_exception_fp_ieee_invalid_op 0
		.amdhsa_exception_fp_denorm_src 0
		.amdhsa_exception_fp_ieee_div_zero 0
		.amdhsa_exception_fp_ieee_overflow 0
		.amdhsa_exception_fp_ieee_underflow 0
		.amdhsa_exception_fp_ieee_inexact 0
		.amdhsa_exception_int_div_zero 0
	.end_amdhsa_kernel
	.section	.text._Z43exclusive_scan_prefix_callback_array_kernelILj512ELj4ELN6hipcub18BlockScanAlgorithmE0EiEvPT2_S3_S2_,"axG",@progbits,_Z43exclusive_scan_prefix_callback_array_kernelILj512ELj4ELN6hipcub18BlockScanAlgorithmE0EiEvPT2_S3_S2_,comdat
.Lfunc_end284:
	.size	_Z43exclusive_scan_prefix_callback_array_kernelILj512ELj4ELN6hipcub18BlockScanAlgorithmE0EiEvPT2_S3_S2_, .Lfunc_end284-_Z43exclusive_scan_prefix_callback_array_kernelILj512ELj4ELN6hipcub18BlockScanAlgorithmE0EiEvPT2_S3_S2_
                                        ; -- End function
	.section	.AMDGPU.csdata,"",@progbits
; Kernel info:
; codeLenInByte = 768
; NumSgprs: 18
; NumVgprs: 12
; ScratchSize: 0
; MemoryBound: 0
; FloatMode: 240
; IeeeMode: 1
; LDSByteSize: 64 bytes/workgroup (compile time only)
; SGPRBlocks: 2
; VGPRBlocks: 1
; NumSGPRsForWavesPerEU: 18
; NumVGPRsForWavesPerEU: 12
; Occupancy: 16
; WaveLimiterHint : 0
; COMPUTE_PGM_RSRC2:SCRATCH_EN: 0
; COMPUTE_PGM_RSRC2:USER_SGPR: 15
; COMPUTE_PGM_RSRC2:TRAP_HANDLER: 0
; COMPUTE_PGM_RSRC2:TGID_X_EN: 1
; COMPUTE_PGM_RSRC2:TGID_Y_EN: 0
; COMPUTE_PGM_RSRC2:TGID_Z_EN: 0
; COMPUTE_PGM_RSRC2:TIDIG_COMP_CNT: 0
	.section	.text._Z43exclusive_scan_prefix_callback_array_kernelILj256ELj3ELN6hipcub18BlockScanAlgorithmE0EjEvPT2_S3_S2_,"axG",@progbits,_Z43exclusive_scan_prefix_callback_array_kernelILj256ELj3ELN6hipcub18BlockScanAlgorithmE0EjEvPT2_S3_S2_,comdat
	.protected	_Z43exclusive_scan_prefix_callback_array_kernelILj256ELj3ELN6hipcub18BlockScanAlgorithmE0EjEvPT2_S3_S2_ ; -- Begin function _Z43exclusive_scan_prefix_callback_array_kernelILj256ELj3ELN6hipcub18BlockScanAlgorithmE0EjEvPT2_S3_S2_
	.globl	_Z43exclusive_scan_prefix_callback_array_kernelILj256ELj3ELN6hipcub18BlockScanAlgorithmE0EjEvPT2_S3_S2_
	.p2align	8
	.type	_Z43exclusive_scan_prefix_callback_array_kernelILj256ELj3ELN6hipcub18BlockScanAlgorithmE0EjEvPT2_S3_S2_,@function
_Z43exclusive_scan_prefix_callback_array_kernelILj256ELj3ELN6hipcub18BlockScanAlgorithmE0EjEvPT2_S3_S2_: ; @_Z43exclusive_scan_prefix_callback_array_kernelILj256ELj3ELN6hipcub18BlockScanAlgorithmE0EjEvPT2_S3_S2_
; %bb.0:
	s_mov_b32 s8, s15
	s_load_b128 s[4:7], s[0:1], 0x0
	v_lshl_or_b32 v1, s8, 8, v0
	v_mbcnt_lo_u32_b32 v9, -1, 0
	v_or_b32_e32 v13, 31, v0
	s_mov_b32 s2, exec_lo
	s_delay_alu instid0(VALU_DEP_3) | instskip(NEXT) | instid1(VALU_DEP_1)
	v_lshl_add_u32 v1, v1, 1, v1
	v_dual_mov_b32 v2, 0 :: v_dual_add_nc_u32 v3, 1, v1
	s_delay_alu instid0(VALU_DEP_1) | instskip(SKIP_2) | instid1(VALU_DEP_3)
	v_mov_b32_e32 v4, v2
	v_lshlrev_b64 v[5:6], 2, v[1:2]
	v_add_nc_u32_e32 v1, 2, v1
	v_lshlrev_b64 v[3:4], 2, v[3:4]
	s_delay_alu instid0(VALU_DEP_2) | instskip(SKIP_1) | instid1(VALU_DEP_4)
	v_lshlrev_b64 v[7:8], 2, v[1:2]
	s_waitcnt lgkmcnt(0)
	v_add_co_u32 v1, vcc_lo, s4, v5
	v_add_co_ci_u32_e32 v2, vcc_lo, s5, v6, vcc_lo
	s_delay_alu instid0(VALU_DEP_4)
	v_add_co_u32 v3, vcc_lo, s4, v3
	v_add_co_ci_u32_e32 v4, vcc_lo, s5, v4, vcc_lo
	v_add_co_u32 v5, vcc_lo, s4, v7
	v_add_co_ci_u32_e32 v6, vcc_lo, s5, v8, vcc_lo
	s_clause 0x2
	global_load_b32 v7, v[1:2], off
	global_load_b32 v8, v[3:4], off
	;; [unrolled: 1-line block ×3, first 2 shown]
	s_waitcnt vmcnt(0)
	v_add3_u32 v10, v8, v7, v10
	s_delay_alu instid0(VALU_DEP_1) | instskip(SKIP_1) | instid1(VALU_DEP_1)
	v_mov_b32_dpp v12, v10 row_shr:1 row_mask:0xf bank_mask:0xf
	v_and_b32_e32 v11, 15, v9
	v_cmp_ne_u32_e32 vcc_lo, 0, v11
	s_delay_alu instid0(VALU_DEP_3) | instskip(SKIP_1) | instid1(VALU_DEP_2)
	v_cndmask_b32_e32 v12, 0, v12, vcc_lo
	v_cmp_lt_u32_e32 vcc_lo, 1, v11
	v_add_nc_u32_e32 v10, v12, v10
	s_delay_alu instid0(VALU_DEP_1) | instskip(NEXT) | instid1(VALU_DEP_1)
	v_mov_b32_dpp v12, v10 row_shr:2 row_mask:0xf bank_mask:0xf
	v_cndmask_b32_e32 v12, 0, v12, vcc_lo
	v_cmp_lt_u32_e32 vcc_lo, 3, v11
	s_delay_alu instid0(VALU_DEP_2) | instskip(NEXT) | instid1(VALU_DEP_1)
	v_add_nc_u32_e32 v10, v10, v12
	v_mov_b32_dpp v12, v10 row_shr:4 row_mask:0xf bank_mask:0xf
	s_delay_alu instid0(VALU_DEP_1) | instskip(SKIP_1) | instid1(VALU_DEP_2)
	v_cndmask_b32_e32 v12, 0, v12, vcc_lo
	v_cmp_lt_u32_e32 vcc_lo, 7, v11
	v_add_nc_u32_e32 v10, v10, v12
	s_delay_alu instid0(VALU_DEP_1) | instskip(NEXT) | instid1(VALU_DEP_1)
	v_mov_b32_dpp v12, v10 row_shr:8 row_mask:0xf bank_mask:0xf
	v_cndmask_b32_e32 v11, 0, v12, vcc_lo
	v_bfe_i32 v12, v9, 4, 1
	s_delay_alu instid0(VALU_DEP_2) | instskip(SKIP_4) | instid1(VALU_DEP_2)
	v_add_nc_u32_e32 v10, v10, v11
	ds_swizzle_b32 v11, v10 offset:swizzle(BROADCAST,32,15)
	s_waitcnt lgkmcnt(0)
	v_and_b32_e32 v12, v12, v11
	v_lshrrev_b32_e32 v11, 5, v0
	v_add_nc_u32_e32 v10, v10, v12
	v_cmpx_eq_u32_e64 v13, v0
	s_cbranch_execz .LBB285_2
; %bb.1:
	s_delay_alu instid0(VALU_DEP_3)
	v_lshlrev_b32_e32 v12, 2, v11
	ds_store_b32 v12, v10
.LBB285_2:
	s_or_b32 exec_lo, exec_lo, s2
	s_delay_alu instid0(SALU_CYCLE_1)
	s_mov_b32 s2, exec_lo
	s_waitcnt lgkmcnt(0)
	s_barrier
	buffer_gl0_inv
	v_cmpx_gt_u32_e32 8, v0
	s_cbranch_execz .LBB285_4
; %bb.3:
	v_and_b32_e32 v14, 7, v9
	s_delay_alu instid0(VALU_DEP_1) | instskip(SKIP_4) | instid1(VALU_DEP_1)
	v_cmp_ne_u32_e32 vcc_lo, 0, v14
	v_lshlrev_b32_e32 v12, 2, v0
	ds_load_b32 v13, v12
	s_waitcnt lgkmcnt(0)
	v_mov_b32_dpp v15, v13 row_shr:1 row_mask:0xf bank_mask:0xf
	v_cndmask_b32_e32 v15, 0, v15, vcc_lo
	v_cmp_lt_u32_e32 vcc_lo, 1, v14
	s_delay_alu instid0(VALU_DEP_2) | instskip(NEXT) | instid1(VALU_DEP_1)
	v_add_nc_u32_e32 v13, v15, v13
	v_mov_b32_dpp v15, v13 row_shr:2 row_mask:0xf bank_mask:0xf
	s_delay_alu instid0(VALU_DEP_1) | instskip(SKIP_1) | instid1(VALU_DEP_2)
	v_cndmask_b32_e32 v15, 0, v15, vcc_lo
	v_cmp_lt_u32_e32 vcc_lo, 3, v14
	v_add_nc_u32_e32 v13, v13, v15
	s_delay_alu instid0(VALU_DEP_1) | instskip(NEXT) | instid1(VALU_DEP_1)
	v_mov_b32_dpp v15, v13 row_shr:4 row_mask:0xf bank_mask:0xf
	v_cndmask_b32_e32 v14, 0, v15, vcc_lo
	s_delay_alu instid0(VALU_DEP_1)
	v_add_nc_u32_e32 v13, v13, v14
	ds_store_b32 v12, v13
.LBB285_4:
	s_or_b32 exec_lo, exec_lo, s2
	v_cmp_gt_u32_e32 vcc_lo, 32, v0
	s_mov_b32 s3, exec_lo
	s_waitcnt lgkmcnt(0)
	s_barrier
	buffer_gl0_inv
                                        ; implicit-def: $vgpr12
	v_cmpx_lt_u32_e32 31, v0
	s_cbranch_execz .LBB285_6
; %bb.5:
	v_lshl_add_u32 v11, v11, 2, -4
	ds_load_b32 v12, v11
	s_waitcnt lgkmcnt(0)
	v_add_nc_u32_e32 v10, v12, v10
.LBB285_6:
	s_or_b32 exec_lo, exec_lo, s3
	s_load_b32 s0, s[0:1], 0x10
	v_add_nc_u32_e32 v11, -1, v9
	s_delay_alu instid0(VALU_DEP_1) | instskip(NEXT) | instid1(VALU_DEP_1)
	v_cmp_gt_i32_e64 s2, 0, v11
	v_cndmask_b32_e64 v11, v11, v9, s2
	s_delay_alu instid0(VALU_DEP_1)
	v_lshlrev_b32_e32 v11, 2, v11
	ds_bpermute_b32 v11, v11, v10
	s_waitcnt lgkmcnt(0)
	v_mov_b32_e32 v10, s0
	s_and_saveexec_b32 s1, vcc_lo
	s_cbranch_execz .LBB285_10
; %bb.7:
	v_mov_b32_e32 v13, 0
	s_mov_b32 s2, exec_lo
	ds_load_b32 v10, v13 offset:28
	v_cmpx_eq_u32_e32 0, v0
	s_cbranch_execz .LBB285_9
; %bb.8:
	v_mov_b32_e32 v14, s0
	ds_store_b32 v13, v14 offset:28
.LBB285_9:
	s_or_b32 exec_lo, exec_lo, s2
	s_waitcnt lgkmcnt(0)
	v_add_nc_u32_e32 v10, s0, v10
.LBB285_10:
	s_or_b32 exec_lo, exec_lo, s1
	v_cmp_eq_u32_e32 vcc_lo, 0, v9
	s_barrier
	buffer_gl0_inv
	v_cndmask_b32_e32 v9, v11, v12, vcc_lo
	v_cmp_eq_u32_e32 vcc_lo, 0, v0
	s_delay_alu instid0(VALU_DEP_2) | instskip(SKIP_4) | instid1(VALU_DEP_1)
	v_cndmask_b32_e64 v0, v9, 0, vcc_lo
	v_mov_b32_e32 v13, 0
	ds_load_b32 v14, v13 offset:28
	s_waitcnt lgkmcnt(0)
	v_add_nc_u32_e32 v0, v14, v0
	v_add_nc_u32_e32 v7, v0, v7
	s_delay_alu instid0(VALU_DEP_1)
	v_add_nc_u32_e32 v8, v7, v8
	s_clause 0x2
	global_store_b32 v[1:2], v0, off
	global_store_b32 v[3:4], v7, off
	;; [unrolled: 1-line block ×3, first 2 shown]
	s_and_saveexec_b32 s0, vcc_lo
	s_cbranch_execz .LBB285_12
; %bb.11:
	s_mov_b32 s9, 0
	s_delay_alu instid0(SALU_CYCLE_1) | instskip(NEXT) | instid1(SALU_CYCLE_1)
	s_lshl_b64 s[0:1], s[8:9], 2
	s_add_u32 s0, s6, s0
	s_addc_u32 s1, s7, s1
	global_store_b32 v13, v10, s[0:1]
.LBB285_12:
	s_nop 0
	s_sendmsg sendmsg(MSG_DEALLOC_VGPRS)
	s_endpgm
	.section	.rodata,"a",@progbits
	.p2align	6, 0x0
	.amdhsa_kernel _Z43exclusive_scan_prefix_callback_array_kernelILj256ELj3ELN6hipcub18BlockScanAlgorithmE0EjEvPT2_S3_S2_
		.amdhsa_group_segment_fixed_size 32
		.amdhsa_private_segment_fixed_size 0
		.amdhsa_kernarg_size 20
		.amdhsa_user_sgpr_count 15
		.amdhsa_user_sgpr_dispatch_ptr 0
		.amdhsa_user_sgpr_queue_ptr 0
		.amdhsa_user_sgpr_kernarg_segment_ptr 1
		.amdhsa_user_sgpr_dispatch_id 0
		.amdhsa_user_sgpr_private_segment_size 0
		.amdhsa_wavefront_size32 1
		.amdhsa_uses_dynamic_stack 0
		.amdhsa_enable_private_segment 0
		.amdhsa_system_sgpr_workgroup_id_x 1
		.amdhsa_system_sgpr_workgroup_id_y 0
		.amdhsa_system_sgpr_workgroup_id_z 0
		.amdhsa_system_sgpr_workgroup_info 0
		.amdhsa_system_vgpr_workitem_id 0
		.amdhsa_next_free_vgpr 16
		.amdhsa_next_free_sgpr 16
		.amdhsa_reserve_vcc 1
		.amdhsa_float_round_mode_32 0
		.amdhsa_float_round_mode_16_64 0
		.amdhsa_float_denorm_mode_32 3
		.amdhsa_float_denorm_mode_16_64 3
		.amdhsa_dx10_clamp 1
		.amdhsa_ieee_mode 1
		.amdhsa_fp16_overflow 0
		.amdhsa_workgroup_processor_mode 1
		.amdhsa_memory_ordered 1
		.amdhsa_forward_progress 0
		.amdhsa_shared_vgpr_count 0
		.amdhsa_exception_fp_ieee_invalid_op 0
		.amdhsa_exception_fp_denorm_src 0
		.amdhsa_exception_fp_ieee_div_zero 0
		.amdhsa_exception_fp_ieee_overflow 0
		.amdhsa_exception_fp_ieee_underflow 0
		.amdhsa_exception_fp_ieee_inexact 0
		.amdhsa_exception_int_div_zero 0
	.end_amdhsa_kernel
	.section	.text._Z43exclusive_scan_prefix_callback_array_kernelILj256ELj3ELN6hipcub18BlockScanAlgorithmE0EjEvPT2_S3_S2_,"axG",@progbits,_Z43exclusive_scan_prefix_callback_array_kernelILj256ELj3ELN6hipcub18BlockScanAlgorithmE0EjEvPT2_S3_S2_,comdat
.Lfunc_end285:
	.size	_Z43exclusive_scan_prefix_callback_array_kernelILj256ELj3ELN6hipcub18BlockScanAlgorithmE0EjEvPT2_S3_S2_, .Lfunc_end285-_Z43exclusive_scan_prefix_callback_array_kernelILj256ELj3ELN6hipcub18BlockScanAlgorithmE0EjEvPT2_S3_S2_
                                        ; -- End function
	.section	.AMDGPU.csdata,"",@progbits
; Kernel info:
; codeLenInByte = 820
; NumSgprs: 18
; NumVgprs: 16
; ScratchSize: 0
; MemoryBound: 0
; FloatMode: 240
; IeeeMode: 1
; LDSByteSize: 32 bytes/workgroup (compile time only)
; SGPRBlocks: 2
; VGPRBlocks: 1
; NumSGPRsForWavesPerEU: 18
; NumVGPRsForWavesPerEU: 16
; Occupancy: 16
; WaveLimiterHint : 0
; COMPUTE_PGM_RSRC2:SCRATCH_EN: 0
; COMPUTE_PGM_RSRC2:USER_SGPR: 15
; COMPUTE_PGM_RSRC2:TRAP_HANDLER: 0
; COMPUTE_PGM_RSRC2:TGID_X_EN: 1
; COMPUTE_PGM_RSRC2:TGID_Y_EN: 0
; COMPUTE_PGM_RSRC2:TGID_Z_EN: 0
; COMPUTE_PGM_RSRC2:TIDIG_COMP_CNT: 0
	.section	.text._Z43exclusive_scan_prefix_callback_array_kernelILj32ELj2ELN6hipcub18BlockScanAlgorithmE0EfEvPT2_S3_S2_,"axG",@progbits,_Z43exclusive_scan_prefix_callback_array_kernelILj32ELj2ELN6hipcub18BlockScanAlgorithmE0EfEvPT2_S3_S2_,comdat
	.protected	_Z43exclusive_scan_prefix_callback_array_kernelILj32ELj2ELN6hipcub18BlockScanAlgorithmE0EfEvPT2_S3_S2_ ; -- Begin function _Z43exclusive_scan_prefix_callback_array_kernelILj32ELj2ELN6hipcub18BlockScanAlgorithmE0EfEvPT2_S3_S2_
	.globl	_Z43exclusive_scan_prefix_callback_array_kernelILj32ELj2ELN6hipcub18BlockScanAlgorithmE0EfEvPT2_S3_S2_
	.p2align	8
	.type	_Z43exclusive_scan_prefix_callback_array_kernelILj32ELj2ELN6hipcub18BlockScanAlgorithmE0EfEvPT2_S3_S2_,@function
_Z43exclusive_scan_prefix_callback_array_kernelILj32ELj2ELN6hipcub18BlockScanAlgorithmE0EfEvPT2_S3_S2_: ; @_Z43exclusive_scan_prefix_callback_array_kernelILj32ELj2ELN6hipcub18BlockScanAlgorithmE0EfEvPT2_S3_S2_
; %bb.0:
	s_load_b128 s[4:7], s[0:1], 0x0
	v_lshlrev_b32_e32 v1, 1, v0
	s_mov_b32 s2, s15
	v_mov_b32_e32 v5, 0
	s_mov_b32 s3, exec_lo
	s_delay_alu instid0(VALU_DEP_2) | instskip(NEXT) | instid1(VALU_DEP_1)
	v_lshl_or_b32 v4, s2, 6, v1
	v_lshlrev_b64 v[1:2], 2, v[4:5]
	s_waitcnt lgkmcnt(0)
	s_delay_alu instid0(VALU_DEP_1) | instskip(NEXT) | instid1(VALU_DEP_2)
	v_add_co_u32 v1, vcc_lo, s4, v1
	v_add_co_ci_u32_e32 v2, vcc_lo, s5, v2, vcc_lo
	global_load_b64 v[3:4], v[1:2], off
	s_waitcnt vmcnt(0)
	v_add_f32_e32 v6, v3, v4
	v_mbcnt_lo_u32_b32 v4, -1, 0
	s_delay_alu instid0(VALU_DEP_2) | instskip(NEXT) | instid1(VALU_DEP_1)
	v_mov_b32_dpp v7, v6 row_shr:1 row_mask:0xf bank_mask:0xf
	v_dual_add_f32 v7, v6, v7 :: v_dual_and_b32 v8, 15, v4
	s_delay_alu instid0(VALU_DEP_1) | instskip(NEXT) | instid1(VALU_DEP_2)
	v_cmp_eq_u32_e32 vcc_lo, 0, v8
	v_cndmask_b32_e32 v6, v7, v6, vcc_lo
	v_cmp_lt_u32_e32 vcc_lo, 1, v8
	s_delay_alu instid0(VALU_DEP_2) | instskip(NEXT) | instid1(VALU_DEP_1)
	v_mov_b32_dpp v7, v6 row_shr:2 row_mask:0xf bank_mask:0xf
	v_add_f32_e32 v7, v6, v7
	s_delay_alu instid0(VALU_DEP_1) | instskip(SKIP_1) | instid1(VALU_DEP_2)
	v_cndmask_b32_e32 v6, v6, v7, vcc_lo
	v_cmp_lt_u32_e32 vcc_lo, 3, v8
	v_mov_b32_dpp v7, v6 row_shr:4 row_mask:0xf bank_mask:0xf
	s_delay_alu instid0(VALU_DEP_1) | instskip(NEXT) | instid1(VALU_DEP_1)
	v_add_f32_e32 v7, v6, v7
	v_cndmask_b32_e32 v6, v6, v7, vcc_lo
	v_cmp_lt_u32_e32 vcc_lo, 7, v8
	v_and_b32_e32 v8, 16, v4
	s_delay_alu instid0(VALU_DEP_3) | instskip(NEXT) | instid1(VALU_DEP_1)
	v_mov_b32_dpp v7, v6 row_shr:8 row_mask:0xf bank_mask:0xf
	v_add_f32_e32 v7, v6, v7
	s_delay_alu instid0(VALU_DEP_1) | instskip(NEXT) | instid1(VALU_DEP_4)
	v_cndmask_b32_e32 v6, v6, v7, vcc_lo
	v_cmp_eq_u32_e32 vcc_lo, 0, v8
	ds_swizzle_b32 v7, v6 offset:swizzle(BROADCAST,32,15)
	s_waitcnt lgkmcnt(0)
	v_add_f32_e32 v7, v6, v7
	s_delay_alu instid0(VALU_DEP_1)
	v_cndmask_b32_e32 v6, v7, v6, vcc_lo
	v_cmpx_eq_u32_e32 31, v0
	s_cbranch_execz .LBB286_2
; %bb.1:
	ds_store_b32 v5, v6
.LBB286_2:
	s_or_b32 exec_lo, exec_lo, s3
	s_load_b32 s0, s[0:1], 0x10
	v_add_nc_u32_e32 v5, -1, v4
	s_mov_b32 s1, exec_lo
	s_waitcnt vmcnt(0) lgkmcnt(0)
	s_waitcnt_vscnt null, 0x0
	; wave barrier
	s_waitcnt lgkmcnt(0)
	buffer_gl0_inv
	v_cmp_gt_i32_e32 vcc_lo, 0, v5
	v_cndmask_b32_e32 v4, v5, v4, vcc_lo
	s_delay_alu instid0(VALU_DEP_1)
	v_lshlrev_b32_e32 v4, 2, v4
	ds_bpermute_b32 v5, v4, v6
	v_mov_b32_e32 v4, s0
	v_cmpx_gt_u32_e32 32, v0
	s_cbranch_execz .LBB286_6
; %bb.3:
	v_mov_b32_e32 v6, 0
	s_mov_b32 s3, exec_lo
	ds_load_b32 v4, v6
	v_cmpx_eq_u32_e32 0, v0
	s_cbranch_execz .LBB286_5
; %bb.4:
	v_mov_b32_e32 v7, s0
	ds_store_b32 v6, v7
.LBB286_5:
	s_or_b32 exec_lo, exec_lo, s3
	s_waitcnt lgkmcnt(0)
	v_add_f32_e32 v4, s0, v4
.LBB286_6:
	s_or_b32 exec_lo, exec_lo, s1
	v_mov_b32_e32 v6, 0
	s_waitcnt vmcnt(0) lgkmcnt(0)
	s_waitcnt_vscnt null, 0x0
	; wave barrier
	s_waitcnt lgkmcnt(0)
	buffer_gl0_inv
	v_cmp_eq_u32_e32 vcc_lo, 0, v0
	s_mov_b32 s3, 0
	ds_load_b32 v7, v6
	s_waitcnt lgkmcnt(0)
	v_add_f32_e32 v5, v7, v5
	s_delay_alu instid0(VALU_DEP_1) | instskip(NEXT) | instid1(VALU_DEP_1)
	v_cndmask_b32_e32 v7, v5, v7, vcc_lo
	v_add_f32_e32 v8, v3, v7
	global_store_b64 v[1:2], v[7:8], off
	s_and_saveexec_b32 s0, vcc_lo
	s_cbranch_execz .LBB286_8
; %bb.7:
	s_lshl_b64 s[0:1], s[2:3], 2
	s_delay_alu instid0(SALU_CYCLE_1)
	s_add_u32 s0, s6, s0
	s_addc_u32 s1, s7, s1
	global_store_b32 v6, v4, s[0:1]
.LBB286_8:
	s_nop 0
	s_sendmsg sendmsg(MSG_DEALLOC_VGPRS)
	s_endpgm
	.section	.rodata,"a",@progbits
	.p2align	6, 0x0
	.amdhsa_kernel _Z43exclusive_scan_prefix_callback_array_kernelILj32ELj2ELN6hipcub18BlockScanAlgorithmE0EfEvPT2_S3_S2_
		.amdhsa_group_segment_fixed_size 4
		.amdhsa_private_segment_fixed_size 0
		.amdhsa_kernarg_size 20
		.amdhsa_user_sgpr_count 15
		.amdhsa_user_sgpr_dispatch_ptr 0
		.amdhsa_user_sgpr_queue_ptr 0
		.amdhsa_user_sgpr_kernarg_segment_ptr 1
		.amdhsa_user_sgpr_dispatch_id 0
		.amdhsa_user_sgpr_private_segment_size 0
		.amdhsa_wavefront_size32 1
		.amdhsa_uses_dynamic_stack 0
		.amdhsa_enable_private_segment 0
		.amdhsa_system_sgpr_workgroup_id_x 1
		.amdhsa_system_sgpr_workgroup_id_y 0
		.amdhsa_system_sgpr_workgroup_id_z 0
		.amdhsa_system_sgpr_workgroup_info 0
		.amdhsa_system_vgpr_workitem_id 0
		.amdhsa_next_free_vgpr 9
		.amdhsa_next_free_sgpr 16
		.amdhsa_reserve_vcc 1
		.amdhsa_float_round_mode_32 0
		.amdhsa_float_round_mode_16_64 0
		.amdhsa_float_denorm_mode_32 3
		.amdhsa_float_denorm_mode_16_64 3
		.amdhsa_dx10_clamp 1
		.amdhsa_ieee_mode 1
		.amdhsa_fp16_overflow 0
		.amdhsa_workgroup_processor_mode 1
		.amdhsa_memory_ordered 1
		.amdhsa_forward_progress 0
		.amdhsa_shared_vgpr_count 0
		.amdhsa_exception_fp_ieee_invalid_op 0
		.amdhsa_exception_fp_denorm_src 0
		.amdhsa_exception_fp_ieee_div_zero 0
		.amdhsa_exception_fp_ieee_overflow 0
		.amdhsa_exception_fp_ieee_underflow 0
		.amdhsa_exception_fp_ieee_inexact 0
		.amdhsa_exception_int_div_zero 0
	.end_amdhsa_kernel
	.section	.text._Z43exclusive_scan_prefix_callback_array_kernelILj32ELj2ELN6hipcub18BlockScanAlgorithmE0EfEvPT2_S3_S2_,"axG",@progbits,_Z43exclusive_scan_prefix_callback_array_kernelILj32ELj2ELN6hipcub18BlockScanAlgorithmE0EfEvPT2_S3_S2_,comdat
.Lfunc_end286:
	.size	_Z43exclusive_scan_prefix_callback_array_kernelILj32ELj2ELN6hipcub18BlockScanAlgorithmE0EfEvPT2_S3_S2_, .Lfunc_end286-_Z43exclusive_scan_prefix_callback_array_kernelILj32ELj2ELN6hipcub18BlockScanAlgorithmE0EfEvPT2_S3_S2_
                                        ; -- End function
	.section	.AMDGPU.csdata,"",@progbits
; Kernel info:
; codeLenInByte = 488
; NumSgprs: 18
; NumVgprs: 9
; ScratchSize: 0
; MemoryBound: 0
; FloatMode: 240
; IeeeMode: 1
; LDSByteSize: 4 bytes/workgroup (compile time only)
; SGPRBlocks: 2
; VGPRBlocks: 1
; NumSGPRsForWavesPerEU: 18
; NumVGPRsForWavesPerEU: 9
; Occupancy: 16
; WaveLimiterHint : 0
; COMPUTE_PGM_RSRC2:SCRATCH_EN: 0
; COMPUTE_PGM_RSRC2:USER_SGPR: 15
; COMPUTE_PGM_RSRC2:TRAP_HANDLER: 0
; COMPUTE_PGM_RSRC2:TGID_X_EN: 1
; COMPUTE_PGM_RSRC2:TGID_Y_EN: 0
; COMPUTE_PGM_RSRC2:TGID_Z_EN: 0
; COMPUTE_PGM_RSRC2:TIDIG_COMP_CNT: 0
	.section	.text._Z43exclusive_scan_prefix_callback_array_kernelILj6ELj32ELN6hipcub18BlockScanAlgorithmE0EfEvPT2_S3_S2_,"axG",@progbits,_Z43exclusive_scan_prefix_callback_array_kernelILj6ELj32ELN6hipcub18BlockScanAlgorithmE0EfEvPT2_S3_S2_,comdat
	.protected	_Z43exclusive_scan_prefix_callback_array_kernelILj6ELj32ELN6hipcub18BlockScanAlgorithmE0EfEvPT2_S3_S2_ ; -- Begin function _Z43exclusive_scan_prefix_callback_array_kernelILj6ELj32ELN6hipcub18BlockScanAlgorithmE0EfEvPT2_S3_S2_
	.globl	_Z43exclusive_scan_prefix_callback_array_kernelILj6ELj32ELN6hipcub18BlockScanAlgorithmE0EfEvPT2_S3_S2_
	.p2align	8
	.type	_Z43exclusive_scan_prefix_callback_array_kernelILj6ELj32ELN6hipcub18BlockScanAlgorithmE0EfEvPT2_S3_S2_,@function
_Z43exclusive_scan_prefix_callback_array_kernelILj6ELj32ELN6hipcub18BlockScanAlgorithmE0EfEvPT2_S3_S2_: ; @_Z43exclusive_scan_prefix_callback_array_kernelILj6ELj32ELN6hipcub18BlockScanAlgorithmE0EfEvPT2_S3_S2_
; %bb.0:
	s_load_b128 s[4:7], s[0:1], 0x0
	s_mul_i32 s3, s15, 6
	v_mov_b32_e32 v35, 0
	v_add_lshl_u32 v34, s3, v0, 5
	s_mov_b32 s2, s15
	s_mov_b32 s3, exec_lo
	s_delay_alu instid0(VALU_DEP_1) | instskip(SKIP_1) | instid1(VALU_DEP_1)
	v_lshlrev_b64 v[1:2], 2, v[34:35]
	s_waitcnt lgkmcnt(0)
	v_add_co_u32 v33, vcc_lo, s4, v1
	s_delay_alu instid0(VALU_DEP_2)
	v_add_co_ci_u32_e32 v34, vcc_lo, s5, v2, vcc_lo
	s_clause 0x7
	global_load_b128 v[29:32], v[33:34], off
	global_load_b128 v[25:28], v[33:34], off offset:16
	global_load_b128 v[21:24], v[33:34], off offset:32
	;; [unrolled: 1-line block ×7, first 2 shown]
	s_waitcnt vmcnt(7)
	v_add_f32_e32 v36, v29, v30
	s_delay_alu instid0(VALU_DEP_1) | instskip(NEXT) | instid1(VALU_DEP_1)
	v_add_f32_e32 v36, v36, v31
	v_add_f32_e32 v36, v36, v32
	s_waitcnt vmcnt(6)
	s_delay_alu instid0(VALU_DEP_1) | instskip(NEXT) | instid1(VALU_DEP_1)
	v_add_f32_e32 v36, v36, v25
	v_add_f32_e32 v36, v36, v26
	s_delay_alu instid0(VALU_DEP_1) | instskip(NEXT) | instid1(VALU_DEP_1)
	v_add_f32_e32 v36, v36, v27
	v_add_f32_e32 v36, v36, v28
	s_waitcnt vmcnt(5)
	s_delay_alu instid0(VALU_DEP_1) | instskip(NEXT) | instid1(VALU_DEP_1)
	v_add_f32_e32 v36, v36, v21
	;; [unrolled: 7-line block ×7, first 2 shown]
	v_add_f32_e32 v36, v36, v2
	s_delay_alu instid0(VALU_DEP_1) | instskip(NEXT) | instid1(VALU_DEP_1)
	v_add_f32_e32 v36, v36, v3
	v_add_f32_e32 v36, v36, v4
	v_mbcnt_lo_u32_b32 v4, -1, 0
	s_delay_alu instid0(VALU_DEP_2) | instskip(NEXT) | instid1(VALU_DEP_1)
	v_mov_b32_dpp v37, v36 row_shr:1 row_mask:0xf bank_mask:0xf
	v_dual_add_f32 v37, v36, v37 :: v_dual_and_b32 v38, 7, v4
	s_delay_alu instid0(VALU_DEP_1) | instskip(NEXT) | instid1(VALU_DEP_2)
	v_cmp_eq_u32_e32 vcc_lo, 0, v38
	v_cndmask_b32_e32 v36, v37, v36, vcc_lo
	v_cmp_lt_u32_e32 vcc_lo, 1, v38
	s_delay_alu instid0(VALU_DEP_2) | instskip(NEXT) | instid1(VALU_DEP_1)
	v_mov_b32_dpp v37, v36 row_shr:2 row_mask:0xf bank_mask:0xf
	v_add_f32_e32 v37, v36, v37
	s_delay_alu instid0(VALU_DEP_1) | instskip(SKIP_1) | instid1(VALU_DEP_2)
	v_cndmask_b32_e32 v36, v36, v37, vcc_lo
	v_cmp_lt_u32_e32 vcc_lo, 3, v38
	v_mov_b32_dpp v37, v36 row_shr:4 row_mask:0xf bank_mask:0xf
	s_delay_alu instid0(VALU_DEP_1) | instskip(NEXT) | instid1(VALU_DEP_1)
	v_add_f32_e32 v37, v36, v37
	v_cndmask_b32_e32 v36, v36, v37, vcc_lo
	v_cmpx_eq_u32_e32 5, v0
	s_cbranch_execz .LBB287_2
; %bb.1:
	ds_store_b32 v35, v36
.LBB287_2:
	s_or_b32 exec_lo, exec_lo, s3
	v_and_b32_e32 v37, 24, v4
	s_load_b32 s0, s[0:1], 0x10
	v_add_nc_u32_e32 v35, -1, v4
	s_mov_b32 s1, exec_lo
	s_waitcnt vmcnt(0) lgkmcnt(0)
	s_waitcnt_vscnt null, 0x0
	; wave barrier
	s_waitcnt lgkmcnt(0)
	buffer_gl0_inv
	v_cmp_lt_i32_e32 vcc_lo, v35, v37
	v_cndmask_b32_e32 v4, v35, v4, vcc_lo
	s_delay_alu instid0(VALU_DEP_1)
	v_lshlrev_b32_e32 v4, 2, v4
	ds_bpermute_b32 v36, v4, v36
	v_mov_b32_e32 v4, s0
	v_cmpx_gt_u32_e32 32, v0
	s_cbranch_execz .LBB287_6
; %bb.3:
	v_mov_b32_e32 v35, 0
	s_mov_b32 s3, exec_lo
	ds_load_b32 v4, v35
	v_cmpx_eq_u32_e32 0, v0
	s_cbranch_execz .LBB287_5
; %bb.4:
	v_mov_b32_e32 v37, s0
	ds_store_b32 v35, v37
.LBB287_5:
	s_or_b32 exec_lo, exec_lo, s3
	s_waitcnt lgkmcnt(0)
	v_add_f32_e32 v4, s0, v4
.LBB287_6:
	s_or_b32 exec_lo, exec_lo, s1
	v_mov_b32_e32 v35, 0
	s_waitcnt vmcnt(0) lgkmcnt(0)
	s_waitcnt_vscnt null, 0x0
	; wave barrier
	s_waitcnt lgkmcnt(0)
	buffer_gl0_inv
	v_cmp_eq_u32_e32 vcc_lo, 0, v0
	s_mov_b32 s3, 0
	ds_load_b32 v37, v35
	s_waitcnt lgkmcnt(0)
	v_add_f32_e32 v36, v37, v36
	s_delay_alu instid0(VALU_DEP_1) | instskip(NEXT) | instid1(VALU_DEP_1)
	v_cndmask_b32_e32 v36, v36, v37, vcc_lo
	v_add_f32_e32 v37, v29, v36
	s_delay_alu instid0(VALU_DEP_1) | instskip(NEXT) | instid1(VALU_DEP_1)
	v_add_f32_e32 v38, v30, v37
	v_add_f32_e32 v39, v38, v31
	s_delay_alu instid0(VALU_DEP_1) | instskip(NEXT) | instid1(VALU_DEP_1)
	v_add_f32_e32 v29, v39, v32
	;; [unrolled: 3-line block ×4, first 2 shown]
	v_add_f32_e32 v26, v25, v21
	s_clause 0x1
	global_store_b128 v[33:34], v[36:39], off
	global_store_b128 v[33:34], v[29:32], off offset:16
	v_add_f32_e32 v27, v26, v22
	s_delay_alu instid0(VALU_DEP_1) | instskip(NEXT) | instid1(VALU_DEP_1)
	v_add_f32_e32 v28, v27, v23
	v_add_f32_e32 v21, v28, v24
	s_delay_alu instid0(VALU_DEP_1) | instskip(NEXT) | instid1(VALU_DEP_1)
	v_add_f32_e32 v22, v21, v13
	;; [unrolled: 3-line block ×10, first 2 shown]
	v_add_f32_e32 v2, v1, v2
	s_delay_alu instid0(VALU_DEP_1)
	v_add_f32_e32 v3, v2, v3
	s_clause 0x5
	global_store_b128 v[33:34], v[25:28], off offset:32
	global_store_b128 v[33:34], v[21:24], off offset:48
	;; [unrolled: 1-line block ×6, first 2 shown]
	s_and_saveexec_b32 s0, vcc_lo
	s_cbranch_execz .LBB287_8
; %bb.7:
	s_lshl_b64 s[0:1], s[2:3], 2
	s_delay_alu instid0(SALU_CYCLE_1)
	s_add_u32 s0, s6, s0
	s_addc_u32 s1, s7, s1
	global_store_b32 v35, v4, s[0:1]
.LBB287_8:
	s_nop 0
	s_sendmsg sendmsg(MSG_DEALLOC_VGPRS)
	s_endpgm
	.section	.rodata,"a",@progbits
	.p2align	6, 0x0
	.amdhsa_kernel _Z43exclusive_scan_prefix_callback_array_kernelILj6ELj32ELN6hipcub18BlockScanAlgorithmE0EfEvPT2_S3_S2_
		.amdhsa_group_segment_fixed_size 4
		.amdhsa_private_segment_fixed_size 0
		.amdhsa_kernarg_size 20
		.amdhsa_user_sgpr_count 15
		.amdhsa_user_sgpr_dispatch_ptr 0
		.amdhsa_user_sgpr_queue_ptr 0
		.amdhsa_user_sgpr_kernarg_segment_ptr 1
		.amdhsa_user_sgpr_dispatch_id 0
		.amdhsa_user_sgpr_private_segment_size 0
		.amdhsa_wavefront_size32 1
		.amdhsa_uses_dynamic_stack 0
		.amdhsa_enable_private_segment 0
		.amdhsa_system_sgpr_workgroup_id_x 1
		.amdhsa_system_sgpr_workgroup_id_y 0
		.amdhsa_system_sgpr_workgroup_id_z 0
		.amdhsa_system_sgpr_workgroup_info 0
		.amdhsa_system_vgpr_workitem_id 0
		.amdhsa_next_free_vgpr 40
		.amdhsa_next_free_sgpr 16
		.amdhsa_reserve_vcc 1
		.amdhsa_float_round_mode_32 0
		.amdhsa_float_round_mode_16_64 0
		.amdhsa_float_denorm_mode_32 3
		.amdhsa_float_denorm_mode_16_64 3
		.amdhsa_dx10_clamp 1
		.amdhsa_ieee_mode 1
		.amdhsa_fp16_overflow 0
		.amdhsa_workgroup_processor_mode 1
		.amdhsa_memory_ordered 1
		.amdhsa_forward_progress 0
		.amdhsa_shared_vgpr_count 0
		.amdhsa_exception_fp_ieee_invalid_op 0
		.amdhsa_exception_fp_denorm_src 0
		.amdhsa_exception_fp_ieee_div_zero 0
		.amdhsa_exception_fp_ieee_overflow 0
		.amdhsa_exception_fp_ieee_underflow 0
		.amdhsa_exception_fp_ieee_inexact 0
		.amdhsa_exception_int_div_zero 0
	.end_amdhsa_kernel
	.section	.text._Z43exclusive_scan_prefix_callback_array_kernelILj6ELj32ELN6hipcub18BlockScanAlgorithmE0EfEvPT2_S3_S2_,"axG",@progbits,_Z43exclusive_scan_prefix_callback_array_kernelILj6ELj32ELN6hipcub18BlockScanAlgorithmE0EfEvPT2_S3_S2_,comdat
.Lfunc_end287:
	.size	_Z43exclusive_scan_prefix_callback_array_kernelILj6ELj32ELN6hipcub18BlockScanAlgorithmE0EfEvPT2_S3_S2_, .Lfunc_end287-_Z43exclusive_scan_prefix_callback_array_kernelILj6ELj32ELN6hipcub18BlockScanAlgorithmE0EfEvPT2_S3_S2_
                                        ; -- End function
	.section	.AMDGPU.csdata,"",@progbits
; Kernel info:
; codeLenInByte = 944
; NumSgprs: 18
; NumVgprs: 40
; ScratchSize: 0
; MemoryBound: 0
; FloatMode: 240
; IeeeMode: 1
; LDSByteSize: 4 bytes/workgroup (compile time only)
; SGPRBlocks: 2
; VGPRBlocks: 4
; NumSGPRsForWavesPerEU: 18
; NumVGPRsForWavesPerEU: 40
; Occupancy: 16
; WaveLimiterHint : 0
; COMPUTE_PGM_RSRC2:SCRATCH_EN: 0
; COMPUTE_PGM_RSRC2:USER_SGPR: 15
; COMPUTE_PGM_RSRC2:TRAP_HANDLER: 0
; COMPUTE_PGM_RSRC2:TGID_X_EN: 1
; COMPUTE_PGM_RSRC2:TGID_Y_EN: 0
; COMPUTE_PGM_RSRC2:TGID_Z_EN: 0
; COMPUTE_PGM_RSRC2:TIDIG_COMP_CNT: 0
	.text
	.p2alignl 7, 3214868480
	.fill 96, 4, 3214868480
	.type	__hip_cuid_9ce90583abcdc71e,@object ; @__hip_cuid_9ce90583abcdc71e
	.section	.bss,"aw",@nobits
	.globl	__hip_cuid_9ce90583abcdc71e
__hip_cuid_9ce90583abcdc71e:
	.byte	0                               ; 0x0
	.size	__hip_cuid_9ce90583abcdc71e, 1

	.ident	"AMD clang version 19.0.0git (https://github.com/RadeonOpenCompute/llvm-project roc-6.4.0 25133 c7fe45cf4b819c5991fe208aaa96edf142730f1d)"
	.section	".note.GNU-stack","",@progbits
	.addrsig
	.addrsig_sym __hip_cuid_9ce90583abcdc71e
	.amdgpu_metadata
---
amdhsa.kernels:
  - .args:
      - .address_space:  global
        .offset:         0
        .size:           8
        .value_kind:     global_buffer
    .group_segment_fixed_size: 384
    .kernarg_segment_align: 8
    .kernarg_segment_size: 8
    .language:       OpenCL C
    .language_version:
      - 2
      - 0
    .max_flat_workgroup_size: 377
    .name:           _Z21inclusive_scan_kernelILj377ELN6hipcub18BlockScanAlgorithmE1EhEvPT1_
    .private_segment_fixed_size: 0
    .sgpr_count:     18
    .sgpr_spill_count: 0
    .symbol:         _Z21inclusive_scan_kernelILj377ELN6hipcub18BlockScanAlgorithmE1EhEvPT1_.kd
    .uniform_work_group_size: 1
    .uses_dynamic_stack: false
    .vgpr_count:     22
    .vgpr_spill_count: 0
    .wavefront_size: 32
    .workgroup_processor_mode: 1
  - .args:
      - .address_space:  global
        .offset:         0
        .size:           8
        .value_kind:     global_buffer
    .group_segment_fixed_size: 1536
    .kernarg_segment_align: 8
    .kernarg_segment_size: 8
    .language:       OpenCL C
    .language_version:
      - 2
      - 0
    .max_flat_workgroup_size: 377
    .name:           _Z21inclusive_scan_kernelILj377ELN6hipcub18BlockScanAlgorithmE1EiEvPT1_
    .private_segment_fixed_size: 0
    .sgpr_count:     18
    .sgpr_spill_count: 0
    .symbol:         _Z21inclusive_scan_kernelILj377ELN6hipcub18BlockScanAlgorithmE1EiEvPT1_.kd
    .uniform_work_group_size: 1
    .uses_dynamic_stack: false
    .vgpr_count:     23
    .vgpr_spill_count: 0
    .wavefront_size: 32
    .workgroup_processor_mode: 1
  - .args:
      - .address_space:  global
        .offset:         0
        .size:           8
        .value_kind:     global_buffer
    .group_segment_fixed_size: 1056
    .kernarg_segment_align: 8
    .kernarg_segment_size: 8
    .language:       OpenCL C
    .language_version:
      - 2
      - 0
    .max_flat_workgroup_size: 255
    .name:           _Z21inclusive_scan_kernelILj255ELN6hipcub18BlockScanAlgorithmE1EjEvPT1_
    .private_segment_fixed_size: 0
    .sgpr_count:     18
    .sgpr_spill_count: 0
    .symbol:         _Z21inclusive_scan_kernelILj255ELN6hipcub18BlockScanAlgorithmE1EjEvPT1_.kd
    .uniform_work_group_size: 1
    .uses_dynamic_stack: false
    .vgpr_count:     19
    .vgpr_spill_count: 0
    .wavefront_size: 32
    .workgroup_processor_mode: 1
  - .args:
      - .address_space:  global
        .offset:         0
        .size:           8
        .value_kind:     global_buffer
    .group_segment_fixed_size: 384
    .kernarg_segment_align: 8
    .kernarg_segment_size: 8
    .language:       OpenCL C
    .language_version:
      - 2
      - 0
    .max_flat_workgroup_size: 162
    .name:           _Z21inclusive_scan_kernelILj162ELN6hipcub18BlockScanAlgorithmE1EsEvPT1_
    .private_segment_fixed_size: 0
    .sgpr_count:     18
    .sgpr_spill_count: 0
    .symbol:         _Z21inclusive_scan_kernelILj162ELN6hipcub18BlockScanAlgorithmE1EsEvPT1_.kd
    .uniform_work_group_size: 1
    .uses_dynamic_stack: false
    .vgpr_count:     16
    .vgpr_spill_count: 0
    .wavefront_size: 32
    .workgroup_processor_mode: 1
  - .args:
      - .address_space:  global
        .offset:         0
        .size:           8
        .value_kind:     global_buffer
    .group_segment_fixed_size: 528
    .kernarg_segment_align: 8
    .kernarg_segment_size: 8
    .language:       OpenCL C
    .language_version:
      - 2
      - 0
    .max_flat_workgroup_size: 37
    .name:           _Z21inclusive_scan_kernelILj37ELN6hipcub18BlockScanAlgorithmE1ElEvPT1_
    .private_segment_fixed_size: 0
    .sgpr_count:     18
    .sgpr_spill_count: 0
    .symbol:         _Z21inclusive_scan_kernelILj37ELN6hipcub18BlockScanAlgorithmE1ElEvPT1_.kd
    .uniform_work_group_size: 1
    .uses_dynamic_stack: false
    .vgpr_count:     20
    .vgpr_spill_count: 0
    .wavefront_size: 32
    .workgroup_processor_mode: 1
  - .args:
      - .address_space:  global
        .offset:         0
        .size:           8
        .value_kind:     global_buffer
    .group_segment_fixed_size: 768
    .kernarg_segment_align: 8
    .kernarg_segment_size: 8
    .language:       OpenCL C
    .language_version:
      - 2
      - 0
    .max_flat_workgroup_size: 65
    .name:           _Z21inclusive_scan_kernelILj65ELN6hipcub18BlockScanAlgorithmE1EmEvPT1_
    .private_segment_fixed_size: 0
    .sgpr_count:     18
    .sgpr_spill_count: 0
    .symbol:         _Z21inclusive_scan_kernelILj65ELN6hipcub18BlockScanAlgorithmE1EmEvPT1_.kd
    .uniform_work_group_size: 1
    .uses_dynamic_stack: false
    .vgpr_count:     22
    .vgpr_spill_count: 0
    .wavefront_size: 32
    .workgroup_processor_mode: 1
  - .args:
      - .address_space:  global
        .offset:         0
        .size:           8
        .value_kind:     global_buffer
    .group_segment_fixed_size: 2112
    .kernarg_segment_align: 8
    .kernarg_segment_size: 8
    .language:       OpenCL C
    .language_version:
      - 2
      - 0
    .max_flat_workgroup_size: 512
    .name:           _Z21inclusive_scan_kernelILj512ELN6hipcub18BlockScanAlgorithmE1EiEvPT1_
    .private_segment_fixed_size: 0
    .sgpr_count:     18
    .sgpr_spill_count: 0
    .symbol:         _Z21inclusive_scan_kernelILj512ELN6hipcub18BlockScanAlgorithmE1EiEvPT1_.kd
    .uniform_work_group_size: 1
    .uses_dynamic_stack: false
    .vgpr_count:     27
    .vgpr_spill_count: 0
    .wavefront_size: 32
    .workgroup_processor_mode: 1
  - .args:
      - .address_space:  global
        .offset:         0
        .size:           8
        .value_kind:     global_buffer
    .group_segment_fixed_size: 1056
    .kernarg_segment_align: 8
    .kernarg_segment_size: 8
    .language:       OpenCL C
    .language_version:
      - 2
      - 0
    .max_flat_workgroup_size: 256
    .name:           _Z21inclusive_scan_kernelILj256ELN6hipcub18BlockScanAlgorithmE1EiEvPT1_
    .private_segment_fixed_size: 0
    .sgpr_count:     18
    .sgpr_spill_count: 0
    .symbol:         _Z21inclusive_scan_kernelILj256ELN6hipcub18BlockScanAlgorithmE1EiEvPT1_.kd
    .uniform_work_group_size: 1
    .uses_dynamic_stack: false
    .vgpr_count:     19
    .vgpr_spill_count: 0
    .wavefront_size: 32
    .workgroup_processor_mode: 1
  - .args:
      - .address_space:  global
        .offset:         0
        .size:           8
        .value_kind:     global_buffer
    .group_segment_fixed_size: 528
    .kernarg_segment_align: 8
    .kernarg_segment_size: 8
    .language:       OpenCL C
    .language_version:
      - 2
      - 0
    .max_flat_workgroup_size: 128
    .name:           _Z21inclusive_scan_kernelILj128ELN6hipcub18BlockScanAlgorithmE1EiEvPT1_
    .private_segment_fixed_size: 0
    .sgpr_count:     18
    .sgpr_spill_count: 0
    .symbol:         _Z21inclusive_scan_kernelILj128ELN6hipcub18BlockScanAlgorithmE1EiEvPT1_.kd
    .uniform_work_group_size: 1
    .uses_dynamic_stack: false
    .vgpr_count:     15
    .vgpr_spill_count: 0
    .wavefront_size: 32
    .workgroup_processor_mode: 1
  - .args:
      - .address_space:  global
        .offset:         0
        .size:           8
        .value_kind:     global_buffer
    .group_segment_fixed_size: 264
    .kernarg_segment_align: 8
    .kernarg_segment_size: 8
    .language:       OpenCL C
    .language_version:
      - 2
      - 0
    .max_flat_workgroup_size: 64
    .name:           _Z21inclusive_scan_kernelILj64ELN6hipcub18BlockScanAlgorithmE1EiEvPT1_
    .private_segment_fixed_size: 0
    .sgpr_count:     18
    .sgpr_spill_count: 0
    .symbol:         _Z21inclusive_scan_kernelILj64ELN6hipcub18BlockScanAlgorithmE1EiEvPT1_.kd
    .uniform_work_group_size: 1
    .uses_dynamic_stack: false
    .vgpr_count:     13
    .vgpr_spill_count: 0
    .wavefront_size: 32
    .workgroup_processor_mode: 1
  - .args:
      - .address_space:  global
        .offset:         0
        .size:           8
        .value_kind:     global_buffer
    .group_segment_fixed_size: 96
    .kernarg_segment_align: 8
    .kernarg_segment_size: 8
    .language:       OpenCL C
    .language_version:
      - 2
      - 0
    .max_flat_workgroup_size: 377
    .name:           _Z21inclusive_scan_kernelILj377ELN6hipcub18BlockScanAlgorithmE0ElEvPT1_
    .private_segment_fixed_size: 0
    .sgpr_count:     18
    .sgpr_spill_count: 0
    .symbol:         _Z21inclusive_scan_kernelILj377ELN6hipcub18BlockScanAlgorithmE0ElEvPT1_.kd
    .uniform_work_group_size: 1
    .uses_dynamic_stack: false
    .vgpr_count:     12
    .vgpr_spill_count: 0
    .wavefront_size: 32
    .workgroup_processor_mode: 1
  - .args:
      - .address_space:  global
        .offset:         0
        .size:           8
        .value_kind:     global_buffer
    .group_segment_fixed_size: 64
    .kernarg_segment_align: 8
    .kernarg_segment_size: 8
    .language:       OpenCL C
    .language_version:
      - 2
      - 0
    .max_flat_workgroup_size: 256
    .name:           _Z21inclusive_scan_kernelILj256ELN6hipcub18BlockScanAlgorithmE0ElEvPT1_
    .private_segment_fixed_size: 0
    .sgpr_count:     18
    .sgpr_spill_count: 0
    .symbol:         _Z21inclusive_scan_kernelILj256ELN6hipcub18BlockScanAlgorithmE0ElEvPT1_.kd
    .uniform_work_group_size: 1
    .uses_dynamic_stack: false
    .vgpr_count:     13
    .vgpr_spill_count: 0
    .wavefront_size: 32
    .workgroup_processor_mode: 1
  - .args:
      - .address_space:  global
        .offset:         0
        .size:           8
        .value_kind:     global_buffer
    .group_segment_fixed_size: 16
    .kernarg_segment_align: 8
    .kernarg_segment_size: 8
    .language:       OpenCL C
    .language_version:
      - 2
      - 0
    .max_flat_workgroup_size: 64
    .name:           _Z21inclusive_scan_kernelILj64ELN6hipcub18BlockScanAlgorithmE0ElEvPT1_
    .private_segment_fixed_size: 0
    .sgpr_count:     18
    .sgpr_spill_count: 0
    .symbol:         _Z21inclusive_scan_kernelILj64ELN6hipcub18BlockScanAlgorithmE0ElEvPT1_.kd
    .uniform_work_group_size: 1
    .uses_dynamic_stack: false
    .vgpr_count:     12
    .vgpr_spill_count: 0
    .wavefront_size: 32
    .workgroup_processor_mode: 1
  - .args:
      - .address_space:  global
        .offset:         0
        .size:           8
        .value_kind:     global_buffer
    .group_segment_fixed_size: 48
    .kernarg_segment_align: 8
    .kernarg_segment_size: 8
    .language:       OpenCL C
    .language_version:
      - 2
      - 0
    .max_flat_workgroup_size: 377
    .name:           _Z21inclusive_scan_kernelILj377ELN6hipcub18BlockScanAlgorithmE0EjEvPT1_
    .private_segment_fixed_size: 0
    .sgpr_count:     18
    .sgpr_spill_count: 0
    .symbol:         _Z21inclusive_scan_kernelILj377ELN6hipcub18BlockScanAlgorithmE0EjEvPT1_.kd
    .uniform_work_group_size: 1
    .uses_dynamic_stack: false
    .vgpr_count:     8
    .vgpr_spill_count: 0
    .wavefront_size: 32
    .workgroup_processor_mode: 1
  - .args:
      - .address_space:  global
        .offset:         0
        .size:           8
        .value_kind:     global_buffer
    .group_segment_fixed_size: 32
    .kernarg_segment_align: 8
    .kernarg_segment_size: 8
    .language:       OpenCL C
    .language_version:
      - 2
      - 0
    .max_flat_workgroup_size: 256
    .name:           _Z21inclusive_scan_kernelILj256ELN6hipcub18BlockScanAlgorithmE0EjEvPT1_
    .private_segment_fixed_size: 0
    .sgpr_count:     18
    .sgpr_spill_count: 0
    .symbol:         _Z21inclusive_scan_kernelILj256ELN6hipcub18BlockScanAlgorithmE0EjEvPT1_.kd
    .uniform_work_group_size: 1
    .uses_dynamic_stack: false
    .vgpr_count:     9
    .vgpr_spill_count: 0
    .wavefront_size: 32
    .workgroup_processor_mode: 1
  - .args:
      - .address_space:  global
        .offset:         0
        .size:           8
        .value_kind:     global_buffer
    .group_segment_fixed_size: 8
    .kernarg_segment_align: 8
    .kernarg_segment_size: 8
    .language:       OpenCL C
    .language_version:
      - 2
      - 0
    .max_flat_workgroup_size: 64
    .name:           _Z21inclusive_scan_kernelILj64ELN6hipcub18BlockScanAlgorithmE0EjEvPT1_
    .private_segment_fixed_size: 0
    .sgpr_count:     18
    .sgpr_spill_count: 0
    .symbol:         _Z21inclusive_scan_kernelILj64ELN6hipcub18BlockScanAlgorithmE0EjEvPT1_.kd
    .uniform_work_group_size: 1
    .uses_dynamic_stack: false
    .vgpr_count:     9
    .vgpr_spill_count: 0
    .wavefront_size: 32
    .workgroup_processor_mode: 1
  - .args:
      - .address_space:  global
        .offset:         0
        .size:           8
        .value_kind:     global_buffer
    .group_segment_fixed_size: 32
    .kernarg_segment_align: 8
    .kernarg_segment_size: 8
    .language:       OpenCL C
    .language_version:
      - 2
      - 0
    .max_flat_workgroup_size: 255
    .name:           _Z21inclusive_scan_kernelILj255ELN6hipcub18BlockScanAlgorithmE0EiEvPT1_
    .private_segment_fixed_size: 0
    .sgpr_count:     18
    .sgpr_spill_count: 0
    .symbol:         _Z21inclusive_scan_kernelILj255ELN6hipcub18BlockScanAlgorithmE0EiEvPT1_.kd
    .uniform_work_group_size: 1
    .uses_dynamic_stack: false
    .vgpr_count:     9
    .vgpr_spill_count: 0
    .wavefront_size: 32
    .workgroup_processor_mode: 1
  - .args:
      - .address_space:  global
        .offset:         0
        .size:           8
        .value_kind:     global_buffer
    .group_segment_fixed_size: 24
    .kernarg_segment_align: 8
    .kernarg_segment_size: 8
    .language:       OpenCL C
    .language_version:
      - 2
      - 0
    .max_flat_workgroup_size: 162
    .name:           _Z21inclusive_scan_kernelILj162ELN6hipcub18BlockScanAlgorithmE0EiEvPT1_
    .private_segment_fixed_size: 0
    .sgpr_count:     18
    .sgpr_spill_count: 0
    .symbol:         _Z21inclusive_scan_kernelILj162ELN6hipcub18BlockScanAlgorithmE0EiEvPT1_.kd
    .uniform_work_group_size: 1
    .uses_dynamic_stack: false
    .vgpr_count:     9
    .vgpr_spill_count: 0
    .wavefront_size: 32
    .workgroup_processor_mode: 1
  - .args:
      - .address_space:  global
        .offset:         0
        .size:           8
        .value_kind:     global_buffer
    .group_segment_fixed_size: 8
    .kernarg_segment_align: 8
    .kernarg_segment_size: 8
    .language:       OpenCL C
    .language_version:
      - 2
      - 0
    .max_flat_workgroup_size: 37
    .name:           _Z21inclusive_scan_kernelILj37ELN6hipcub18BlockScanAlgorithmE0EiEvPT1_
    .private_segment_fixed_size: 0
    .sgpr_count:     18
    .sgpr_spill_count: 0
    .symbol:         _Z21inclusive_scan_kernelILj37ELN6hipcub18BlockScanAlgorithmE0EiEvPT1_.kd
    .uniform_work_group_size: 1
    .uses_dynamic_stack: false
    .vgpr_count:     9
    .vgpr_spill_count: 0
    .wavefront_size: 32
    .workgroup_processor_mode: 1
  - .args:
      - .address_space:  global
        .offset:         0
        .size:           8
        .value_kind:     global_buffer
    .group_segment_fixed_size: 12
    .kernarg_segment_align: 8
    .kernarg_segment_size: 8
    .language:       OpenCL C
    .language_version:
      - 2
      - 0
    .max_flat_workgroup_size: 65
    .name:           _Z21inclusive_scan_kernelILj65ELN6hipcub18BlockScanAlgorithmE0EiEvPT1_
    .private_segment_fixed_size: 0
    .sgpr_count:     18
    .sgpr_spill_count: 0
    .symbol:         _Z21inclusive_scan_kernelILj65ELN6hipcub18BlockScanAlgorithmE0EiEvPT1_.kd
    .uniform_work_group_size: 1
    .uses_dynamic_stack: false
    .vgpr_count:     9
    .vgpr_spill_count: 0
    .wavefront_size: 32
    .workgroup_processor_mode: 1
  - .args:
      - .address_space:  global
        .offset:         0
        .size:           8
        .value_kind:     global_buffer
    .group_segment_fixed_size: 64
    .kernarg_segment_align: 8
    .kernarg_segment_size: 8
    .language:       OpenCL C
    .language_version:
      - 2
      - 0
    .max_flat_workgroup_size: 512
    .name:           _Z21inclusive_scan_kernelILj512ELN6hipcub18BlockScanAlgorithmE0EiEvPT1_
    .private_segment_fixed_size: 0
    .sgpr_count:     18
    .sgpr_spill_count: 0
    .symbol:         _Z21inclusive_scan_kernelILj512ELN6hipcub18BlockScanAlgorithmE0EiEvPT1_.kd
    .uniform_work_group_size: 1
    .uses_dynamic_stack: false
    .vgpr_count:     8
    .vgpr_spill_count: 0
    .wavefront_size: 32
    .workgroup_processor_mode: 1
  - .args:
      - .address_space:  global
        .offset:         0
        .size:           8
        .value_kind:     global_buffer
    .group_segment_fixed_size: 32
    .kernarg_segment_align: 8
    .kernarg_segment_size: 8
    .language:       OpenCL C
    .language_version:
      - 2
      - 0
    .max_flat_workgroup_size: 256
    .name:           _Z21inclusive_scan_kernelILj256ELN6hipcub18BlockScanAlgorithmE0EiEvPT1_
    .private_segment_fixed_size: 0
    .sgpr_count:     18
    .sgpr_spill_count: 0
    .symbol:         _Z21inclusive_scan_kernelILj256ELN6hipcub18BlockScanAlgorithmE0EiEvPT1_.kd
    .uniform_work_group_size: 1
    .uses_dynamic_stack: false
    .vgpr_count:     9
    .vgpr_spill_count: 0
    .wavefront_size: 32
    .workgroup_processor_mode: 1
  - .args:
      - .address_space:  global
        .offset:         0
        .size:           8
        .value_kind:     global_buffer
    .group_segment_fixed_size: 16
    .kernarg_segment_align: 8
    .kernarg_segment_size: 8
    .language:       OpenCL C
    .language_version:
      - 2
      - 0
    .max_flat_workgroup_size: 128
    .name:           _Z21inclusive_scan_kernelILj128ELN6hipcub18BlockScanAlgorithmE0EiEvPT1_
    .private_segment_fixed_size: 0
    .sgpr_count:     18
    .sgpr_spill_count: 0
    .symbol:         _Z21inclusive_scan_kernelILj128ELN6hipcub18BlockScanAlgorithmE0EiEvPT1_.kd
    .uniform_work_group_size: 1
    .uses_dynamic_stack: false
    .vgpr_count:     9
    .vgpr_spill_count: 0
    .wavefront_size: 32
    .workgroup_processor_mode: 1
  - .args:
      - .address_space:  global
        .offset:         0
        .size:           8
        .value_kind:     global_buffer
    .group_segment_fixed_size: 8
    .kernarg_segment_align: 8
    .kernarg_segment_size: 8
    .language:       OpenCL C
    .language_version:
      - 2
      - 0
    .max_flat_workgroup_size: 64
    .name:           _Z21inclusive_scan_kernelILj64ELN6hipcub18BlockScanAlgorithmE0EiEvPT1_
    .private_segment_fixed_size: 0
    .sgpr_count:     18
    .sgpr_spill_count: 0
    .symbol:         _Z21inclusive_scan_kernelILj64ELN6hipcub18BlockScanAlgorithmE0EiEvPT1_.kd
    .uniform_work_group_size: 1
    .uses_dynamic_stack: false
    .vgpr_count:     9
    .vgpr_spill_count: 0
    .wavefront_size: 32
    .workgroup_processor_mode: 1
  - .args:
      - .address_space:  global
        .offset:         0
        .size:           8
        .value_kind:     global_buffer
      - .address_space:  global
        .offset:         8
        .size:           8
        .value_kind:     global_buffer
    .group_segment_fixed_size: 384
    .kernarg_segment_align: 8
    .kernarg_segment_size: 16
    .language:       OpenCL C
    .language_version:
      - 2
      - 0
    .max_flat_workgroup_size: 377
    .name:           _Z28inclusive_scan_reduce_kernelILj377ELN6hipcub18BlockScanAlgorithmE1EhEvPT1_S3_
    .private_segment_fixed_size: 0
    .sgpr_count:     18
    .sgpr_spill_count: 0
    .symbol:         _Z28inclusive_scan_reduce_kernelILj377ELN6hipcub18BlockScanAlgorithmE1EhEvPT1_S3_.kd
    .uniform_work_group_size: 1
    .uses_dynamic_stack: false
    .vgpr_count:     22
    .vgpr_spill_count: 0
    .wavefront_size: 32
    .workgroup_processor_mode: 1
  - .args:
      - .address_space:  global
        .offset:         0
        .size:           8
        .value_kind:     global_buffer
      - .address_space:  global
        .offset:         8
        .size:           8
        .value_kind:     global_buffer
    .group_segment_fixed_size: 1536
    .kernarg_segment_align: 8
    .kernarg_segment_size: 16
    .language:       OpenCL C
    .language_version:
      - 2
      - 0
    .max_flat_workgroup_size: 377
    .name:           _Z28inclusive_scan_reduce_kernelILj377ELN6hipcub18BlockScanAlgorithmE1EiEvPT1_S3_
    .private_segment_fixed_size: 0
    .sgpr_count:     18
    .sgpr_spill_count: 0
    .symbol:         _Z28inclusive_scan_reduce_kernelILj377ELN6hipcub18BlockScanAlgorithmE1EiEvPT1_S3_.kd
    .uniform_work_group_size: 1
    .uses_dynamic_stack: false
    .vgpr_count:     23
    .vgpr_spill_count: 0
    .wavefront_size: 32
    .workgroup_processor_mode: 1
  - .args:
      - .address_space:  global
        .offset:         0
        .size:           8
        .value_kind:     global_buffer
      - .address_space:  global
        .offset:         8
        .size:           8
        .value_kind:     global_buffer
    .group_segment_fixed_size: 1056
    .kernarg_segment_align: 8
    .kernarg_segment_size: 16
    .language:       OpenCL C
    .language_version:
      - 2
      - 0
    .max_flat_workgroup_size: 255
    .name:           _Z28inclusive_scan_reduce_kernelILj255ELN6hipcub18BlockScanAlgorithmE1EjEvPT1_S3_
    .private_segment_fixed_size: 0
    .sgpr_count:     18
    .sgpr_spill_count: 0
    .symbol:         _Z28inclusive_scan_reduce_kernelILj255ELN6hipcub18BlockScanAlgorithmE1EjEvPT1_S3_.kd
    .uniform_work_group_size: 1
    .uses_dynamic_stack: false
    .vgpr_count:     19
    .vgpr_spill_count: 0
    .wavefront_size: 32
    .workgroup_processor_mode: 1
  - .args:
      - .address_space:  global
        .offset:         0
        .size:           8
        .value_kind:     global_buffer
      - .address_space:  global
        .offset:         8
        .size:           8
        .value_kind:     global_buffer
    .group_segment_fixed_size: 384
    .kernarg_segment_align: 8
    .kernarg_segment_size: 16
    .language:       OpenCL C
    .language_version:
      - 2
      - 0
    .max_flat_workgroup_size: 162
    .name:           _Z28inclusive_scan_reduce_kernelILj162ELN6hipcub18BlockScanAlgorithmE1EsEvPT1_S3_
    .private_segment_fixed_size: 0
    .sgpr_count:     18
    .sgpr_spill_count: 0
    .symbol:         _Z28inclusive_scan_reduce_kernelILj162ELN6hipcub18BlockScanAlgorithmE1EsEvPT1_S3_.kd
    .uniform_work_group_size: 1
    .uses_dynamic_stack: false
    .vgpr_count:     16
    .vgpr_spill_count: 0
    .wavefront_size: 32
    .workgroup_processor_mode: 1
  - .args:
      - .address_space:  global
        .offset:         0
        .size:           8
        .value_kind:     global_buffer
      - .address_space:  global
        .offset:         8
        .size:           8
        .value_kind:     global_buffer
    .group_segment_fixed_size: 528
    .kernarg_segment_align: 8
    .kernarg_segment_size: 16
    .language:       OpenCL C
    .language_version:
      - 2
      - 0
    .max_flat_workgroup_size: 37
    .name:           _Z28inclusive_scan_reduce_kernelILj37ELN6hipcub18BlockScanAlgorithmE1ElEvPT1_S3_
    .private_segment_fixed_size: 0
    .sgpr_count:     18
    .sgpr_spill_count: 0
    .symbol:         _Z28inclusive_scan_reduce_kernelILj37ELN6hipcub18BlockScanAlgorithmE1ElEvPT1_S3_.kd
    .uniform_work_group_size: 1
    .uses_dynamic_stack: false
    .vgpr_count:     20
    .vgpr_spill_count: 0
    .wavefront_size: 32
    .workgroup_processor_mode: 1
  - .args:
      - .address_space:  global
        .offset:         0
        .size:           8
        .value_kind:     global_buffer
      - .address_space:  global
        .offset:         8
        .size:           8
        .value_kind:     global_buffer
    .group_segment_fixed_size: 768
    .kernarg_segment_align: 8
    .kernarg_segment_size: 16
    .language:       OpenCL C
    .language_version:
      - 2
      - 0
    .max_flat_workgroup_size: 65
    .name:           _Z28inclusive_scan_reduce_kernelILj65ELN6hipcub18BlockScanAlgorithmE1EmEvPT1_S3_
    .private_segment_fixed_size: 0
    .sgpr_count:     18
    .sgpr_spill_count: 0
    .symbol:         _Z28inclusive_scan_reduce_kernelILj65ELN6hipcub18BlockScanAlgorithmE1EmEvPT1_S3_.kd
    .uniform_work_group_size: 1
    .uses_dynamic_stack: false
    .vgpr_count:     22
    .vgpr_spill_count: 0
    .wavefront_size: 32
    .workgroup_processor_mode: 1
  - .args:
      - .address_space:  global
        .offset:         0
        .size:           8
        .value_kind:     global_buffer
      - .address_space:  global
        .offset:         8
        .size:           8
        .value_kind:     global_buffer
    .group_segment_fixed_size: 2112
    .kernarg_segment_align: 8
    .kernarg_segment_size: 16
    .language:       OpenCL C
    .language_version:
      - 2
      - 0
    .max_flat_workgroup_size: 512
    .name:           _Z28inclusive_scan_reduce_kernelILj512ELN6hipcub18BlockScanAlgorithmE1EiEvPT1_S3_
    .private_segment_fixed_size: 0
    .sgpr_count:     18
    .sgpr_spill_count: 0
    .symbol:         _Z28inclusive_scan_reduce_kernelILj512ELN6hipcub18BlockScanAlgorithmE1EiEvPT1_S3_.kd
    .uniform_work_group_size: 1
    .uses_dynamic_stack: false
    .vgpr_count:     27
    .vgpr_spill_count: 0
    .wavefront_size: 32
    .workgroup_processor_mode: 1
  - .args:
      - .address_space:  global
        .offset:         0
        .size:           8
        .value_kind:     global_buffer
      - .address_space:  global
        .offset:         8
        .size:           8
        .value_kind:     global_buffer
    .group_segment_fixed_size: 1056
    .kernarg_segment_align: 8
    .kernarg_segment_size: 16
    .language:       OpenCL C
    .language_version:
      - 2
      - 0
    .max_flat_workgroup_size: 256
    .name:           _Z28inclusive_scan_reduce_kernelILj256ELN6hipcub18BlockScanAlgorithmE1EiEvPT1_S3_
    .private_segment_fixed_size: 0
    .sgpr_count:     18
    .sgpr_spill_count: 0
    .symbol:         _Z28inclusive_scan_reduce_kernelILj256ELN6hipcub18BlockScanAlgorithmE1EiEvPT1_S3_.kd
    .uniform_work_group_size: 1
    .uses_dynamic_stack: false
    .vgpr_count:     19
    .vgpr_spill_count: 0
    .wavefront_size: 32
    .workgroup_processor_mode: 1
  - .args:
      - .address_space:  global
        .offset:         0
        .size:           8
        .value_kind:     global_buffer
      - .address_space:  global
        .offset:         8
        .size:           8
        .value_kind:     global_buffer
    .group_segment_fixed_size: 528
    .kernarg_segment_align: 8
    .kernarg_segment_size: 16
    .language:       OpenCL C
    .language_version:
      - 2
      - 0
    .max_flat_workgroup_size: 128
    .name:           _Z28inclusive_scan_reduce_kernelILj128ELN6hipcub18BlockScanAlgorithmE1EiEvPT1_S3_
    .private_segment_fixed_size: 0
    .sgpr_count:     18
    .sgpr_spill_count: 0
    .symbol:         _Z28inclusive_scan_reduce_kernelILj128ELN6hipcub18BlockScanAlgorithmE1EiEvPT1_S3_.kd
    .uniform_work_group_size: 1
    .uses_dynamic_stack: false
    .vgpr_count:     15
    .vgpr_spill_count: 0
    .wavefront_size: 32
    .workgroup_processor_mode: 1
  - .args:
      - .address_space:  global
        .offset:         0
        .size:           8
        .value_kind:     global_buffer
      - .address_space:  global
        .offset:         8
        .size:           8
        .value_kind:     global_buffer
    .group_segment_fixed_size: 264
    .kernarg_segment_align: 8
    .kernarg_segment_size: 16
    .language:       OpenCL C
    .language_version:
      - 2
      - 0
    .max_flat_workgroup_size: 64
    .name:           _Z28inclusive_scan_reduce_kernelILj64ELN6hipcub18BlockScanAlgorithmE1EiEvPT1_S3_
    .private_segment_fixed_size: 0
    .sgpr_count:     18
    .sgpr_spill_count: 0
    .symbol:         _Z28inclusive_scan_reduce_kernelILj64ELN6hipcub18BlockScanAlgorithmE1EiEvPT1_S3_.kd
    .uniform_work_group_size: 1
    .uses_dynamic_stack: false
    .vgpr_count:     13
    .vgpr_spill_count: 0
    .wavefront_size: 32
    .workgroup_processor_mode: 1
  - .args:
      - .address_space:  global
        .offset:         0
        .size:           8
        .value_kind:     global_buffer
      - .address_space:  global
        .offset:         8
        .size:           8
        .value_kind:     global_buffer
    .group_segment_fixed_size: 96
    .kernarg_segment_align: 8
    .kernarg_segment_size: 16
    .language:       OpenCL C
    .language_version:
      - 2
      - 0
    .max_flat_workgroup_size: 377
    .name:           _Z28inclusive_scan_reduce_kernelILj377ELN6hipcub18BlockScanAlgorithmE0ElEvPT1_S3_
    .private_segment_fixed_size: 0
    .sgpr_count:     18
    .sgpr_spill_count: 0
    .symbol:         _Z28inclusive_scan_reduce_kernelILj377ELN6hipcub18BlockScanAlgorithmE0ElEvPT1_S3_.kd
    .uniform_work_group_size: 1
    .uses_dynamic_stack: false
    .vgpr_count:     12
    .vgpr_spill_count: 0
    .wavefront_size: 32
    .workgroup_processor_mode: 1
  - .args:
      - .address_space:  global
        .offset:         0
        .size:           8
        .value_kind:     global_buffer
      - .address_space:  global
        .offset:         8
        .size:           8
        .value_kind:     global_buffer
    .group_segment_fixed_size: 64
    .kernarg_segment_align: 8
    .kernarg_segment_size: 16
    .language:       OpenCL C
    .language_version:
      - 2
      - 0
    .max_flat_workgroup_size: 256
    .name:           _Z28inclusive_scan_reduce_kernelILj256ELN6hipcub18BlockScanAlgorithmE0ElEvPT1_S3_
    .private_segment_fixed_size: 0
    .sgpr_count:     18
    .sgpr_spill_count: 0
    .symbol:         _Z28inclusive_scan_reduce_kernelILj256ELN6hipcub18BlockScanAlgorithmE0ElEvPT1_S3_.kd
    .uniform_work_group_size: 1
    .uses_dynamic_stack: false
    .vgpr_count:     13
    .vgpr_spill_count: 0
    .wavefront_size: 32
    .workgroup_processor_mode: 1
  - .args:
      - .address_space:  global
        .offset:         0
        .size:           8
        .value_kind:     global_buffer
      - .address_space:  global
        .offset:         8
        .size:           8
        .value_kind:     global_buffer
    .group_segment_fixed_size: 16
    .kernarg_segment_align: 8
    .kernarg_segment_size: 16
    .language:       OpenCL C
    .language_version:
      - 2
      - 0
    .max_flat_workgroup_size: 64
    .name:           _Z28inclusive_scan_reduce_kernelILj64ELN6hipcub18BlockScanAlgorithmE0ElEvPT1_S3_
    .private_segment_fixed_size: 0
    .sgpr_count:     18
    .sgpr_spill_count: 0
    .symbol:         _Z28inclusive_scan_reduce_kernelILj64ELN6hipcub18BlockScanAlgorithmE0ElEvPT1_S3_.kd
    .uniform_work_group_size: 1
    .uses_dynamic_stack: false
    .vgpr_count:     12
    .vgpr_spill_count: 0
    .wavefront_size: 32
    .workgroup_processor_mode: 1
  - .args:
      - .address_space:  global
        .offset:         0
        .size:           8
        .value_kind:     global_buffer
      - .address_space:  global
        .offset:         8
        .size:           8
        .value_kind:     global_buffer
    .group_segment_fixed_size: 48
    .kernarg_segment_align: 8
    .kernarg_segment_size: 16
    .language:       OpenCL C
    .language_version:
      - 2
      - 0
    .max_flat_workgroup_size: 377
    .name:           _Z28inclusive_scan_reduce_kernelILj377ELN6hipcub18BlockScanAlgorithmE0EjEvPT1_S3_
    .private_segment_fixed_size: 0
    .sgpr_count:     18
    .sgpr_spill_count: 0
    .symbol:         _Z28inclusive_scan_reduce_kernelILj377ELN6hipcub18BlockScanAlgorithmE0EjEvPT1_S3_.kd
    .uniform_work_group_size: 1
    .uses_dynamic_stack: false
    .vgpr_count:     8
    .vgpr_spill_count: 0
    .wavefront_size: 32
    .workgroup_processor_mode: 1
  - .args:
      - .address_space:  global
        .offset:         0
        .size:           8
        .value_kind:     global_buffer
      - .address_space:  global
        .offset:         8
        .size:           8
        .value_kind:     global_buffer
    .group_segment_fixed_size: 32
    .kernarg_segment_align: 8
    .kernarg_segment_size: 16
    .language:       OpenCL C
    .language_version:
      - 2
      - 0
    .max_flat_workgroup_size: 256
    .name:           _Z28inclusive_scan_reduce_kernelILj256ELN6hipcub18BlockScanAlgorithmE0EjEvPT1_S3_
    .private_segment_fixed_size: 0
    .sgpr_count:     18
    .sgpr_spill_count: 0
    .symbol:         _Z28inclusive_scan_reduce_kernelILj256ELN6hipcub18BlockScanAlgorithmE0EjEvPT1_S3_.kd
    .uniform_work_group_size: 1
    .uses_dynamic_stack: false
    .vgpr_count:     9
    .vgpr_spill_count: 0
    .wavefront_size: 32
    .workgroup_processor_mode: 1
  - .args:
      - .address_space:  global
        .offset:         0
        .size:           8
        .value_kind:     global_buffer
      - .address_space:  global
        .offset:         8
        .size:           8
        .value_kind:     global_buffer
    .group_segment_fixed_size: 8
    .kernarg_segment_align: 8
    .kernarg_segment_size: 16
    .language:       OpenCL C
    .language_version:
      - 2
      - 0
    .max_flat_workgroup_size: 64
    .name:           _Z28inclusive_scan_reduce_kernelILj64ELN6hipcub18BlockScanAlgorithmE0EjEvPT1_S3_
    .private_segment_fixed_size: 0
    .sgpr_count:     18
    .sgpr_spill_count: 0
    .symbol:         _Z28inclusive_scan_reduce_kernelILj64ELN6hipcub18BlockScanAlgorithmE0EjEvPT1_S3_.kd
    .uniform_work_group_size: 1
    .uses_dynamic_stack: false
    .vgpr_count:     9
    .vgpr_spill_count: 0
    .wavefront_size: 32
    .workgroup_processor_mode: 1
  - .args:
      - .address_space:  global
        .offset:         0
        .size:           8
        .value_kind:     global_buffer
      - .address_space:  global
        .offset:         8
        .size:           8
        .value_kind:     global_buffer
    .group_segment_fixed_size: 32
    .kernarg_segment_align: 8
    .kernarg_segment_size: 16
    .language:       OpenCL C
    .language_version:
      - 2
      - 0
    .max_flat_workgroup_size: 255
    .name:           _Z28inclusive_scan_reduce_kernelILj255ELN6hipcub18BlockScanAlgorithmE0EiEvPT1_S3_
    .private_segment_fixed_size: 0
    .sgpr_count:     18
    .sgpr_spill_count: 0
    .symbol:         _Z28inclusive_scan_reduce_kernelILj255ELN6hipcub18BlockScanAlgorithmE0EiEvPT1_S3_.kd
    .uniform_work_group_size: 1
    .uses_dynamic_stack: false
    .vgpr_count:     9
    .vgpr_spill_count: 0
    .wavefront_size: 32
    .workgroup_processor_mode: 1
  - .args:
      - .address_space:  global
        .offset:         0
        .size:           8
        .value_kind:     global_buffer
      - .address_space:  global
        .offset:         8
        .size:           8
        .value_kind:     global_buffer
    .group_segment_fixed_size: 24
    .kernarg_segment_align: 8
    .kernarg_segment_size: 16
    .language:       OpenCL C
    .language_version:
      - 2
      - 0
    .max_flat_workgroup_size: 162
    .name:           _Z28inclusive_scan_reduce_kernelILj162ELN6hipcub18BlockScanAlgorithmE0EiEvPT1_S3_
    .private_segment_fixed_size: 0
    .sgpr_count:     18
    .sgpr_spill_count: 0
    .symbol:         _Z28inclusive_scan_reduce_kernelILj162ELN6hipcub18BlockScanAlgorithmE0EiEvPT1_S3_.kd
    .uniform_work_group_size: 1
    .uses_dynamic_stack: false
    .vgpr_count:     9
    .vgpr_spill_count: 0
    .wavefront_size: 32
    .workgroup_processor_mode: 1
  - .args:
      - .address_space:  global
        .offset:         0
        .size:           8
        .value_kind:     global_buffer
      - .address_space:  global
        .offset:         8
        .size:           8
        .value_kind:     global_buffer
    .group_segment_fixed_size: 8
    .kernarg_segment_align: 8
    .kernarg_segment_size: 16
    .language:       OpenCL C
    .language_version:
      - 2
      - 0
    .max_flat_workgroup_size: 37
    .name:           _Z28inclusive_scan_reduce_kernelILj37ELN6hipcub18BlockScanAlgorithmE0EiEvPT1_S3_
    .private_segment_fixed_size: 0
    .sgpr_count:     18
    .sgpr_spill_count: 0
    .symbol:         _Z28inclusive_scan_reduce_kernelILj37ELN6hipcub18BlockScanAlgorithmE0EiEvPT1_S3_.kd
    .uniform_work_group_size: 1
    .uses_dynamic_stack: false
    .vgpr_count:     9
    .vgpr_spill_count: 0
    .wavefront_size: 32
    .workgroup_processor_mode: 1
  - .args:
      - .address_space:  global
        .offset:         0
        .size:           8
        .value_kind:     global_buffer
      - .address_space:  global
        .offset:         8
        .size:           8
        .value_kind:     global_buffer
    .group_segment_fixed_size: 12
    .kernarg_segment_align: 8
    .kernarg_segment_size: 16
    .language:       OpenCL C
    .language_version:
      - 2
      - 0
    .max_flat_workgroup_size: 65
    .name:           _Z28inclusive_scan_reduce_kernelILj65ELN6hipcub18BlockScanAlgorithmE0EiEvPT1_S3_
    .private_segment_fixed_size: 0
    .sgpr_count:     18
    .sgpr_spill_count: 0
    .symbol:         _Z28inclusive_scan_reduce_kernelILj65ELN6hipcub18BlockScanAlgorithmE0EiEvPT1_S3_.kd
    .uniform_work_group_size: 1
    .uses_dynamic_stack: false
    .vgpr_count:     9
    .vgpr_spill_count: 0
    .wavefront_size: 32
    .workgroup_processor_mode: 1
  - .args:
      - .address_space:  global
        .offset:         0
        .size:           8
        .value_kind:     global_buffer
      - .address_space:  global
        .offset:         8
        .size:           8
        .value_kind:     global_buffer
    .group_segment_fixed_size: 64
    .kernarg_segment_align: 8
    .kernarg_segment_size: 16
    .language:       OpenCL C
    .language_version:
      - 2
      - 0
    .max_flat_workgroup_size: 512
    .name:           _Z28inclusive_scan_reduce_kernelILj512ELN6hipcub18BlockScanAlgorithmE0EiEvPT1_S3_
    .private_segment_fixed_size: 0
    .sgpr_count:     18
    .sgpr_spill_count: 0
    .symbol:         _Z28inclusive_scan_reduce_kernelILj512ELN6hipcub18BlockScanAlgorithmE0EiEvPT1_S3_.kd
    .uniform_work_group_size: 1
    .uses_dynamic_stack: false
    .vgpr_count:     8
    .vgpr_spill_count: 0
    .wavefront_size: 32
    .workgroup_processor_mode: 1
  - .args:
      - .address_space:  global
        .offset:         0
        .size:           8
        .value_kind:     global_buffer
      - .address_space:  global
        .offset:         8
        .size:           8
        .value_kind:     global_buffer
    .group_segment_fixed_size: 32
    .kernarg_segment_align: 8
    .kernarg_segment_size: 16
    .language:       OpenCL C
    .language_version:
      - 2
      - 0
    .max_flat_workgroup_size: 256
    .name:           _Z28inclusive_scan_reduce_kernelILj256ELN6hipcub18BlockScanAlgorithmE0EiEvPT1_S3_
    .private_segment_fixed_size: 0
    .sgpr_count:     18
    .sgpr_spill_count: 0
    .symbol:         _Z28inclusive_scan_reduce_kernelILj256ELN6hipcub18BlockScanAlgorithmE0EiEvPT1_S3_.kd
    .uniform_work_group_size: 1
    .uses_dynamic_stack: false
    .vgpr_count:     9
    .vgpr_spill_count: 0
    .wavefront_size: 32
    .workgroup_processor_mode: 1
  - .args:
      - .address_space:  global
        .offset:         0
        .size:           8
        .value_kind:     global_buffer
      - .address_space:  global
        .offset:         8
        .size:           8
        .value_kind:     global_buffer
    .group_segment_fixed_size: 16
    .kernarg_segment_align: 8
    .kernarg_segment_size: 16
    .language:       OpenCL C
    .language_version:
      - 2
      - 0
    .max_flat_workgroup_size: 128
    .name:           _Z28inclusive_scan_reduce_kernelILj128ELN6hipcub18BlockScanAlgorithmE0EiEvPT1_S3_
    .private_segment_fixed_size: 0
    .sgpr_count:     18
    .sgpr_spill_count: 0
    .symbol:         _Z28inclusive_scan_reduce_kernelILj128ELN6hipcub18BlockScanAlgorithmE0EiEvPT1_S3_.kd
    .uniform_work_group_size: 1
    .uses_dynamic_stack: false
    .vgpr_count:     9
    .vgpr_spill_count: 0
    .wavefront_size: 32
    .workgroup_processor_mode: 1
  - .args:
      - .address_space:  global
        .offset:         0
        .size:           8
        .value_kind:     global_buffer
      - .address_space:  global
        .offset:         8
        .size:           8
        .value_kind:     global_buffer
    .group_segment_fixed_size: 8
    .kernarg_segment_align: 8
    .kernarg_segment_size: 16
    .language:       OpenCL C
    .language_version:
      - 2
      - 0
    .max_flat_workgroup_size: 64
    .name:           _Z28inclusive_scan_reduce_kernelILj64ELN6hipcub18BlockScanAlgorithmE0EiEvPT1_S3_
    .private_segment_fixed_size: 0
    .sgpr_count:     18
    .sgpr_spill_count: 0
    .symbol:         _Z28inclusive_scan_reduce_kernelILj64ELN6hipcub18BlockScanAlgorithmE0EiEvPT1_S3_.kd
    .uniform_work_group_size: 1
    .uses_dynamic_stack: false
    .vgpr_count:     9
    .vgpr_spill_count: 0
    .wavefront_size: 32
    .workgroup_processor_mode: 1
  - .args:
      - .address_space:  global
        .offset:         0
        .size:           8
        .value_kind:     global_buffer
      - .address_space:  global
        .offset:         8
        .size:           8
        .value_kind:     global_buffer
      - .offset:         16
        .size:           1
        .value_kind:     by_value
    .group_segment_fixed_size: 384
    .kernarg_segment_align: 8
    .kernarg_segment_size: 20
    .language:       OpenCL C
    .language_version:
      - 2
      - 0
    .max_flat_workgroup_size: 377
    .name:           _Z37inclusive_scan_prefix_callback_kernelILj377ELN6hipcub18BlockScanAlgorithmE1EhEvPT1_S3_S2_
    .private_segment_fixed_size: 0
    .sgpr_count:     18
    .sgpr_spill_count: 0
    .symbol:         _Z37inclusive_scan_prefix_callback_kernelILj377ELN6hipcub18BlockScanAlgorithmE1EhEvPT1_S3_S2_.kd
    .uniform_work_group_size: 1
    .uses_dynamic_stack: false
    .vgpr_count:     22
    .vgpr_spill_count: 0
    .wavefront_size: 32
    .workgroup_processor_mode: 1
  - .args:
      - .address_space:  global
        .offset:         0
        .size:           8
        .value_kind:     global_buffer
      - .address_space:  global
        .offset:         8
        .size:           8
        .value_kind:     global_buffer
      - .offset:         16
        .size:           4
        .value_kind:     by_value
    .group_segment_fixed_size: 1536
    .kernarg_segment_align: 8
    .kernarg_segment_size: 20
    .language:       OpenCL C
    .language_version:
      - 2
      - 0
    .max_flat_workgroup_size: 377
    .name:           _Z37inclusive_scan_prefix_callback_kernelILj377ELN6hipcub18BlockScanAlgorithmE1EiEvPT1_S3_S2_
    .private_segment_fixed_size: 0
    .sgpr_count:     18
    .sgpr_spill_count: 0
    .symbol:         _Z37inclusive_scan_prefix_callback_kernelILj377ELN6hipcub18BlockScanAlgorithmE1EiEvPT1_S3_S2_.kd
    .uniform_work_group_size: 1
    .uses_dynamic_stack: false
    .vgpr_count:     23
    .vgpr_spill_count: 0
    .wavefront_size: 32
    .workgroup_processor_mode: 1
  - .args:
      - .address_space:  global
        .offset:         0
        .size:           8
        .value_kind:     global_buffer
      - .address_space:  global
        .offset:         8
        .size:           8
        .value_kind:     global_buffer
      - .offset:         16
        .size:           4
        .value_kind:     by_value
    .group_segment_fixed_size: 1056
    .kernarg_segment_align: 8
    .kernarg_segment_size: 20
    .language:       OpenCL C
    .language_version:
      - 2
      - 0
    .max_flat_workgroup_size: 255
    .name:           _Z37inclusive_scan_prefix_callback_kernelILj255ELN6hipcub18BlockScanAlgorithmE1EjEvPT1_S3_S2_
    .private_segment_fixed_size: 0
    .sgpr_count:     18
    .sgpr_spill_count: 0
    .symbol:         _Z37inclusive_scan_prefix_callback_kernelILj255ELN6hipcub18BlockScanAlgorithmE1EjEvPT1_S3_S2_.kd
    .uniform_work_group_size: 1
    .uses_dynamic_stack: false
    .vgpr_count:     19
    .vgpr_spill_count: 0
    .wavefront_size: 32
    .workgroup_processor_mode: 1
  - .args:
      - .address_space:  global
        .offset:         0
        .size:           8
        .value_kind:     global_buffer
      - .address_space:  global
        .offset:         8
        .size:           8
        .value_kind:     global_buffer
      - .offset:         16
        .size:           2
        .value_kind:     by_value
    .group_segment_fixed_size: 384
    .kernarg_segment_align: 8
    .kernarg_segment_size: 20
    .language:       OpenCL C
    .language_version:
      - 2
      - 0
    .max_flat_workgroup_size: 162
    .name:           _Z37inclusive_scan_prefix_callback_kernelILj162ELN6hipcub18BlockScanAlgorithmE1EsEvPT1_S3_S2_
    .private_segment_fixed_size: 0
    .sgpr_count:     18
    .sgpr_spill_count: 0
    .symbol:         _Z37inclusive_scan_prefix_callback_kernelILj162ELN6hipcub18BlockScanAlgorithmE1EsEvPT1_S3_S2_.kd
    .uniform_work_group_size: 1
    .uses_dynamic_stack: false
    .vgpr_count:     16
    .vgpr_spill_count: 0
    .wavefront_size: 32
    .workgroup_processor_mode: 1
  - .args:
      - .address_space:  global
        .offset:         0
        .size:           8
        .value_kind:     global_buffer
      - .address_space:  global
        .offset:         8
        .size:           8
        .value_kind:     global_buffer
      - .offset:         16
        .size:           8
        .value_kind:     by_value
    .group_segment_fixed_size: 528
    .kernarg_segment_align: 8
    .kernarg_segment_size: 24
    .language:       OpenCL C
    .language_version:
      - 2
      - 0
    .max_flat_workgroup_size: 37
    .name:           _Z37inclusive_scan_prefix_callback_kernelILj37ELN6hipcub18BlockScanAlgorithmE1ElEvPT1_S3_S2_
    .private_segment_fixed_size: 0
    .sgpr_count:     18
    .sgpr_spill_count: 0
    .symbol:         _Z37inclusive_scan_prefix_callback_kernelILj37ELN6hipcub18BlockScanAlgorithmE1ElEvPT1_S3_S2_.kd
    .uniform_work_group_size: 1
    .uses_dynamic_stack: false
    .vgpr_count:     20
    .vgpr_spill_count: 0
    .wavefront_size: 32
    .workgroup_processor_mode: 1
  - .args:
      - .address_space:  global
        .offset:         0
        .size:           8
        .value_kind:     global_buffer
      - .address_space:  global
        .offset:         8
        .size:           8
        .value_kind:     global_buffer
      - .offset:         16
        .size:           8
        .value_kind:     by_value
    .group_segment_fixed_size: 768
    .kernarg_segment_align: 8
    .kernarg_segment_size: 24
    .language:       OpenCL C
    .language_version:
      - 2
      - 0
    .max_flat_workgroup_size: 65
    .name:           _Z37inclusive_scan_prefix_callback_kernelILj65ELN6hipcub18BlockScanAlgorithmE1EmEvPT1_S3_S2_
    .private_segment_fixed_size: 0
    .sgpr_count:     18
    .sgpr_spill_count: 0
    .symbol:         _Z37inclusive_scan_prefix_callback_kernelILj65ELN6hipcub18BlockScanAlgorithmE1EmEvPT1_S3_S2_.kd
    .uniform_work_group_size: 1
    .uses_dynamic_stack: false
    .vgpr_count:     22
    .vgpr_spill_count: 0
    .wavefront_size: 32
    .workgroup_processor_mode: 1
  - .args:
      - .address_space:  global
        .offset:         0
        .size:           8
        .value_kind:     global_buffer
      - .address_space:  global
        .offset:         8
        .size:           8
        .value_kind:     global_buffer
      - .offset:         16
        .size:           4
        .value_kind:     by_value
    .group_segment_fixed_size: 2112
    .kernarg_segment_align: 8
    .kernarg_segment_size: 20
    .language:       OpenCL C
    .language_version:
      - 2
      - 0
    .max_flat_workgroup_size: 512
    .name:           _Z37inclusive_scan_prefix_callback_kernelILj512ELN6hipcub18BlockScanAlgorithmE1EiEvPT1_S3_S2_
    .private_segment_fixed_size: 0
    .sgpr_count:     18
    .sgpr_spill_count: 0
    .symbol:         _Z37inclusive_scan_prefix_callback_kernelILj512ELN6hipcub18BlockScanAlgorithmE1EiEvPT1_S3_S2_.kd
    .uniform_work_group_size: 1
    .uses_dynamic_stack: false
    .vgpr_count:     27
    .vgpr_spill_count: 0
    .wavefront_size: 32
    .workgroup_processor_mode: 1
  - .args:
      - .address_space:  global
        .offset:         0
        .size:           8
        .value_kind:     global_buffer
      - .address_space:  global
        .offset:         8
        .size:           8
        .value_kind:     global_buffer
      - .offset:         16
        .size:           4
        .value_kind:     by_value
    .group_segment_fixed_size: 1056
    .kernarg_segment_align: 8
    .kernarg_segment_size: 20
    .language:       OpenCL C
    .language_version:
      - 2
      - 0
    .max_flat_workgroup_size: 256
    .name:           _Z37inclusive_scan_prefix_callback_kernelILj256ELN6hipcub18BlockScanAlgorithmE1EiEvPT1_S3_S2_
    .private_segment_fixed_size: 0
    .sgpr_count:     18
    .sgpr_spill_count: 0
    .symbol:         _Z37inclusive_scan_prefix_callback_kernelILj256ELN6hipcub18BlockScanAlgorithmE1EiEvPT1_S3_S2_.kd
    .uniform_work_group_size: 1
    .uses_dynamic_stack: false
    .vgpr_count:     19
    .vgpr_spill_count: 0
    .wavefront_size: 32
    .workgroup_processor_mode: 1
  - .args:
      - .address_space:  global
        .offset:         0
        .size:           8
        .value_kind:     global_buffer
      - .address_space:  global
        .offset:         8
        .size:           8
        .value_kind:     global_buffer
      - .offset:         16
        .size:           4
        .value_kind:     by_value
    .group_segment_fixed_size: 528
    .kernarg_segment_align: 8
    .kernarg_segment_size: 20
    .language:       OpenCL C
    .language_version:
      - 2
      - 0
    .max_flat_workgroup_size: 128
    .name:           _Z37inclusive_scan_prefix_callback_kernelILj128ELN6hipcub18BlockScanAlgorithmE1EiEvPT1_S3_S2_
    .private_segment_fixed_size: 0
    .sgpr_count:     18
    .sgpr_spill_count: 0
    .symbol:         _Z37inclusive_scan_prefix_callback_kernelILj128ELN6hipcub18BlockScanAlgorithmE1EiEvPT1_S3_S2_.kd
    .uniform_work_group_size: 1
    .uses_dynamic_stack: false
    .vgpr_count:     15
    .vgpr_spill_count: 0
    .wavefront_size: 32
    .workgroup_processor_mode: 1
  - .args:
      - .address_space:  global
        .offset:         0
        .size:           8
        .value_kind:     global_buffer
      - .address_space:  global
        .offset:         8
        .size:           8
        .value_kind:     global_buffer
      - .offset:         16
        .size:           4
        .value_kind:     by_value
    .group_segment_fixed_size: 264
    .kernarg_segment_align: 8
    .kernarg_segment_size: 20
    .language:       OpenCL C
    .language_version:
      - 2
      - 0
    .max_flat_workgroup_size: 64
    .name:           _Z37inclusive_scan_prefix_callback_kernelILj64ELN6hipcub18BlockScanAlgorithmE1EiEvPT1_S3_S2_
    .private_segment_fixed_size: 0
    .sgpr_count:     18
    .sgpr_spill_count: 0
    .symbol:         _Z37inclusive_scan_prefix_callback_kernelILj64ELN6hipcub18BlockScanAlgorithmE1EiEvPT1_S3_S2_.kd
    .uniform_work_group_size: 1
    .uses_dynamic_stack: false
    .vgpr_count:     13
    .vgpr_spill_count: 0
    .wavefront_size: 32
    .workgroup_processor_mode: 1
  - .args:
      - .address_space:  global
        .offset:         0
        .size:           8
        .value_kind:     global_buffer
      - .address_space:  global
        .offset:         8
        .size:           8
        .value_kind:     global_buffer
      - .offset:         16
        .size:           8
        .value_kind:     by_value
    .group_segment_fixed_size: 96
    .kernarg_segment_align: 8
    .kernarg_segment_size: 24
    .language:       OpenCL C
    .language_version:
      - 2
      - 0
    .max_flat_workgroup_size: 377
    .name:           _Z37inclusive_scan_prefix_callback_kernelILj377ELN6hipcub18BlockScanAlgorithmE0ElEvPT1_S3_S2_
    .private_segment_fixed_size: 0
    .sgpr_count:     18
    .sgpr_spill_count: 0
    .symbol:         _Z37inclusive_scan_prefix_callback_kernelILj377ELN6hipcub18BlockScanAlgorithmE0ElEvPT1_S3_S2_.kd
    .uniform_work_group_size: 1
    .uses_dynamic_stack: false
    .vgpr_count:     12
    .vgpr_spill_count: 0
    .wavefront_size: 32
    .workgroup_processor_mode: 1
  - .args:
      - .address_space:  global
        .offset:         0
        .size:           8
        .value_kind:     global_buffer
      - .address_space:  global
        .offset:         8
        .size:           8
        .value_kind:     global_buffer
      - .offset:         16
        .size:           8
        .value_kind:     by_value
    .group_segment_fixed_size: 64
    .kernarg_segment_align: 8
    .kernarg_segment_size: 24
    .language:       OpenCL C
    .language_version:
      - 2
      - 0
    .max_flat_workgroup_size: 256
    .name:           _Z37inclusive_scan_prefix_callback_kernelILj256ELN6hipcub18BlockScanAlgorithmE0ElEvPT1_S3_S2_
    .private_segment_fixed_size: 0
    .sgpr_count:     18
    .sgpr_spill_count: 0
    .symbol:         _Z37inclusive_scan_prefix_callback_kernelILj256ELN6hipcub18BlockScanAlgorithmE0ElEvPT1_S3_S2_.kd
    .uniform_work_group_size: 1
    .uses_dynamic_stack: false
    .vgpr_count:     13
    .vgpr_spill_count: 0
    .wavefront_size: 32
    .workgroup_processor_mode: 1
  - .args:
      - .address_space:  global
        .offset:         0
        .size:           8
        .value_kind:     global_buffer
      - .address_space:  global
        .offset:         8
        .size:           8
        .value_kind:     global_buffer
      - .offset:         16
        .size:           8
        .value_kind:     by_value
    .group_segment_fixed_size: 16
    .kernarg_segment_align: 8
    .kernarg_segment_size: 24
    .language:       OpenCL C
    .language_version:
      - 2
      - 0
    .max_flat_workgroup_size: 64
    .name:           _Z37inclusive_scan_prefix_callback_kernelILj64ELN6hipcub18BlockScanAlgorithmE0ElEvPT1_S3_S2_
    .private_segment_fixed_size: 0
    .sgpr_count:     18
    .sgpr_spill_count: 0
    .symbol:         _Z37inclusive_scan_prefix_callback_kernelILj64ELN6hipcub18BlockScanAlgorithmE0ElEvPT1_S3_S2_.kd
    .uniform_work_group_size: 1
    .uses_dynamic_stack: false
    .vgpr_count:     12
    .vgpr_spill_count: 0
    .wavefront_size: 32
    .workgroup_processor_mode: 1
  - .args:
      - .address_space:  global
        .offset:         0
        .size:           8
        .value_kind:     global_buffer
      - .address_space:  global
        .offset:         8
        .size:           8
        .value_kind:     global_buffer
      - .offset:         16
        .size:           4
        .value_kind:     by_value
    .group_segment_fixed_size: 48
    .kernarg_segment_align: 8
    .kernarg_segment_size: 20
    .language:       OpenCL C
    .language_version:
      - 2
      - 0
    .max_flat_workgroup_size: 377
    .name:           _Z37inclusive_scan_prefix_callback_kernelILj377ELN6hipcub18BlockScanAlgorithmE0EjEvPT1_S3_S2_
    .private_segment_fixed_size: 0
    .sgpr_count:     18
    .sgpr_spill_count: 0
    .symbol:         _Z37inclusive_scan_prefix_callback_kernelILj377ELN6hipcub18BlockScanAlgorithmE0EjEvPT1_S3_S2_.kd
    .uniform_work_group_size: 1
    .uses_dynamic_stack: false
    .vgpr_count:     8
    .vgpr_spill_count: 0
    .wavefront_size: 32
    .workgroup_processor_mode: 1
  - .args:
      - .address_space:  global
        .offset:         0
        .size:           8
        .value_kind:     global_buffer
      - .address_space:  global
        .offset:         8
        .size:           8
        .value_kind:     global_buffer
      - .offset:         16
        .size:           4
        .value_kind:     by_value
    .group_segment_fixed_size: 32
    .kernarg_segment_align: 8
    .kernarg_segment_size: 20
    .language:       OpenCL C
    .language_version:
      - 2
      - 0
    .max_flat_workgroup_size: 256
    .name:           _Z37inclusive_scan_prefix_callback_kernelILj256ELN6hipcub18BlockScanAlgorithmE0EjEvPT1_S3_S2_
    .private_segment_fixed_size: 0
    .sgpr_count:     18
    .sgpr_spill_count: 0
    .symbol:         _Z37inclusive_scan_prefix_callback_kernelILj256ELN6hipcub18BlockScanAlgorithmE0EjEvPT1_S3_S2_.kd
    .uniform_work_group_size: 1
    .uses_dynamic_stack: false
    .vgpr_count:     9
    .vgpr_spill_count: 0
    .wavefront_size: 32
    .workgroup_processor_mode: 1
  - .args:
      - .address_space:  global
        .offset:         0
        .size:           8
        .value_kind:     global_buffer
      - .address_space:  global
        .offset:         8
        .size:           8
        .value_kind:     global_buffer
      - .offset:         16
        .size:           4
        .value_kind:     by_value
    .group_segment_fixed_size: 8
    .kernarg_segment_align: 8
    .kernarg_segment_size: 20
    .language:       OpenCL C
    .language_version:
      - 2
      - 0
    .max_flat_workgroup_size: 64
    .name:           _Z37inclusive_scan_prefix_callback_kernelILj64ELN6hipcub18BlockScanAlgorithmE0EjEvPT1_S3_S2_
    .private_segment_fixed_size: 0
    .sgpr_count:     18
    .sgpr_spill_count: 0
    .symbol:         _Z37inclusive_scan_prefix_callback_kernelILj64ELN6hipcub18BlockScanAlgorithmE0EjEvPT1_S3_S2_.kd
    .uniform_work_group_size: 1
    .uses_dynamic_stack: false
    .vgpr_count:     9
    .vgpr_spill_count: 0
    .wavefront_size: 32
    .workgroup_processor_mode: 1
  - .args:
      - .address_space:  global
        .offset:         0
        .size:           8
        .value_kind:     global_buffer
      - .address_space:  global
        .offset:         8
        .size:           8
        .value_kind:     global_buffer
      - .offset:         16
        .size:           4
        .value_kind:     by_value
    .group_segment_fixed_size: 32
    .kernarg_segment_align: 8
    .kernarg_segment_size: 20
    .language:       OpenCL C
    .language_version:
      - 2
      - 0
    .max_flat_workgroup_size: 255
    .name:           _Z37inclusive_scan_prefix_callback_kernelILj255ELN6hipcub18BlockScanAlgorithmE0EiEvPT1_S3_S2_
    .private_segment_fixed_size: 0
    .sgpr_count:     18
    .sgpr_spill_count: 0
    .symbol:         _Z37inclusive_scan_prefix_callback_kernelILj255ELN6hipcub18BlockScanAlgorithmE0EiEvPT1_S3_S2_.kd
    .uniform_work_group_size: 1
    .uses_dynamic_stack: false
    .vgpr_count:     9
    .vgpr_spill_count: 0
    .wavefront_size: 32
    .workgroup_processor_mode: 1
  - .args:
      - .address_space:  global
        .offset:         0
        .size:           8
        .value_kind:     global_buffer
      - .address_space:  global
        .offset:         8
        .size:           8
        .value_kind:     global_buffer
      - .offset:         16
        .size:           4
        .value_kind:     by_value
    .group_segment_fixed_size: 24
    .kernarg_segment_align: 8
    .kernarg_segment_size: 20
    .language:       OpenCL C
    .language_version:
      - 2
      - 0
    .max_flat_workgroup_size: 162
    .name:           _Z37inclusive_scan_prefix_callback_kernelILj162ELN6hipcub18BlockScanAlgorithmE0EiEvPT1_S3_S2_
    .private_segment_fixed_size: 0
    .sgpr_count:     18
    .sgpr_spill_count: 0
    .symbol:         _Z37inclusive_scan_prefix_callback_kernelILj162ELN6hipcub18BlockScanAlgorithmE0EiEvPT1_S3_S2_.kd
    .uniform_work_group_size: 1
    .uses_dynamic_stack: false
    .vgpr_count:     9
    .vgpr_spill_count: 0
    .wavefront_size: 32
    .workgroup_processor_mode: 1
  - .args:
      - .address_space:  global
        .offset:         0
        .size:           8
        .value_kind:     global_buffer
      - .address_space:  global
        .offset:         8
        .size:           8
        .value_kind:     global_buffer
      - .offset:         16
        .size:           4
        .value_kind:     by_value
    .group_segment_fixed_size: 8
    .kernarg_segment_align: 8
    .kernarg_segment_size: 20
    .language:       OpenCL C
    .language_version:
      - 2
      - 0
    .max_flat_workgroup_size: 37
    .name:           _Z37inclusive_scan_prefix_callback_kernelILj37ELN6hipcub18BlockScanAlgorithmE0EiEvPT1_S3_S2_
    .private_segment_fixed_size: 0
    .sgpr_count:     18
    .sgpr_spill_count: 0
    .symbol:         _Z37inclusive_scan_prefix_callback_kernelILj37ELN6hipcub18BlockScanAlgorithmE0EiEvPT1_S3_S2_.kd
    .uniform_work_group_size: 1
    .uses_dynamic_stack: false
    .vgpr_count:     9
    .vgpr_spill_count: 0
    .wavefront_size: 32
    .workgroup_processor_mode: 1
  - .args:
      - .address_space:  global
        .offset:         0
        .size:           8
        .value_kind:     global_buffer
      - .address_space:  global
        .offset:         8
        .size:           8
        .value_kind:     global_buffer
      - .offset:         16
        .size:           4
        .value_kind:     by_value
    .group_segment_fixed_size: 12
    .kernarg_segment_align: 8
    .kernarg_segment_size: 20
    .language:       OpenCL C
    .language_version:
      - 2
      - 0
    .max_flat_workgroup_size: 65
    .name:           _Z37inclusive_scan_prefix_callback_kernelILj65ELN6hipcub18BlockScanAlgorithmE0EiEvPT1_S3_S2_
    .private_segment_fixed_size: 0
    .sgpr_count:     18
    .sgpr_spill_count: 0
    .symbol:         _Z37inclusive_scan_prefix_callback_kernelILj65ELN6hipcub18BlockScanAlgorithmE0EiEvPT1_S3_S2_.kd
    .uniform_work_group_size: 1
    .uses_dynamic_stack: false
    .vgpr_count:     9
    .vgpr_spill_count: 0
    .wavefront_size: 32
    .workgroup_processor_mode: 1
  - .args:
      - .address_space:  global
        .offset:         0
        .size:           8
        .value_kind:     global_buffer
      - .address_space:  global
        .offset:         8
        .size:           8
        .value_kind:     global_buffer
      - .offset:         16
        .size:           4
        .value_kind:     by_value
    .group_segment_fixed_size: 64
    .kernarg_segment_align: 8
    .kernarg_segment_size: 20
    .language:       OpenCL C
    .language_version:
      - 2
      - 0
    .max_flat_workgroup_size: 512
    .name:           _Z37inclusive_scan_prefix_callback_kernelILj512ELN6hipcub18BlockScanAlgorithmE0EiEvPT1_S3_S2_
    .private_segment_fixed_size: 0
    .sgpr_count:     18
    .sgpr_spill_count: 0
    .symbol:         _Z37inclusive_scan_prefix_callback_kernelILj512ELN6hipcub18BlockScanAlgorithmE0EiEvPT1_S3_S2_.kd
    .uniform_work_group_size: 1
    .uses_dynamic_stack: false
    .vgpr_count:     8
    .vgpr_spill_count: 0
    .wavefront_size: 32
    .workgroup_processor_mode: 1
  - .args:
      - .address_space:  global
        .offset:         0
        .size:           8
        .value_kind:     global_buffer
      - .address_space:  global
        .offset:         8
        .size:           8
        .value_kind:     global_buffer
      - .offset:         16
        .size:           4
        .value_kind:     by_value
    .group_segment_fixed_size: 32
    .kernarg_segment_align: 8
    .kernarg_segment_size: 20
    .language:       OpenCL C
    .language_version:
      - 2
      - 0
    .max_flat_workgroup_size: 256
    .name:           _Z37inclusive_scan_prefix_callback_kernelILj256ELN6hipcub18BlockScanAlgorithmE0EiEvPT1_S3_S2_
    .private_segment_fixed_size: 0
    .sgpr_count:     18
    .sgpr_spill_count: 0
    .symbol:         _Z37inclusive_scan_prefix_callback_kernelILj256ELN6hipcub18BlockScanAlgorithmE0EiEvPT1_S3_S2_.kd
    .uniform_work_group_size: 1
    .uses_dynamic_stack: false
    .vgpr_count:     9
    .vgpr_spill_count: 0
    .wavefront_size: 32
    .workgroup_processor_mode: 1
  - .args:
      - .address_space:  global
        .offset:         0
        .size:           8
        .value_kind:     global_buffer
      - .address_space:  global
        .offset:         8
        .size:           8
        .value_kind:     global_buffer
      - .offset:         16
        .size:           4
        .value_kind:     by_value
    .group_segment_fixed_size: 16
    .kernarg_segment_align: 8
    .kernarg_segment_size: 20
    .language:       OpenCL C
    .language_version:
      - 2
      - 0
    .max_flat_workgroup_size: 128
    .name:           _Z37inclusive_scan_prefix_callback_kernelILj128ELN6hipcub18BlockScanAlgorithmE0EiEvPT1_S3_S2_
    .private_segment_fixed_size: 0
    .sgpr_count:     18
    .sgpr_spill_count: 0
    .symbol:         _Z37inclusive_scan_prefix_callback_kernelILj128ELN6hipcub18BlockScanAlgorithmE0EiEvPT1_S3_S2_.kd
    .uniform_work_group_size: 1
    .uses_dynamic_stack: false
    .vgpr_count:     9
    .vgpr_spill_count: 0
    .wavefront_size: 32
    .workgroup_processor_mode: 1
  - .args:
      - .address_space:  global
        .offset:         0
        .size:           8
        .value_kind:     global_buffer
      - .address_space:  global
        .offset:         8
        .size:           8
        .value_kind:     global_buffer
      - .offset:         16
        .size:           4
        .value_kind:     by_value
    .group_segment_fixed_size: 8
    .kernarg_segment_align: 8
    .kernarg_segment_size: 20
    .language:       OpenCL C
    .language_version:
      - 2
      - 0
    .max_flat_workgroup_size: 64
    .name:           _Z37inclusive_scan_prefix_callback_kernelILj64ELN6hipcub18BlockScanAlgorithmE0EiEvPT1_S3_S2_
    .private_segment_fixed_size: 0
    .sgpr_count:     18
    .sgpr_spill_count: 0
    .symbol:         _Z37inclusive_scan_prefix_callback_kernelILj64ELN6hipcub18BlockScanAlgorithmE0EiEvPT1_S3_S2_.kd
    .uniform_work_group_size: 1
    .uses_dynamic_stack: false
    .vgpr_count:     9
    .vgpr_spill_count: 0
    .wavefront_size: 32
    .workgroup_processor_mode: 1
  - .args:
      - .address_space:  global
        .offset:         0
        .size:           8
        .value_kind:     global_buffer
      - .offset:         8
        .size:           1
        .value_kind:     by_value
    .group_segment_fixed_size: 384
    .kernarg_segment_align: 8
    .kernarg_segment_size: 12
    .language:       OpenCL C
    .language_version:
      - 2
      - 0
    .max_flat_workgroup_size: 377
    .name:           _Z21exclusive_scan_kernelILj377ELN6hipcub18BlockScanAlgorithmE1EhEvPT1_S2_
    .private_segment_fixed_size: 0
    .sgpr_count:     18
    .sgpr_spill_count: 0
    .symbol:         _Z21exclusive_scan_kernelILj377ELN6hipcub18BlockScanAlgorithmE1EhEvPT1_S2_.kd
    .uniform_work_group_size: 1
    .uses_dynamic_stack: false
    .vgpr_count:     22
    .vgpr_spill_count: 0
    .wavefront_size: 32
    .workgroup_processor_mode: 1
  - .args:
      - .address_space:  global
        .offset:         0
        .size:           8
        .value_kind:     global_buffer
      - .offset:         8
        .size:           4
        .value_kind:     by_value
    .group_segment_fixed_size: 1536
    .kernarg_segment_align: 8
    .kernarg_segment_size: 12
    .language:       OpenCL C
    .language_version:
      - 2
      - 0
    .max_flat_workgroup_size: 377
    .name:           _Z21exclusive_scan_kernelILj377ELN6hipcub18BlockScanAlgorithmE1EiEvPT1_S2_
    .private_segment_fixed_size: 0
    .sgpr_count:     18
    .sgpr_spill_count: 0
    .symbol:         _Z21exclusive_scan_kernelILj377ELN6hipcub18BlockScanAlgorithmE1EiEvPT1_S2_.kd
    .uniform_work_group_size: 1
    .uses_dynamic_stack: false
    .vgpr_count:     23
    .vgpr_spill_count: 0
    .wavefront_size: 32
    .workgroup_processor_mode: 1
  - .args:
      - .address_space:  global
        .offset:         0
        .size:           8
        .value_kind:     global_buffer
      - .offset:         8
        .size:           4
        .value_kind:     by_value
    .group_segment_fixed_size: 1056
    .kernarg_segment_align: 8
    .kernarg_segment_size: 12
    .language:       OpenCL C
    .language_version:
      - 2
      - 0
    .max_flat_workgroup_size: 255
    .name:           _Z21exclusive_scan_kernelILj255ELN6hipcub18BlockScanAlgorithmE1EjEvPT1_S2_
    .private_segment_fixed_size: 0
    .sgpr_count:     18
    .sgpr_spill_count: 0
    .symbol:         _Z21exclusive_scan_kernelILj255ELN6hipcub18BlockScanAlgorithmE1EjEvPT1_S2_.kd
    .uniform_work_group_size: 1
    .uses_dynamic_stack: false
    .vgpr_count:     18
    .vgpr_spill_count: 0
    .wavefront_size: 32
    .workgroup_processor_mode: 1
  - .args:
      - .address_space:  global
        .offset:         0
        .size:           8
        .value_kind:     global_buffer
      - .offset:         8
        .size:           2
        .value_kind:     by_value
    .group_segment_fixed_size: 384
    .kernarg_segment_align: 8
    .kernarg_segment_size: 12
    .language:       OpenCL C
    .language_version:
      - 2
      - 0
    .max_flat_workgroup_size: 162
    .name:           _Z21exclusive_scan_kernelILj162ELN6hipcub18BlockScanAlgorithmE1EsEvPT1_S2_
    .private_segment_fixed_size: 0
    .sgpr_count:     18
    .sgpr_spill_count: 0
    .symbol:         _Z21exclusive_scan_kernelILj162ELN6hipcub18BlockScanAlgorithmE1EsEvPT1_S2_.kd
    .uniform_work_group_size: 1
    .uses_dynamic_stack: false
    .vgpr_count:     16
    .vgpr_spill_count: 0
    .wavefront_size: 32
    .workgroup_processor_mode: 1
  - .args:
      - .address_space:  global
        .offset:         0
        .size:           8
        .value_kind:     global_buffer
      - .offset:         8
        .size:           8
        .value_kind:     by_value
    .group_segment_fixed_size: 528
    .kernarg_segment_align: 8
    .kernarg_segment_size: 16
    .language:       OpenCL C
    .language_version:
      - 2
      - 0
    .max_flat_workgroup_size: 37
    .name:           _Z21exclusive_scan_kernelILj37ELN6hipcub18BlockScanAlgorithmE1ElEvPT1_S2_
    .private_segment_fixed_size: 0
    .sgpr_count:     18
    .sgpr_spill_count: 0
    .symbol:         _Z21exclusive_scan_kernelILj37ELN6hipcub18BlockScanAlgorithmE1ElEvPT1_S2_.kd
    .uniform_work_group_size: 1
    .uses_dynamic_stack: false
    .vgpr_count:     19
    .vgpr_spill_count: 0
    .wavefront_size: 32
    .workgroup_processor_mode: 1
  - .args:
      - .address_space:  global
        .offset:         0
        .size:           8
        .value_kind:     global_buffer
      - .offset:         8
        .size:           8
        .value_kind:     by_value
    .group_segment_fixed_size: 768
    .kernarg_segment_align: 8
    .kernarg_segment_size: 16
    .language:       OpenCL C
    .language_version:
      - 2
      - 0
    .max_flat_workgroup_size: 65
    .name:           _Z21exclusive_scan_kernelILj65ELN6hipcub18BlockScanAlgorithmE1EmEvPT1_S2_
    .private_segment_fixed_size: 0
    .sgpr_count:     18
    .sgpr_spill_count: 0
    .symbol:         _Z21exclusive_scan_kernelILj65ELN6hipcub18BlockScanAlgorithmE1EmEvPT1_S2_.kd
    .uniform_work_group_size: 1
    .uses_dynamic_stack: false
    .vgpr_count:     22
    .vgpr_spill_count: 0
    .wavefront_size: 32
    .workgroup_processor_mode: 1
  - .args:
      - .address_space:  global
        .offset:         0
        .size:           8
        .value_kind:     global_buffer
      - .offset:         8
        .size:           4
        .value_kind:     by_value
    .group_segment_fixed_size: 2112
    .kernarg_segment_align: 8
    .kernarg_segment_size: 12
    .language:       OpenCL C
    .language_version:
      - 2
      - 0
    .max_flat_workgroup_size: 512
    .name:           _Z21exclusive_scan_kernelILj512ELN6hipcub18BlockScanAlgorithmE1EiEvPT1_S2_
    .private_segment_fixed_size: 0
    .sgpr_count:     18
    .sgpr_spill_count: 0
    .symbol:         _Z21exclusive_scan_kernelILj512ELN6hipcub18BlockScanAlgorithmE1EiEvPT1_S2_.kd
    .uniform_work_group_size: 1
    .uses_dynamic_stack: false
    .vgpr_count:     26
    .vgpr_spill_count: 0
    .wavefront_size: 32
    .workgroup_processor_mode: 1
  - .args:
      - .address_space:  global
        .offset:         0
        .size:           8
        .value_kind:     global_buffer
      - .offset:         8
        .size:           4
        .value_kind:     by_value
    .group_segment_fixed_size: 1056
    .kernarg_segment_align: 8
    .kernarg_segment_size: 12
    .language:       OpenCL C
    .language_version:
      - 2
      - 0
    .max_flat_workgroup_size: 256
    .name:           _Z21exclusive_scan_kernelILj256ELN6hipcub18BlockScanAlgorithmE1EiEvPT1_S2_
    .private_segment_fixed_size: 0
    .sgpr_count:     18
    .sgpr_spill_count: 0
    .symbol:         _Z21exclusive_scan_kernelILj256ELN6hipcub18BlockScanAlgorithmE1EiEvPT1_S2_.kd
    .uniform_work_group_size: 1
    .uses_dynamic_stack: false
    .vgpr_count:     18
    .vgpr_spill_count: 0
    .wavefront_size: 32
    .workgroup_processor_mode: 1
  - .args:
      - .address_space:  global
        .offset:         0
        .size:           8
        .value_kind:     global_buffer
      - .offset:         8
        .size:           4
        .value_kind:     by_value
    .group_segment_fixed_size: 528
    .kernarg_segment_align: 8
    .kernarg_segment_size: 12
    .language:       OpenCL C
    .language_version:
      - 2
      - 0
    .max_flat_workgroup_size: 128
    .name:           _Z21exclusive_scan_kernelILj128ELN6hipcub18BlockScanAlgorithmE1EiEvPT1_S2_
    .private_segment_fixed_size: 0
    .sgpr_count:     18
    .sgpr_spill_count: 0
    .symbol:         _Z21exclusive_scan_kernelILj128ELN6hipcub18BlockScanAlgorithmE1EiEvPT1_S2_.kd
    .uniform_work_group_size: 1
    .uses_dynamic_stack: false
    .vgpr_count:     14
    .vgpr_spill_count: 0
    .wavefront_size: 32
    .workgroup_processor_mode: 1
  - .args:
      - .address_space:  global
        .offset:         0
        .size:           8
        .value_kind:     global_buffer
      - .offset:         8
        .size:           4
        .value_kind:     by_value
    .group_segment_fixed_size: 264
    .kernarg_segment_align: 8
    .kernarg_segment_size: 12
    .language:       OpenCL C
    .language_version:
      - 2
      - 0
    .max_flat_workgroup_size: 64
    .name:           _Z21exclusive_scan_kernelILj64ELN6hipcub18BlockScanAlgorithmE1EiEvPT1_S2_
    .private_segment_fixed_size: 0
    .sgpr_count:     18
    .sgpr_spill_count: 0
    .symbol:         _Z21exclusive_scan_kernelILj64ELN6hipcub18BlockScanAlgorithmE1EiEvPT1_S2_.kd
    .uniform_work_group_size: 1
    .uses_dynamic_stack: false
    .vgpr_count:     12
    .vgpr_spill_count: 0
    .wavefront_size: 32
    .workgroup_processor_mode: 1
  - .args:
      - .address_space:  global
        .offset:         0
        .size:           8
        .value_kind:     global_buffer
      - .offset:         8
        .size:           8
        .value_kind:     by_value
    .group_segment_fixed_size: 96
    .kernarg_segment_align: 8
    .kernarg_segment_size: 16
    .language:       OpenCL C
    .language_version:
      - 2
      - 0
    .max_flat_workgroup_size: 377
    .name:           _Z21exclusive_scan_kernelILj377ELN6hipcub18BlockScanAlgorithmE0ElEvPT1_S2_
    .private_segment_fixed_size: 0
    .sgpr_count:     18
    .sgpr_spill_count: 0
    .symbol:         _Z21exclusive_scan_kernelILj377ELN6hipcub18BlockScanAlgorithmE0ElEvPT1_S2_.kd
    .uniform_work_group_size: 1
    .uses_dynamic_stack: false
    .vgpr_count:     13
    .vgpr_spill_count: 0
    .wavefront_size: 32
    .workgroup_processor_mode: 1
  - .args:
      - .address_space:  global
        .offset:         0
        .size:           8
        .value_kind:     global_buffer
      - .offset:         8
        .size:           8
        .value_kind:     by_value
    .group_segment_fixed_size: 64
    .kernarg_segment_align: 8
    .kernarg_segment_size: 16
    .language:       OpenCL C
    .language_version:
      - 2
      - 0
    .max_flat_workgroup_size: 256
    .name:           _Z21exclusive_scan_kernelILj256ELN6hipcub18BlockScanAlgorithmE0ElEvPT1_S2_
    .private_segment_fixed_size: 0
    .sgpr_count:     18
    .sgpr_spill_count: 0
    .symbol:         _Z21exclusive_scan_kernelILj256ELN6hipcub18BlockScanAlgorithmE0ElEvPT1_S2_.kd
    .uniform_work_group_size: 1
    .uses_dynamic_stack: false
    .vgpr_count:     14
    .vgpr_spill_count: 0
    .wavefront_size: 32
    .workgroup_processor_mode: 1
  - .args:
      - .address_space:  global
        .offset:         0
        .size:           8
        .value_kind:     global_buffer
      - .offset:         8
        .size:           8
        .value_kind:     by_value
    .group_segment_fixed_size: 16
    .kernarg_segment_align: 8
    .kernarg_segment_size: 16
    .language:       OpenCL C
    .language_version:
      - 2
      - 0
    .max_flat_workgroup_size: 64
    .name:           _Z21exclusive_scan_kernelILj64ELN6hipcub18BlockScanAlgorithmE0ElEvPT1_S2_
    .private_segment_fixed_size: 0
    .sgpr_count:     18
    .sgpr_spill_count: 0
    .symbol:         _Z21exclusive_scan_kernelILj64ELN6hipcub18BlockScanAlgorithmE0ElEvPT1_S2_.kd
    .uniform_work_group_size: 1
    .uses_dynamic_stack: false
    .vgpr_count:     13
    .vgpr_spill_count: 0
    .wavefront_size: 32
    .workgroup_processor_mode: 1
  - .args:
      - .address_space:  global
        .offset:         0
        .size:           8
        .value_kind:     global_buffer
      - .offset:         8
        .size:           4
        .value_kind:     by_value
    .group_segment_fixed_size: 48
    .kernarg_segment_align: 8
    .kernarg_segment_size: 12
    .language:       OpenCL C
    .language_version:
      - 2
      - 0
    .max_flat_workgroup_size: 377
    .name:           _Z21exclusive_scan_kernelILj377ELN6hipcub18BlockScanAlgorithmE0EjEvPT1_S2_
    .private_segment_fixed_size: 0
    .sgpr_count:     18
    .sgpr_spill_count: 0
    .symbol:         _Z21exclusive_scan_kernelILj377ELN6hipcub18BlockScanAlgorithmE0EjEvPT1_S2_.kd
    .uniform_work_group_size: 1
    .uses_dynamic_stack: false
    .vgpr_count:     9
    .vgpr_spill_count: 0
    .wavefront_size: 32
    .workgroup_processor_mode: 1
  - .args:
      - .address_space:  global
        .offset:         0
        .size:           8
        .value_kind:     global_buffer
      - .offset:         8
        .size:           4
        .value_kind:     by_value
    .group_segment_fixed_size: 32
    .kernarg_segment_align: 8
    .kernarg_segment_size: 12
    .language:       OpenCL C
    .language_version:
      - 2
      - 0
    .max_flat_workgroup_size: 256
    .name:           _Z21exclusive_scan_kernelILj256ELN6hipcub18BlockScanAlgorithmE0EjEvPT1_S2_
    .private_segment_fixed_size: 0
    .sgpr_count:     18
    .sgpr_spill_count: 0
    .symbol:         _Z21exclusive_scan_kernelILj256ELN6hipcub18BlockScanAlgorithmE0EjEvPT1_S2_.kd
    .uniform_work_group_size: 1
    .uses_dynamic_stack: false
    .vgpr_count:     10
    .vgpr_spill_count: 0
    .wavefront_size: 32
    .workgroup_processor_mode: 1
  - .args:
      - .address_space:  global
        .offset:         0
        .size:           8
        .value_kind:     global_buffer
      - .offset:         8
        .size:           4
        .value_kind:     by_value
    .group_segment_fixed_size: 8
    .kernarg_segment_align: 8
    .kernarg_segment_size: 12
    .language:       OpenCL C
    .language_version:
      - 2
      - 0
    .max_flat_workgroup_size: 64
    .name:           _Z21exclusive_scan_kernelILj64ELN6hipcub18BlockScanAlgorithmE0EjEvPT1_S2_
    .private_segment_fixed_size: 0
    .sgpr_count:     18
    .sgpr_spill_count: 0
    .symbol:         _Z21exclusive_scan_kernelILj64ELN6hipcub18BlockScanAlgorithmE0EjEvPT1_S2_.kd
    .uniform_work_group_size: 1
    .uses_dynamic_stack: false
    .vgpr_count:     10
    .vgpr_spill_count: 0
    .wavefront_size: 32
    .workgroup_processor_mode: 1
  - .args:
      - .address_space:  global
        .offset:         0
        .size:           8
        .value_kind:     global_buffer
      - .offset:         8
        .size:           4
        .value_kind:     by_value
    .group_segment_fixed_size: 32
    .kernarg_segment_align: 8
    .kernarg_segment_size: 12
    .language:       OpenCL C
    .language_version:
      - 2
      - 0
    .max_flat_workgroup_size: 255
    .name:           _Z21exclusive_scan_kernelILj255ELN6hipcub18BlockScanAlgorithmE0EiEvPT1_S2_
    .private_segment_fixed_size: 0
    .sgpr_count:     18
    .sgpr_spill_count: 0
    .symbol:         _Z21exclusive_scan_kernelILj255ELN6hipcub18BlockScanAlgorithmE0EiEvPT1_S2_.kd
    .uniform_work_group_size: 1
    .uses_dynamic_stack: false
    .vgpr_count:     10
    .vgpr_spill_count: 0
    .wavefront_size: 32
    .workgroup_processor_mode: 1
  - .args:
      - .address_space:  global
        .offset:         0
        .size:           8
        .value_kind:     global_buffer
      - .offset:         8
        .size:           4
        .value_kind:     by_value
    .group_segment_fixed_size: 24
    .kernarg_segment_align: 8
    .kernarg_segment_size: 12
    .language:       OpenCL C
    .language_version:
      - 2
      - 0
    .max_flat_workgroup_size: 162
    .name:           _Z21exclusive_scan_kernelILj162ELN6hipcub18BlockScanAlgorithmE0EiEvPT1_S2_
    .private_segment_fixed_size: 0
    .sgpr_count:     18
    .sgpr_spill_count: 0
    .symbol:         _Z21exclusive_scan_kernelILj162ELN6hipcub18BlockScanAlgorithmE0EiEvPT1_S2_.kd
    .uniform_work_group_size: 1
    .uses_dynamic_stack: false
    .vgpr_count:     10
    .vgpr_spill_count: 0
    .wavefront_size: 32
    .workgroup_processor_mode: 1
  - .args:
      - .address_space:  global
        .offset:         0
        .size:           8
        .value_kind:     global_buffer
      - .offset:         8
        .size:           4
        .value_kind:     by_value
    .group_segment_fixed_size: 8
    .kernarg_segment_align: 8
    .kernarg_segment_size: 12
    .language:       OpenCL C
    .language_version:
      - 2
      - 0
    .max_flat_workgroup_size: 37
    .name:           _Z21exclusive_scan_kernelILj37ELN6hipcub18BlockScanAlgorithmE0EiEvPT1_S2_
    .private_segment_fixed_size: 0
    .sgpr_count:     18
    .sgpr_spill_count: 0
    .symbol:         _Z21exclusive_scan_kernelILj37ELN6hipcub18BlockScanAlgorithmE0EiEvPT1_S2_.kd
    .uniform_work_group_size: 1
    .uses_dynamic_stack: false
    .vgpr_count:     10
    .vgpr_spill_count: 0
    .wavefront_size: 32
    .workgroup_processor_mode: 1
  - .args:
      - .address_space:  global
        .offset:         0
        .size:           8
        .value_kind:     global_buffer
      - .offset:         8
        .size:           4
        .value_kind:     by_value
    .group_segment_fixed_size: 12
    .kernarg_segment_align: 8
    .kernarg_segment_size: 12
    .language:       OpenCL C
    .language_version:
      - 2
      - 0
    .max_flat_workgroup_size: 65
    .name:           _Z21exclusive_scan_kernelILj65ELN6hipcub18BlockScanAlgorithmE0EiEvPT1_S2_
    .private_segment_fixed_size: 0
    .sgpr_count:     18
    .sgpr_spill_count: 0
    .symbol:         _Z21exclusive_scan_kernelILj65ELN6hipcub18BlockScanAlgorithmE0EiEvPT1_S2_.kd
    .uniform_work_group_size: 1
    .uses_dynamic_stack: false
    .vgpr_count:     10
    .vgpr_spill_count: 0
    .wavefront_size: 32
    .workgroup_processor_mode: 1
  - .args:
      - .address_space:  global
        .offset:         0
        .size:           8
        .value_kind:     global_buffer
      - .offset:         8
        .size:           4
        .value_kind:     by_value
    .group_segment_fixed_size: 64
    .kernarg_segment_align: 8
    .kernarg_segment_size: 12
    .language:       OpenCL C
    .language_version:
      - 2
      - 0
    .max_flat_workgroup_size: 512
    .name:           _Z21exclusive_scan_kernelILj512ELN6hipcub18BlockScanAlgorithmE0EiEvPT1_S2_
    .private_segment_fixed_size: 0
    .sgpr_count:     18
    .sgpr_spill_count: 0
    .symbol:         _Z21exclusive_scan_kernelILj512ELN6hipcub18BlockScanAlgorithmE0EiEvPT1_S2_.kd
    .uniform_work_group_size: 1
    .uses_dynamic_stack: false
    .vgpr_count:     9
    .vgpr_spill_count: 0
    .wavefront_size: 32
    .workgroup_processor_mode: 1
  - .args:
      - .address_space:  global
        .offset:         0
        .size:           8
        .value_kind:     global_buffer
      - .offset:         8
        .size:           4
        .value_kind:     by_value
    .group_segment_fixed_size: 32
    .kernarg_segment_align: 8
    .kernarg_segment_size: 12
    .language:       OpenCL C
    .language_version:
      - 2
      - 0
    .max_flat_workgroup_size: 256
    .name:           _Z21exclusive_scan_kernelILj256ELN6hipcub18BlockScanAlgorithmE0EiEvPT1_S2_
    .private_segment_fixed_size: 0
    .sgpr_count:     18
    .sgpr_spill_count: 0
    .symbol:         _Z21exclusive_scan_kernelILj256ELN6hipcub18BlockScanAlgorithmE0EiEvPT1_S2_.kd
    .uniform_work_group_size: 1
    .uses_dynamic_stack: false
    .vgpr_count:     10
    .vgpr_spill_count: 0
    .wavefront_size: 32
    .workgroup_processor_mode: 1
  - .args:
      - .address_space:  global
        .offset:         0
        .size:           8
        .value_kind:     global_buffer
      - .offset:         8
        .size:           4
        .value_kind:     by_value
    .group_segment_fixed_size: 16
    .kernarg_segment_align: 8
    .kernarg_segment_size: 12
    .language:       OpenCL C
    .language_version:
      - 2
      - 0
    .max_flat_workgroup_size: 128
    .name:           _Z21exclusive_scan_kernelILj128ELN6hipcub18BlockScanAlgorithmE0EiEvPT1_S2_
    .private_segment_fixed_size: 0
    .sgpr_count:     18
    .sgpr_spill_count: 0
    .symbol:         _Z21exclusive_scan_kernelILj128ELN6hipcub18BlockScanAlgorithmE0EiEvPT1_S2_.kd
    .uniform_work_group_size: 1
    .uses_dynamic_stack: false
    .vgpr_count:     10
    .vgpr_spill_count: 0
    .wavefront_size: 32
    .workgroup_processor_mode: 1
  - .args:
      - .address_space:  global
        .offset:         0
        .size:           8
        .value_kind:     global_buffer
      - .offset:         8
        .size:           4
        .value_kind:     by_value
    .group_segment_fixed_size: 8
    .kernarg_segment_align: 8
    .kernarg_segment_size: 12
    .language:       OpenCL C
    .language_version:
      - 2
      - 0
    .max_flat_workgroup_size: 64
    .name:           _Z21exclusive_scan_kernelILj64ELN6hipcub18BlockScanAlgorithmE0EiEvPT1_S2_
    .private_segment_fixed_size: 0
    .sgpr_count:     18
    .sgpr_spill_count: 0
    .symbol:         _Z21exclusive_scan_kernelILj64ELN6hipcub18BlockScanAlgorithmE0EiEvPT1_S2_.kd
    .uniform_work_group_size: 1
    .uses_dynamic_stack: false
    .vgpr_count:     10
    .vgpr_spill_count: 0
    .wavefront_size: 32
    .workgroup_processor_mode: 1
  - .args:
      - .address_space:  global
        .offset:         0
        .size:           8
        .value_kind:     global_buffer
      - .address_space:  global
        .offset:         8
        .size:           8
        .value_kind:     global_buffer
      - .offset:         16
        .size:           1
        .value_kind:     by_value
    .group_segment_fixed_size: 384
    .kernarg_segment_align: 8
    .kernarg_segment_size: 20
    .language:       OpenCL C
    .language_version:
      - 2
      - 0
    .max_flat_workgroup_size: 377
    .name:           _Z28exclusive_scan_reduce_kernelILj377ELN6hipcub18BlockScanAlgorithmE1EhEvPT1_S3_S2_
    .private_segment_fixed_size: 0
    .sgpr_count:     18
    .sgpr_spill_count: 0
    .symbol:         _Z28exclusive_scan_reduce_kernelILj377ELN6hipcub18BlockScanAlgorithmE1EhEvPT1_S3_S2_.kd
    .uniform_work_group_size: 1
    .uses_dynamic_stack: false
    .vgpr_count:     22
    .vgpr_spill_count: 0
    .wavefront_size: 32
    .workgroup_processor_mode: 1
  - .args:
      - .address_space:  global
        .offset:         0
        .size:           8
        .value_kind:     global_buffer
      - .address_space:  global
        .offset:         8
        .size:           8
        .value_kind:     global_buffer
      - .offset:         16
        .size:           4
        .value_kind:     by_value
    .group_segment_fixed_size: 1536
    .kernarg_segment_align: 8
    .kernarg_segment_size: 20
    .language:       OpenCL C
    .language_version:
      - 2
      - 0
    .max_flat_workgroup_size: 377
    .name:           _Z28exclusive_scan_reduce_kernelILj377ELN6hipcub18BlockScanAlgorithmE1EiEvPT1_S3_S2_
    .private_segment_fixed_size: 0
    .sgpr_count:     18
    .sgpr_spill_count: 0
    .symbol:         _Z28exclusive_scan_reduce_kernelILj377ELN6hipcub18BlockScanAlgorithmE1EiEvPT1_S3_S2_.kd
    .uniform_work_group_size: 1
    .uses_dynamic_stack: false
    .vgpr_count:     23
    .vgpr_spill_count: 0
    .wavefront_size: 32
    .workgroup_processor_mode: 1
  - .args:
      - .address_space:  global
        .offset:         0
        .size:           8
        .value_kind:     global_buffer
      - .address_space:  global
        .offset:         8
        .size:           8
        .value_kind:     global_buffer
      - .offset:         16
        .size:           4
        .value_kind:     by_value
    .group_segment_fixed_size: 1056
    .kernarg_segment_align: 8
    .kernarg_segment_size: 20
    .language:       OpenCL C
    .language_version:
      - 2
      - 0
    .max_flat_workgroup_size: 255
    .name:           _Z28exclusive_scan_reduce_kernelILj255ELN6hipcub18BlockScanAlgorithmE1EjEvPT1_S3_S2_
    .private_segment_fixed_size: 0
    .sgpr_count:     18
    .sgpr_spill_count: 0
    .symbol:         _Z28exclusive_scan_reduce_kernelILj255ELN6hipcub18BlockScanAlgorithmE1EjEvPT1_S3_S2_.kd
    .uniform_work_group_size: 1
    .uses_dynamic_stack: false
    .vgpr_count:     18
    .vgpr_spill_count: 0
    .wavefront_size: 32
    .workgroup_processor_mode: 1
  - .args:
      - .address_space:  global
        .offset:         0
        .size:           8
        .value_kind:     global_buffer
      - .address_space:  global
        .offset:         8
        .size:           8
        .value_kind:     global_buffer
      - .offset:         16
        .size:           2
        .value_kind:     by_value
    .group_segment_fixed_size: 384
    .kernarg_segment_align: 8
    .kernarg_segment_size: 20
    .language:       OpenCL C
    .language_version:
      - 2
      - 0
    .max_flat_workgroup_size: 162
    .name:           _Z28exclusive_scan_reduce_kernelILj162ELN6hipcub18BlockScanAlgorithmE1EsEvPT1_S3_S2_
    .private_segment_fixed_size: 0
    .sgpr_count:     18
    .sgpr_spill_count: 0
    .symbol:         _Z28exclusive_scan_reduce_kernelILj162ELN6hipcub18BlockScanAlgorithmE1EsEvPT1_S3_S2_.kd
    .uniform_work_group_size: 1
    .uses_dynamic_stack: false
    .vgpr_count:     16
    .vgpr_spill_count: 0
    .wavefront_size: 32
    .workgroup_processor_mode: 1
  - .args:
      - .address_space:  global
        .offset:         0
        .size:           8
        .value_kind:     global_buffer
      - .address_space:  global
        .offset:         8
        .size:           8
        .value_kind:     global_buffer
      - .offset:         16
        .size:           8
        .value_kind:     by_value
    .group_segment_fixed_size: 528
    .kernarg_segment_align: 8
    .kernarg_segment_size: 24
    .language:       OpenCL C
    .language_version:
      - 2
      - 0
    .max_flat_workgroup_size: 37
    .name:           _Z28exclusive_scan_reduce_kernelILj37ELN6hipcub18BlockScanAlgorithmE1ElEvPT1_S3_S2_
    .private_segment_fixed_size: 0
    .sgpr_count:     18
    .sgpr_spill_count: 0
    .symbol:         _Z28exclusive_scan_reduce_kernelILj37ELN6hipcub18BlockScanAlgorithmE1ElEvPT1_S3_S2_.kd
    .uniform_work_group_size: 1
    .uses_dynamic_stack: false
    .vgpr_count:     19
    .vgpr_spill_count: 0
    .wavefront_size: 32
    .workgroup_processor_mode: 1
  - .args:
      - .address_space:  global
        .offset:         0
        .size:           8
        .value_kind:     global_buffer
      - .address_space:  global
        .offset:         8
        .size:           8
        .value_kind:     global_buffer
      - .offset:         16
        .size:           8
        .value_kind:     by_value
    .group_segment_fixed_size: 768
    .kernarg_segment_align: 8
    .kernarg_segment_size: 24
    .language:       OpenCL C
    .language_version:
      - 2
      - 0
    .max_flat_workgroup_size: 65
    .name:           _Z28exclusive_scan_reduce_kernelILj65ELN6hipcub18BlockScanAlgorithmE1EmEvPT1_S3_S2_
    .private_segment_fixed_size: 0
    .sgpr_count:     18
    .sgpr_spill_count: 0
    .symbol:         _Z28exclusive_scan_reduce_kernelILj65ELN6hipcub18BlockScanAlgorithmE1EmEvPT1_S3_S2_.kd
    .uniform_work_group_size: 1
    .uses_dynamic_stack: false
    .vgpr_count:     22
    .vgpr_spill_count: 0
    .wavefront_size: 32
    .workgroup_processor_mode: 1
  - .args:
      - .address_space:  global
        .offset:         0
        .size:           8
        .value_kind:     global_buffer
      - .address_space:  global
        .offset:         8
        .size:           8
        .value_kind:     global_buffer
      - .offset:         16
        .size:           4
        .value_kind:     by_value
    .group_segment_fixed_size: 2112
    .kernarg_segment_align: 8
    .kernarg_segment_size: 20
    .language:       OpenCL C
    .language_version:
      - 2
      - 0
    .max_flat_workgroup_size: 512
    .name:           _Z28exclusive_scan_reduce_kernelILj512ELN6hipcub18BlockScanAlgorithmE1EiEvPT1_S3_S2_
    .private_segment_fixed_size: 0
    .sgpr_count:     18
    .sgpr_spill_count: 0
    .symbol:         _Z28exclusive_scan_reduce_kernelILj512ELN6hipcub18BlockScanAlgorithmE1EiEvPT1_S3_S2_.kd
    .uniform_work_group_size: 1
    .uses_dynamic_stack: false
    .vgpr_count:     26
    .vgpr_spill_count: 0
    .wavefront_size: 32
    .workgroup_processor_mode: 1
  - .args:
      - .address_space:  global
        .offset:         0
        .size:           8
        .value_kind:     global_buffer
      - .address_space:  global
        .offset:         8
        .size:           8
        .value_kind:     global_buffer
      - .offset:         16
        .size:           4
        .value_kind:     by_value
    .group_segment_fixed_size: 1056
    .kernarg_segment_align: 8
    .kernarg_segment_size: 20
    .language:       OpenCL C
    .language_version:
      - 2
      - 0
    .max_flat_workgroup_size: 256
    .name:           _Z28exclusive_scan_reduce_kernelILj256ELN6hipcub18BlockScanAlgorithmE1EiEvPT1_S3_S2_
    .private_segment_fixed_size: 0
    .sgpr_count:     18
    .sgpr_spill_count: 0
    .symbol:         _Z28exclusive_scan_reduce_kernelILj256ELN6hipcub18BlockScanAlgorithmE1EiEvPT1_S3_S2_.kd
    .uniform_work_group_size: 1
    .uses_dynamic_stack: false
    .vgpr_count:     18
    .vgpr_spill_count: 0
    .wavefront_size: 32
    .workgroup_processor_mode: 1
  - .args:
      - .address_space:  global
        .offset:         0
        .size:           8
        .value_kind:     global_buffer
      - .address_space:  global
        .offset:         8
        .size:           8
        .value_kind:     global_buffer
      - .offset:         16
        .size:           4
        .value_kind:     by_value
    .group_segment_fixed_size: 528
    .kernarg_segment_align: 8
    .kernarg_segment_size: 20
    .language:       OpenCL C
    .language_version:
      - 2
      - 0
    .max_flat_workgroup_size: 128
    .name:           _Z28exclusive_scan_reduce_kernelILj128ELN6hipcub18BlockScanAlgorithmE1EiEvPT1_S3_S2_
    .private_segment_fixed_size: 0
    .sgpr_count:     18
    .sgpr_spill_count: 0
    .symbol:         _Z28exclusive_scan_reduce_kernelILj128ELN6hipcub18BlockScanAlgorithmE1EiEvPT1_S3_S2_.kd
    .uniform_work_group_size: 1
    .uses_dynamic_stack: false
    .vgpr_count:     14
    .vgpr_spill_count: 0
    .wavefront_size: 32
    .workgroup_processor_mode: 1
  - .args:
      - .address_space:  global
        .offset:         0
        .size:           8
        .value_kind:     global_buffer
      - .address_space:  global
        .offset:         8
        .size:           8
        .value_kind:     global_buffer
      - .offset:         16
        .size:           4
        .value_kind:     by_value
    .group_segment_fixed_size: 264
    .kernarg_segment_align: 8
    .kernarg_segment_size: 20
    .language:       OpenCL C
    .language_version:
      - 2
      - 0
    .max_flat_workgroup_size: 64
    .name:           _Z28exclusive_scan_reduce_kernelILj64ELN6hipcub18BlockScanAlgorithmE1EiEvPT1_S3_S2_
    .private_segment_fixed_size: 0
    .sgpr_count:     18
    .sgpr_spill_count: 0
    .symbol:         _Z28exclusive_scan_reduce_kernelILj64ELN6hipcub18BlockScanAlgorithmE1EiEvPT1_S3_S2_.kd
    .uniform_work_group_size: 1
    .uses_dynamic_stack: false
    .vgpr_count:     12
    .vgpr_spill_count: 0
    .wavefront_size: 32
    .workgroup_processor_mode: 1
  - .args:
      - .address_space:  global
        .offset:         0
        .size:           8
        .value_kind:     global_buffer
      - .address_space:  global
        .offset:         8
        .size:           8
        .value_kind:     global_buffer
      - .offset:         16
        .size:           8
        .value_kind:     by_value
    .group_segment_fixed_size: 96
    .kernarg_segment_align: 8
    .kernarg_segment_size: 24
    .language:       OpenCL C
    .language_version:
      - 2
      - 0
    .max_flat_workgroup_size: 377
    .name:           _Z28exclusive_scan_reduce_kernelILj377ELN6hipcub18BlockScanAlgorithmE0ElEvPT1_S3_S2_
    .private_segment_fixed_size: 0
    .sgpr_count:     18
    .sgpr_spill_count: 0
    .symbol:         _Z28exclusive_scan_reduce_kernelILj377ELN6hipcub18BlockScanAlgorithmE0ElEvPT1_S3_S2_.kd
    .uniform_work_group_size: 1
    .uses_dynamic_stack: false
    .vgpr_count:     13
    .vgpr_spill_count: 0
    .wavefront_size: 32
    .workgroup_processor_mode: 1
  - .args:
      - .address_space:  global
        .offset:         0
        .size:           8
        .value_kind:     global_buffer
      - .address_space:  global
        .offset:         8
        .size:           8
        .value_kind:     global_buffer
      - .offset:         16
        .size:           8
        .value_kind:     by_value
    .group_segment_fixed_size: 64
    .kernarg_segment_align: 8
    .kernarg_segment_size: 24
    .language:       OpenCL C
    .language_version:
      - 2
      - 0
    .max_flat_workgroup_size: 256
    .name:           _Z28exclusive_scan_reduce_kernelILj256ELN6hipcub18BlockScanAlgorithmE0ElEvPT1_S3_S2_
    .private_segment_fixed_size: 0
    .sgpr_count:     18
    .sgpr_spill_count: 0
    .symbol:         _Z28exclusive_scan_reduce_kernelILj256ELN6hipcub18BlockScanAlgorithmE0ElEvPT1_S3_S2_.kd
    .uniform_work_group_size: 1
    .uses_dynamic_stack: false
    .vgpr_count:     14
    .vgpr_spill_count: 0
    .wavefront_size: 32
    .workgroup_processor_mode: 1
  - .args:
      - .address_space:  global
        .offset:         0
        .size:           8
        .value_kind:     global_buffer
      - .address_space:  global
        .offset:         8
        .size:           8
        .value_kind:     global_buffer
      - .offset:         16
        .size:           8
        .value_kind:     by_value
    .group_segment_fixed_size: 16
    .kernarg_segment_align: 8
    .kernarg_segment_size: 24
    .language:       OpenCL C
    .language_version:
      - 2
      - 0
    .max_flat_workgroup_size: 64
    .name:           _Z28exclusive_scan_reduce_kernelILj64ELN6hipcub18BlockScanAlgorithmE0ElEvPT1_S3_S2_
    .private_segment_fixed_size: 0
    .sgpr_count:     18
    .sgpr_spill_count: 0
    .symbol:         _Z28exclusive_scan_reduce_kernelILj64ELN6hipcub18BlockScanAlgorithmE0ElEvPT1_S3_S2_.kd
    .uniform_work_group_size: 1
    .uses_dynamic_stack: false
    .vgpr_count:     13
    .vgpr_spill_count: 0
    .wavefront_size: 32
    .workgroup_processor_mode: 1
  - .args:
      - .address_space:  global
        .offset:         0
        .size:           8
        .value_kind:     global_buffer
      - .address_space:  global
        .offset:         8
        .size:           8
        .value_kind:     global_buffer
      - .offset:         16
        .size:           4
        .value_kind:     by_value
    .group_segment_fixed_size: 48
    .kernarg_segment_align: 8
    .kernarg_segment_size: 20
    .language:       OpenCL C
    .language_version:
      - 2
      - 0
    .max_flat_workgroup_size: 377
    .name:           _Z28exclusive_scan_reduce_kernelILj377ELN6hipcub18BlockScanAlgorithmE0EjEvPT1_S3_S2_
    .private_segment_fixed_size: 0
    .sgpr_count:     18
    .sgpr_spill_count: 0
    .symbol:         _Z28exclusive_scan_reduce_kernelILj377ELN6hipcub18BlockScanAlgorithmE0EjEvPT1_S3_S2_.kd
    .uniform_work_group_size: 1
    .uses_dynamic_stack: false
    .vgpr_count:     9
    .vgpr_spill_count: 0
    .wavefront_size: 32
    .workgroup_processor_mode: 1
  - .args:
      - .address_space:  global
        .offset:         0
        .size:           8
        .value_kind:     global_buffer
      - .address_space:  global
        .offset:         8
        .size:           8
        .value_kind:     global_buffer
      - .offset:         16
        .size:           4
        .value_kind:     by_value
    .group_segment_fixed_size: 32
    .kernarg_segment_align: 8
    .kernarg_segment_size: 20
    .language:       OpenCL C
    .language_version:
      - 2
      - 0
    .max_flat_workgroup_size: 256
    .name:           _Z28exclusive_scan_reduce_kernelILj256ELN6hipcub18BlockScanAlgorithmE0EjEvPT1_S3_S2_
    .private_segment_fixed_size: 0
    .sgpr_count:     18
    .sgpr_spill_count: 0
    .symbol:         _Z28exclusive_scan_reduce_kernelILj256ELN6hipcub18BlockScanAlgorithmE0EjEvPT1_S3_S2_.kd
    .uniform_work_group_size: 1
    .uses_dynamic_stack: false
    .vgpr_count:     10
    .vgpr_spill_count: 0
    .wavefront_size: 32
    .workgroup_processor_mode: 1
  - .args:
      - .address_space:  global
        .offset:         0
        .size:           8
        .value_kind:     global_buffer
      - .address_space:  global
        .offset:         8
        .size:           8
        .value_kind:     global_buffer
      - .offset:         16
        .size:           4
        .value_kind:     by_value
    .group_segment_fixed_size: 8
    .kernarg_segment_align: 8
    .kernarg_segment_size: 20
    .language:       OpenCL C
    .language_version:
      - 2
      - 0
    .max_flat_workgroup_size: 64
    .name:           _Z28exclusive_scan_reduce_kernelILj64ELN6hipcub18BlockScanAlgorithmE0EjEvPT1_S3_S2_
    .private_segment_fixed_size: 0
    .sgpr_count:     18
    .sgpr_spill_count: 0
    .symbol:         _Z28exclusive_scan_reduce_kernelILj64ELN6hipcub18BlockScanAlgorithmE0EjEvPT1_S3_S2_.kd
    .uniform_work_group_size: 1
    .uses_dynamic_stack: false
    .vgpr_count:     10
    .vgpr_spill_count: 0
    .wavefront_size: 32
    .workgroup_processor_mode: 1
  - .args:
      - .address_space:  global
        .offset:         0
        .size:           8
        .value_kind:     global_buffer
      - .address_space:  global
        .offset:         8
        .size:           8
        .value_kind:     global_buffer
      - .offset:         16
        .size:           4
        .value_kind:     by_value
    .group_segment_fixed_size: 32
    .kernarg_segment_align: 8
    .kernarg_segment_size: 20
    .language:       OpenCL C
    .language_version:
      - 2
      - 0
    .max_flat_workgroup_size: 255
    .name:           _Z28exclusive_scan_reduce_kernelILj255ELN6hipcub18BlockScanAlgorithmE0EiEvPT1_S3_S2_
    .private_segment_fixed_size: 0
    .sgpr_count:     18
    .sgpr_spill_count: 0
    .symbol:         _Z28exclusive_scan_reduce_kernelILj255ELN6hipcub18BlockScanAlgorithmE0EiEvPT1_S3_S2_.kd
    .uniform_work_group_size: 1
    .uses_dynamic_stack: false
    .vgpr_count:     10
    .vgpr_spill_count: 0
    .wavefront_size: 32
    .workgroup_processor_mode: 1
  - .args:
      - .address_space:  global
        .offset:         0
        .size:           8
        .value_kind:     global_buffer
      - .address_space:  global
        .offset:         8
        .size:           8
        .value_kind:     global_buffer
      - .offset:         16
        .size:           4
        .value_kind:     by_value
    .group_segment_fixed_size: 24
    .kernarg_segment_align: 8
    .kernarg_segment_size: 20
    .language:       OpenCL C
    .language_version:
      - 2
      - 0
    .max_flat_workgroup_size: 162
    .name:           _Z28exclusive_scan_reduce_kernelILj162ELN6hipcub18BlockScanAlgorithmE0EiEvPT1_S3_S2_
    .private_segment_fixed_size: 0
    .sgpr_count:     18
    .sgpr_spill_count: 0
    .symbol:         _Z28exclusive_scan_reduce_kernelILj162ELN6hipcub18BlockScanAlgorithmE0EiEvPT1_S3_S2_.kd
    .uniform_work_group_size: 1
    .uses_dynamic_stack: false
    .vgpr_count:     10
    .vgpr_spill_count: 0
    .wavefront_size: 32
    .workgroup_processor_mode: 1
  - .args:
      - .address_space:  global
        .offset:         0
        .size:           8
        .value_kind:     global_buffer
      - .address_space:  global
        .offset:         8
        .size:           8
        .value_kind:     global_buffer
      - .offset:         16
        .size:           4
        .value_kind:     by_value
    .group_segment_fixed_size: 8
    .kernarg_segment_align: 8
    .kernarg_segment_size: 20
    .language:       OpenCL C
    .language_version:
      - 2
      - 0
    .max_flat_workgroup_size: 37
    .name:           _Z28exclusive_scan_reduce_kernelILj37ELN6hipcub18BlockScanAlgorithmE0EiEvPT1_S3_S2_
    .private_segment_fixed_size: 0
    .sgpr_count:     18
    .sgpr_spill_count: 0
    .symbol:         _Z28exclusive_scan_reduce_kernelILj37ELN6hipcub18BlockScanAlgorithmE0EiEvPT1_S3_S2_.kd
    .uniform_work_group_size: 1
    .uses_dynamic_stack: false
    .vgpr_count:     10
    .vgpr_spill_count: 0
    .wavefront_size: 32
    .workgroup_processor_mode: 1
  - .args:
      - .address_space:  global
        .offset:         0
        .size:           8
        .value_kind:     global_buffer
      - .address_space:  global
        .offset:         8
        .size:           8
        .value_kind:     global_buffer
      - .offset:         16
        .size:           4
        .value_kind:     by_value
    .group_segment_fixed_size: 12
    .kernarg_segment_align: 8
    .kernarg_segment_size: 20
    .language:       OpenCL C
    .language_version:
      - 2
      - 0
    .max_flat_workgroup_size: 65
    .name:           _Z28exclusive_scan_reduce_kernelILj65ELN6hipcub18BlockScanAlgorithmE0EiEvPT1_S3_S2_
    .private_segment_fixed_size: 0
    .sgpr_count:     18
    .sgpr_spill_count: 0
    .symbol:         _Z28exclusive_scan_reduce_kernelILj65ELN6hipcub18BlockScanAlgorithmE0EiEvPT1_S3_S2_.kd
    .uniform_work_group_size: 1
    .uses_dynamic_stack: false
    .vgpr_count:     10
    .vgpr_spill_count: 0
    .wavefront_size: 32
    .workgroup_processor_mode: 1
  - .args:
      - .address_space:  global
        .offset:         0
        .size:           8
        .value_kind:     global_buffer
      - .address_space:  global
        .offset:         8
        .size:           8
        .value_kind:     global_buffer
      - .offset:         16
        .size:           4
        .value_kind:     by_value
    .group_segment_fixed_size: 64
    .kernarg_segment_align: 8
    .kernarg_segment_size: 20
    .language:       OpenCL C
    .language_version:
      - 2
      - 0
    .max_flat_workgroup_size: 512
    .name:           _Z28exclusive_scan_reduce_kernelILj512ELN6hipcub18BlockScanAlgorithmE0EiEvPT1_S3_S2_
    .private_segment_fixed_size: 0
    .sgpr_count:     18
    .sgpr_spill_count: 0
    .symbol:         _Z28exclusive_scan_reduce_kernelILj512ELN6hipcub18BlockScanAlgorithmE0EiEvPT1_S3_S2_.kd
    .uniform_work_group_size: 1
    .uses_dynamic_stack: false
    .vgpr_count:     9
    .vgpr_spill_count: 0
    .wavefront_size: 32
    .workgroup_processor_mode: 1
  - .args:
      - .address_space:  global
        .offset:         0
        .size:           8
        .value_kind:     global_buffer
      - .address_space:  global
        .offset:         8
        .size:           8
        .value_kind:     global_buffer
      - .offset:         16
        .size:           4
        .value_kind:     by_value
    .group_segment_fixed_size: 32
    .kernarg_segment_align: 8
    .kernarg_segment_size: 20
    .language:       OpenCL C
    .language_version:
      - 2
      - 0
    .max_flat_workgroup_size: 256
    .name:           _Z28exclusive_scan_reduce_kernelILj256ELN6hipcub18BlockScanAlgorithmE0EiEvPT1_S3_S2_
    .private_segment_fixed_size: 0
    .sgpr_count:     18
    .sgpr_spill_count: 0
    .symbol:         _Z28exclusive_scan_reduce_kernelILj256ELN6hipcub18BlockScanAlgorithmE0EiEvPT1_S3_S2_.kd
    .uniform_work_group_size: 1
    .uses_dynamic_stack: false
    .vgpr_count:     10
    .vgpr_spill_count: 0
    .wavefront_size: 32
    .workgroup_processor_mode: 1
  - .args:
      - .address_space:  global
        .offset:         0
        .size:           8
        .value_kind:     global_buffer
      - .address_space:  global
        .offset:         8
        .size:           8
        .value_kind:     global_buffer
      - .offset:         16
        .size:           4
        .value_kind:     by_value
    .group_segment_fixed_size: 16
    .kernarg_segment_align: 8
    .kernarg_segment_size: 20
    .language:       OpenCL C
    .language_version:
      - 2
      - 0
    .max_flat_workgroup_size: 128
    .name:           _Z28exclusive_scan_reduce_kernelILj128ELN6hipcub18BlockScanAlgorithmE0EiEvPT1_S3_S2_
    .private_segment_fixed_size: 0
    .sgpr_count:     18
    .sgpr_spill_count: 0
    .symbol:         _Z28exclusive_scan_reduce_kernelILj128ELN6hipcub18BlockScanAlgorithmE0EiEvPT1_S3_S2_.kd
    .uniform_work_group_size: 1
    .uses_dynamic_stack: false
    .vgpr_count:     10
    .vgpr_spill_count: 0
    .wavefront_size: 32
    .workgroup_processor_mode: 1
  - .args:
      - .address_space:  global
        .offset:         0
        .size:           8
        .value_kind:     global_buffer
      - .address_space:  global
        .offset:         8
        .size:           8
        .value_kind:     global_buffer
      - .offset:         16
        .size:           4
        .value_kind:     by_value
    .group_segment_fixed_size: 8
    .kernarg_segment_align: 8
    .kernarg_segment_size: 20
    .language:       OpenCL C
    .language_version:
      - 2
      - 0
    .max_flat_workgroup_size: 64
    .name:           _Z28exclusive_scan_reduce_kernelILj64ELN6hipcub18BlockScanAlgorithmE0EiEvPT1_S3_S2_
    .private_segment_fixed_size: 0
    .sgpr_count:     18
    .sgpr_spill_count: 0
    .symbol:         _Z28exclusive_scan_reduce_kernelILj64ELN6hipcub18BlockScanAlgorithmE0EiEvPT1_S3_S2_.kd
    .uniform_work_group_size: 1
    .uses_dynamic_stack: false
    .vgpr_count:     10
    .vgpr_spill_count: 0
    .wavefront_size: 32
    .workgroup_processor_mode: 1
  - .args:
      - .address_space:  global
        .offset:         0
        .size:           8
        .value_kind:     global_buffer
      - .address_space:  global
        .offset:         8
        .size:           8
        .value_kind:     global_buffer
      - .offset:         16
        .size:           1
        .value_kind:     by_value
    .group_segment_fixed_size: 384
    .kernarg_segment_align: 8
    .kernarg_segment_size: 20
    .language:       OpenCL C
    .language_version:
      - 2
      - 0
    .max_flat_workgroup_size: 377
    .name:           _Z37exclusive_scan_prefix_callback_kernelILj377ELN6hipcub18BlockScanAlgorithmE1EhEvPT1_S3_S2_
    .private_segment_fixed_size: 0
    .sgpr_count:     18
    .sgpr_spill_count: 0
    .symbol:         _Z37exclusive_scan_prefix_callback_kernelILj377ELN6hipcub18BlockScanAlgorithmE1EhEvPT1_S3_S2_.kd
    .uniform_work_group_size: 1
    .uses_dynamic_stack: false
    .vgpr_count:     22
    .vgpr_spill_count: 0
    .wavefront_size: 32
    .workgroup_processor_mode: 1
  - .args:
      - .address_space:  global
        .offset:         0
        .size:           8
        .value_kind:     global_buffer
      - .address_space:  global
        .offset:         8
        .size:           8
        .value_kind:     global_buffer
      - .offset:         16
        .size:           4
        .value_kind:     by_value
    .group_segment_fixed_size: 1536
    .kernarg_segment_align: 8
    .kernarg_segment_size: 20
    .language:       OpenCL C
    .language_version:
      - 2
      - 0
    .max_flat_workgroup_size: 377
    .name:           _Z37exclusive_scan_prefix_callback_kernelILj377ELN6hipcub18BlockScanAlgorithmE1EiEvPT1_S3_S2_
    .private_segment_fixed_size: 0
    .sgpr_count:     18
    .sgpr_spill_count: 0
    .symbol:         _Z37exclusive_scan_prefix_callback_kernelILj377ELN6hipcub18BlockScanAlgorithmE1EiEvPT1_S3_S2_.kd
    .uniform_work_group_size: 1
    .uses_dynamic_stack: false
    .vgpr_count:     24
    .vgpr_spill_count: 0
    .wavefront_size: 32
    .workgroup_processor_mode: 1
  - .args:
      - .address_space:  global
        .offset:         0
        .size:           8
        .value_kind:     global_buffer
      - .address_space:  global
        .offset:         8
        .size:           8
        .value_kind:     global_buffer
      - .offset:         16
        .size:           4
        .value_kind:     by_value
    .group_segment_fixed_size: 1056
    .kernarg_segment_align: 8
    .kernarg_segment_size: 20
    .language:       OpenCL C
    .language_version:
      - 2
      - 0
    .max_flat_workgroup_size: 255
    .name:           _Z37exclusive_scan_prefix_callback_kernelILj255ELN6hipcub18BlockScanAlgorithmE1EjEvPT1_S3_S2_
    .private_segment_fixed_size: 0
    .sgpr_count:     18
    .sgpr_spill_count: 0
    .symbol:         _Z37exclusive_scan_prefix_callback_kernelILj255ELN6hipcub18BlockScanAlgorithmE1EjEvPT1_S3_S2_.kd
    .uniform_work_group_size: 1
    .uses_dynamic_stack: false
    .vgpr_count:     19
    .vgpr_spill_count: 0
    .wavefront_size: 32
    .workgroup_processor_mode: 1
  - .args:
      - .address_space:  global
        .offset:         0
        .size:           8
        .value_kind:     global_buffer
      - .address_space:  global
        .offset:         8
        .size:           8
        .value_kind:     global_buffer
      - .offset:         16
        .size:           2
        .value_kind:     by_value
    .group_segment_fixed_size: 384
    .kernarg_segment_align: 8
    .kernarg_segment_size: 20
    .language:       OpenCL C
    .language_version:
      - 2
      - 0
    .max_flat_workgroup_size: 162
    .name:           _Z37exclusive_scan_prefix_callback_kernelILj162ELN6hipcub18BlockScanAlgorithmE1EsEvPT1_S3_S2_
    .private_segment_fixed_size: 0
    .sgpr_count:     18
    .sgpr_spill_count: 0
    .symbol:         _Z37exclusive_scan_prefix_callback_kernelILj162ELN6hipcub18BlockScanAlgorithmE1EsEvPT1_S3_S2_.kd
    .uniform_work_group_size: 1
    .uses_dynamic_stack: false
    .vgpr_count:     17
    .vgpr_spill_count: 0
    .wavefront_size: 32
    .workgroup_processor_mode: 1
  - .args:
      - .address_space:  global
        .offset:         0
        .size:           8
        .value_kind:     global_buffer
      - .address_space:  global
        .offset:         8
        .size:           8
        .value_kind:     global_buffer
      - .offset:         16
        .size:           8
        .value_kind:     by_value
    .group_segment_fixed_size: 528
    .kernarg_segment_align: 8
    .kernarg_segment_size: 24
    .language:       OpenCL C
    .language_version:
      - 2
      - 0
    .max_flat_workgroup_size: 37
    .name:           _Z37exclusive_scan_prefix_callback_kernelILj37ELN6hipcub18BlockScanAlgorithmE1ElEvPT1_S3_S2_
    .private_segment_fixed_size: 0
    .sgpr_count:     18
    .sgpr_spill_count: 0
    .symbol:         _Z37exclusive_scan_prefix_callback_kernelILj37ELN6hipcub18BlockScanAlgorithmE1ElEvPT1_S3_S2_.kd
    .uniform_work_group_size: 1
    .uses_dynamic_stack: false
    .vgpr_count:     19
    .vgpr_spill_count: 0
    .wavefront_size: 32
    .workgroup_processor_mode: 1
  - .args:
      - .address_space:  global
        .offset:         0
        .size:           8
        .value_kind:     global_buffer
      - .address_space:  global
        .offset:         8
        .size:           8
        .value_kind:     global_buffer
      - .offset:         16
        .size:           8
        .value_kind:     by_value
    .group_segment_fixed_size: 768
    .kernarg_segment_align: 8
    .kernarg_segment_size: 24
    .language:       OpenCL C
    .language_version:
      - 2
      - 0
    .max_flat_workgroup_size: 65
    .name:           _Z37exclusive_scan_prefix_callback_kernelILj65ELN6hipcub18BlockScanAlgorithmE1EmEvPT1_S3_S2_
    .private_segment_fixed_size: 0
    .sgpr_count:     18
    .sgpr_spill_count: 0
    .symbol:         _Z37exclusive_scan_prefix_callback_kernelILj65ELN6hipcub18BlockScanAlgorithmE1EmEvPT1_S3_S2_.kd
    .uniform_work_group_size: 1
    .uses_dynamic_stack: false
    .vgpr_count:     22
    .vgpr_spill_count: 0
    .wavefront_size: 32
    .workgroup_processor_mode: 1
  - .args:
      - .address_space:  global
        .offset:         0
        .size:           8
        .value_kind:     global_buffer
      - .address_space:  global
        .offset:         8
        .size:           8
        .value_kind:     global_buffer
      - .offset:         16
        .size:           4
        .value_kind:     by_value
    .group_segment_fixed_size: 2112
    .kernarg_segment_align: 8
    .kernarg_segment_size: 20
    .language:       OpenCL C
    .language_version:
      - 2
      - 0
    .max_flat_workgroup_size: 512
    .name:           _Z37exclusive_scan_prefix_callback_kernelILj512ELN6hipcub18BlockScanAlgorithmE1EiEvPT1_S3_S2_
    .private_segment_fixed_size: 0
    .sgpr_count:     18
    .sgpr_spill_count: 0
    .symbol:         _Z37exclusive_scan_prefix_callback_kernelILj512ELN6hipcub18BlockScanAlgorithmE1EiEvPT1_S3_S2_.kd
    .uniform_work_group_size: 1
    .uses_dynamic_stack: false
    .vgpr_count:     27
    .vgpr_spill_count: 0
    .wavefront_size: 32
    .workgroup_processor_mode: 1
  - .args:
      - .address_space:  global
        .offset:         0
        .size:           8
        .value_kind:     global_buffer
      - .address_space:  global
        .offset:         8
        .size:           8
        .value_kind:     global_buffer
      - .offset:         16
        .size:           4
        .value_kind:     by_value
    .group_segment_fixed_size: 1056
    .kernarg_segment_align: 8
    .kernarg_segment_size: 20
    .language:       OpenCL C
    .language_version:
      - 2
      - 0
    .max_flat_workgroup_size: 256
    .name:           _Z37exclusive_scan_prefix_callback_kernelILj256ELN6hipcub18BlockScanAlgorithmE1EiEvPT1_S3_S2_
    .private_segment_fixed_size: 0
    .sgpr_count:     18
    .sgpr_spill_count: 0
    .symbol:         _Z37exclusive_scan_prefix_callback_kernelILj256ELN6hipcub18BlockScanAlgorithmE1EiEvPT1_S3_S2_.kd
    .uniform_work_group_size: 1
    .uses_dynamic_stack: false
    .vgpr_count:     19
    .vgpr_spill_count: 0
    .wavefront_size: 32
    .workgroup_processor_mode: 1
  - .args:
      - .address_space:  global
        .offset:         0
        .size:           8
        .value_kind:     global_buffer
      - .address_space:  global
        .offset:         8
        .size:           8
        .value_kind:     global_buffer
      - .offset:         16
        .size:           4
        .value_kind:     by_value
    .group_segment_fixed_size: 528
    .kernarg_segment_align: 8
    .kernarg_segment_size: 20
    .language:       OpenCL C
    .language_version:
      - 2
      - 0
    .max_flat_workgroup_size: 128
    .name:           _Z37exclusive_scan_prefix_callback_kernelILj128ELN6hipcub18BlockScanAlgorithmE1EiEvPT1_S3_S2_
    .private_segment_fixed_size: 0
    .sgpr_count:     18
    .sgpr_spill_count: 0
    .symbol:         _Z37exclusive_scan_prefix_callback_kernelILj128ELN6hipcub18BlockScanAlgorithmE1EiEvPT1_S3_S2_.kd
    .uniform_work_group_size: 1
    .uses_dynamic_stack: false
    .vgpr_count:     15
    .vgpr_spill_count: 0
    .wavefront_size: 32
    .workgroup_processor_mode: 1
  - .args:
      - .address_space:  global
        .offset:         0
        .size:           8
        .value_kind:     global_buffer
      - .address_space:  global
        .offset:         8
        .size:           8
        .value_kind:     global_buffer
      - .offset:         16
        .size:           4
        .value_kind:     by_value
    .group_segment_fixed_size: 264
    .kernarg_segment_align: 8
    .kernarg_segment_size: 20
    .language:       OpenCL C
    .language_version:
      - 2
      - 0
    .max_flat_workgroup_size: 64
    .name:           _Z37exclusive_scan_prefix_callback_kernelILj64ELN6hipcub18BlockScanAlgorithmE1EiEvPT1_S3_S2_
    .private_segment_fixed_size: 0
    .sgpr_count:     18
    .sgpr_spill_count: 0
    .symbol:         _Z37exclusive_scan_prefix_callback_kernelILj64ELN6hipcub18BlockScanAlgorithmE1EiEvPT1_S3_S2_.kd
    .uniform_work_group_size: 1
    .uses_dynamic_stack: false
    .vgpr_count:     13
    .vgpr_spill_count: 0
    .wavefront_size: 32
    .workgroup_processor_mode: 1
  - .args:
      - .address_space:  global
        .offset:         0
        .size:           8
        .value_kind:     global_buffer
      - .address_space:  global
        .offset:         8
        .size:           8
        .value_kind:     global_buffer
      - .offset:         16
        .size:           8
        .value_kind:     by_value
    .group_segment_fixed_size: 96
    .kernarg_segment_align: 8
    .kernarg_segment_size: 24
    .language:       OpenCL C
    .language_version:
      - 2
      - 0
    .max_flat_workgroup_size: 377
    .name:           _Z37exclusive_scan_prefix_callback_kernelILj377ELN6hipcub18BlockScanAlgorithmE0ElEvPT1_S3_S2_
    .private_segment_fixed_size: 0
    .sgpr_count:     18
    .sgpr_spill_count: 0
    .symbol:         _Z37exclusive_scan_prefix_callback_kernelILj377ELN6hipcub18BlockScanAlgorithmE0ElEvPT1_S3_S2_.kd
    .uniform_work_group_size: 1
    .uses_dynamic_stack: false
    .vgpr_count:     13
    .vgpr_spill_count: 0
    .wavefront_size: 32
    .workgroup_processor_mode: 1
  - .args:
      - .address_space:  global
        .offset:         0
        .size:           8
        .value_kind:     global_buffer
      - .address_space:  global
        .offset:         8
        .size:           8
        .value_kind:     global_buffer
      - .offset:         16
        .size:           8
        .value_kind:     by_value
    .group_segment_fixed_size: 64
    .kernarg_segment_align: 8
    .kernarg_segment_size: 24
    .language:       OpenCL C
    .language_version:
      - 2
      - 0
    .max_flat_workgroup_size: 256
    .name:           _Z37exclusive_scan_prefix_callback_kernelILj256ELN6hipcub18BlockScanAlgorithmE0ElEvPT1_S3_S2_
    .private_segment_fixed_size: 0
    .sgpr_count:     18
    .sgpr_spill_count: 0
    .symbol:         _Z37exclusive_scan_prefix_callback_kernelILj256ELN6hipcub18BlockScanAlgorithmE0ElEvPT1_S3_S2_.kd
    .uniform_work_group_size: 1
    .uses_dynamic_stack: false
    .vgpr_count:     14
    .vgpr_spill_count: 0
    .wavefront_size: 32
    .workgroup_processor_mode: 1
  - .args:
      - .address_space:  global
        .offset:         0
        .size:           8
        .value_kind:     global_buffer
      - .address_space:  global
        .offset:         8
        .size:           8
        .value_kind:     global_buffer
      - .offset:         16
        .size:           8
        .value_kind:     by_value
    .group_segment_fixed_size: 16
    .kernarg_segment_align: 8
    .kernarg_segment_size: 24
    .language:       OpenCL C
    .language_version:
      - 2
      - 0
    .max_flat_workgroup_size: 64
    .name:           _Z37exclusive_scan_prefix_callback_kernelILj64ELN6hipcub18BlockScanAlgorithmE0ElEvPT1_S3_S2_
    .private_segment_fixed_size: 0
    .sgpr_count:     18
    .sgpr_spill_count: 0
    .symbol:         _Z37exclusive_scan_prefix_callback_kernelILj64ELN6hipcub18BlockScanAlgorithmE0ElEvPT1_S3_S2_.kd
    .uniform_work_group_size: 1
    .uses_dynamic_stack: false
    .vgpr_count:     13
    .vgpr_spill_count: 0
    .wavefront_size: 32
    .workgroup_processor_mode: 1
  - .args:
      - .address_space:  global
        .offset:         0
        .size:           8
        .value_kind:     global_buffer
      - .address_space:  global
        .offset:         8
        .size:           8
        .value_kind:     global_buffer
      - .offset:         16
        .size:           4
        .value_kind:     by_value
    .group_segment_fixed_size: 48
    .kernarg_segment_align: 8
    .kernarg_segment_size: 20
    .language:       OpenCL C
    .language_version:
      - 2
      - 0
    .max_flat_workgroup_size: 377
    .name:           _Z37exclusive_scan_prefix_callback_kernelILj377ELN6hipcub18BlockScanAlgorithmE0EjEvPT1_S3_S2_
    .private_segment_fixed_size: 0
    .sgpr_count:     18
    .sgpr_spill_count: 0
    .symbol:         _Z37exclusive_scan_prefix_callback_kernelILj377ELN6hipcub18BlockScanAlgorithmE0EjEvPT1_S3_S2_.kd
    .uniform_work_group_size: 1
    .uses_dynamic_stack: false
    .vgpr_count:     9
    .vgpr_spill_count: 0
    .wavefront_size: 32
    .workgroup_processor_mode: 1
  - .args:
      - .address_space:  global
        .offset:         0
        .size:           8
        .value_kind:     global_buffer
      - .address_space:  global
        .offset:         8
        .size:           8
        .value_kind:     global_buffer
      - .offset:         16
        .size:           4
        .value_kind:     by_value
    .group_segment_fixed_size: 32
    .kernarg_segment_align: 8
    .kernarg_segment_size: 20
    .language:       OpenCL C
    .language_version:
      - 2
      - 0
    .max_flat_workgroup_size: 256
    .name:           _Z37exclusive_scan_prefix_callback_kernelILj256ELN6hipcub18BlockScanAlgorithmE0EjEvPT1_S3_S2_
    .private_segment_fixed_size: 0
    .sgpr_count:     18
    .sgpr_spill_count: 0
    .symbol:         _Z37exclusive_scan_prefix_callback_kernelILj256ELN6hipcub18BlockScanAlgorithmE0EjEvPT1_S3_S2_.kd
    .uniform_work_group_size: 1
    .uses_dynamic_stack: false
    .vgpr_count:     10
    .vgpr_spill_count: 0
    .wavefront_size: 32
    .workgroup_processor_mode: 1
  - .args:
      - .address_space:  global
        .offset:         0
        .size:           8
        .value_kind:     global_buffer
      - .address_space:  global
        .offset:         8
        .size:           8
        .value_kind:     global_buffer
      - .offset:         16
        .size:           4
        .value_kind:     by_value
    .group_segment_fixed_size: 8
    .kernarg_segment_align: 8
    .kernarg_segment_size: 20
    .language:       OpenCL C
    .language_version:
      - 2
      - 0
    .max_flat_workgroup_size: 64
    .name:           _Z37exclusive_scan_prefix_callback_kernelILj64ELN6hipcub18BlockScanAlgorithmE0EjEvPT1_S3_S2_
    .private_segment_fixed_size: 0
    .sgpr_count:     18
    .sgpr_spill_count: 0
    .symbol:         _Z37exclusive_scan_prefix_callback_kernelILj64ELN6hipcub18BlockScanAlgorithmE0EjEvPT1_S3_S2_.kd
    .uniform_work_group_size: 1
    .uses_dynamic_stack: false
    .vgpr_count:     10
    .vgpr_spill_count: 0
    .wavefront_size: 32
    .workgroup_processor_mode: 1
  - .args:
      - .address_space:  global
        .offset:         0
        .size:           8
        .value_kind:     global_buffer
      - .address_space:  global
        .offset:         8
        .size:           8
        .value_kind:     global_buffer
      - .offset:         16
        .size:           4
        .value_kind:     by_value
    .group_segment_fixed_size: 32
    .kernarg_segment_align: 8
    .kernarg_segment_size: 20
    .language:       OpenCL C
    .language_version:
      - 2
      - 0
    .max_flat_workgroup_size: 255
    .name:           _Z37exclusive_scan_prefix_callback_kernelILj255ELN6hipcub18BlockScanAlgorithmE0EiEvPT1_S3_S2_
    .private_segment_fixed_size: 0
    .sgpr_count:     18
    .sgpr_spill_count: 0
    .symbol:         _Z37exclusive_scan_prefix_callback_kernelILj255ELN6hipcub18BlockScanAlgorithmE0EiEvPT1_S3_S2_.kd
    .uniform_work_group_size: 1
    .uses_dynamic_stack: false
    .vgpr_count:     10
    .vgpr_spill_count: 0
    .wavefront_size: 32
    .workgroup_processor_mode: 1
  - .args:
      - .address_space:  global
        .offset:         0
        .size:           8
        .value_kind:     global_buffer
      - .address_space:  global
        .offset:         8
        .size:           8
        .value_kind:     global_buffer
      - .offset:         16
        .size:           4
        .value_kind:     by_value
    .group_segment_fixed_size: 24
    .kernarg_segment_align: 8
    .kernarg_segment_size: 20
    .language:       OpenCL C
    .language_version:
      - 2
      - 0
    .max_flat_workgroup_size: 162
    .name:           _Z37exclusive_scan_prefix_callback_kernelILj162ELN6hipcub18BlockScanAlgorithmE0EiEvPT1_S3_S2_
    .private_segment_fixed_size: 0
    .sgpr_count:     18
    .sgpr_spill_count: 0
    .symbol:         _Z37exclusive_scan_prefix_callback_kernelILj162ELN6hipcub18BlockScanAlgorithmE0EiEvPT1_S3_S2_.kd
    .uniform_work_group_size: 1
    .uses_dynamic_stack: false
    .vgpr_count:     10
    .vgpr_spill_count: 0
    .wavefront_size: 32
    .workgroup_processor_mode: 1
  - .args:
      - .address_space:  global
        .offset:         0
        .size:           8
        .value_kind:     global_buffer
      - .address_space:  global
        .offset:         8
        .size:           8
        .value_kind:     global_buffer
      - .offset:         16
        .size:           4
        .value_kind:     by_value
    .group_segment_fixed_size: 8
    .kernarg_segment_align: 8
    .kernarg_segment_size: 20
    .language:       OpenCL C
    .language_version:
      - 2
      - 0
    .max_flat_workgroup_size: 37
    .name:           _Z37exclusive_scan_prefix_callback_kernelILj37ELN6hipcub18BlockScanAlgorithmE0EiEvPT1_S3_S2_
    .private_segment_fixed_size: 0
    .sgpr_count:     18
    .sgpr_spill_count: 0
    .symbol:         _Z37exclusive_scan_prefix_callback_kernelILj37ELN6hipcub18BlockScanAlgorithmE0EiEvPT1_S3_S2_.kd
    .uniform_work_group_size: 1
    .uses_dynamic_stack: false
    .vgpr_count:     10
    .vgpr_spill_count: 0
    .wavefront_size: 32
    .workgroup_processor_mode: 1
  - .args:
      - .address_space:  global
        .offset:         0
        .size:           8
        .value_kind:     global_buffer
      - .address_space:  global
        .offset:         8
        .size:           8
        .value_kind:     global_buffer
      - .offset:         16
        .size:           4
        .value_kind:     by_value
    .group_segment_fixed_size: 12
    .kernarg_segment_align: 8
    .kernarg_segment_size: 20
    .language:       OpenCL C
    .language_version:
      - 2
      - 0
    .max_flat_workgroup_size: 65
    .name:           _Z37exclusive_scan_prefix_callback_kernelILj65ELN6hipcub18BlockScanAlgorithmE0EiEvPT1_S3_S2_
    .private_segment_fixed_size: 0
    .sgpr_count:     18
    .sgpr_spill_count: 0
    .symbol:         _Z37exclusive_scan_prefix_callback_kernelILj65ELN6hipcub18BlockScanAlgorithmE0EiEvPT1_S3_S2_.kd
    .uniform_work_group_size: 1
    .uses_dynamic_stack: false
    .vgpr_count:     10
    .vgpr_spill_count: 0
    .wavefront_size: 32
    .workgroup_processor_mode: 1
  - .args:
      - .address_space:  global
        .offset:         0
        .size:           8
        .value_kind:     global_buffer
      - .address_space:  global
        .offset:         8
        .size:           8
        .value_kind:     global_buffer
      - .offset:         16
        .size:           4
        .value_kind:     by_value
    .group_segment_fixed_size: 64
    .kernarg_segment_align: 8
    .kernarg_segment_size: 20
    .language:       OpenCL C
    .language_version:
      - 2
      - 0
    .max_flat_workgroup_size: 512
    .name:           _Z37exclusive_scan_prefix_callback_kernelILj512ELN6hipcub18BlockScanAlgorithmE0EiEvPT1_S3_S2_
    .private_segment_fixed_size: 0
    .sgpr_count:     18
    .sgpr_spill_count: 0
    .symbol:         _Z37exclusive_scan_prefix_callback_kernelILj512ELN6hipcub18BlockScanAlgorithmE0EiEvPT1_S3_S2_.kd
    .uniform_work_group_size: 1
    .uses_dynamic_stack: false
    .vgpr_count:     9
    .vgpr_spill_count: 0
    .wavefront_size: 32
    .workgroup_processor_mode: 1
  - .args:
      - .address_space:  global
        .offset:         0
        .size:           8
        .value_kind:     global_buffer
      - .address_space:  global
        .offset:         8
        .size:           8
        .value_kind:     global_buffer
      - .offset:         16
        .size:           4
        .value_kind:     by_value
    .group_segment_fixed_size: 32
    .kernarg_segment_align: 8
    .kernarg_segment_size: 20
    .language:       OpenCL C
    .language_version:
      - 2
      - 0
    .max_flat_workgroup_size: 256
    .name:           _Z37exclusive_scan_prefix_callback_kernelILj256ELN6hipcub18BlockScanAlgorithmE0EiEvPT1_S3_S2_
    .private_segment_fixed_size: 0
    .sgpr_count:     18
    .sgpr_spill_count: 0
    .symbol:         _Z37exclusive_scan_prefix_callback_kernelILj256ELN6hipcub18BlockScanAlgorithmE0EiEvPT1_S3_S2_.kd
    .uniform_work_group_size: 1
    .uses_dynamic_stack: false
    .vgpr_count:     10
    .vgpr_spill_count: 0
    .wavefront_size: 32
    .workgroup_processor_mode: 1
  - .args:
      - .address_space:  global
        .offset:         0
        .size:           8
        .value_kind:     global_buffer
      - .address_space:  global
        .offset:         8
        .size:           8
        .value_kind:     global_buffer
      - .offset:         16
        .size:           4
        .value_kind:     by_value
    .group_segment_fixed_size: 16
    .kernarg_segment_align: 8
    .kernarg_segment_size: 20
    .language:       OpenCL C
    .language_version:
      - 2
      - 0
    .max_flat_workgroup_size: 128
    .name:           _Z37exclusive_scan_prefix_callback_kernelILj128ELN6hipcub18BlockScanAlgorithmE0EiEvPT1_S3_S2_
    .private_segment_fixed_size: 0
    .sgpr_count:     18
    .sgpr_spill_count: 0
    .symbol:         _Z37exclusive_scan_prefix_callback_kernelILj128ELN6hipcub18BlockScanAlgorithmE0EiEvPT1_S3_S2_.kd
    .uniform_work_group_size: 1
    .uses_dynamic_stack: false
    .vgpr_count:     10
    .vgpr_spill_count: 0
    .wavefront_size: 32
    .workgroup_processor_mode: 1
  - .args:
      - .address_space:  global
        .offset:         0
        .size:           8
        .value_kind:     global_buffer
      - .address_space:  global
        .offset:         8
        .size:           8
        .value_kind:     global_buffer
      - .offset:         16
        .size:           4
        .value_kind:     by_value
    .group_segment_fixed_size: 8
    .kernarg_segment_align: 8
    .kernarg_segment_size: 20
    .language:       OpenCL C
    .language_version:
      - 2
      - 0
    .max_flat_workgroup_size: 64
    .name:           _Z37exclusive_scan_prefix_callback_kernelILj64ELN6hipcub18BlockScanAlgorithmE0EiEvPT1_S3_S2_
    .private_segment_fixed_size: 0
    .sgpr_count:     18
    .sgpr_spill_count: 0
    .symbol:         _Z37exclusive_scan_prefix_callback_kernelILj64ELN6hipcub18BlockScanAlgorithmE0EiEvPT1_S3_S2_.kd
    .uniform_work_group_size: 1
    .uses_dynamic_stack: false
    .vgpr_count:     10
    .vgpr_spill_count: 0
    .wavefront_size: 32
    .workgroup_processor_mode: 1
  - .args:
      - .address_space:  global
        .offset:         0
        .size:           8
        .value_kind:     global_buffer
    .group_segment_fixed_size: 768
    .kernarg_segment_align: 8
    .kernarg_segment_size: 8
    .language:       OpenCL C
    .language_version:
      - 2
      - 0
    .max_flat_workgroup_size: 377
    .name:           _Z21inclusive_scan_kernelILj377ELN6hipcub18BlockScanAlgorithmE1EN10test_utils16custom_test_typeIhEEEvPT1_
    .private_segment_fixed_size: 0
    .sgpr_count:     18
    .sgpr_spill_count: 0
    .symbol:         _Z21inclusive_scan_kernelILj377ELN6hipcub18BlockScanAlgorithmE1EN10test_utils16custom_test_typeIhEEEvPT1_.kd
    .uniform_work_group_size: 1
    .uses_dynamic_stack: false
    .vgpr_count:     38
    .vgpr_spill_count: 0
    .wavefront_size: 32
    .workgroup_processor_mode: 1
  - .args:
      - .address_space:  global
        .offset:         0
        .size:           8
        .value_kind:     global_buffer
    .group_segment_fixed_size: 3072
    .kernarg_segment_align: 8
    .kernarg_segment_size: 8
    .language:       OpenCL C
    .language_version:
      - 2
      - 0
    .max_flat_workgroup_size: 377
    .name:           _Z21inclusive_scan_kernelILj377ELN6hipcub18BlockScanAlgorithmE1EN10test_utils16custom_test_typeIiEEEvPT1_
    .private_segment_fixed_size: 0
    .sgpr_count:     18
    .sgpr_spill_count: 0
    .symbol:         _Z21inclusive_scan_kernelILj377ELN6hipcub18BlockScanAlgorithmE1EN10test_utils16custom_test_typeIiEEEvPT1_.kd
    .uniform_work_group_size: 1
    .uses_dynamic_stack: false
    .vgpr_count:     38
    .vgpr_spill_count: 0
    .wavefront_size: 32
    .workgroup_processor_mode: 1
  - .args:
      - .address_space:  global
        .offset:         0
        .size:           8
        .value_kind:     global_buffer
    .group_segment_fixed_size: 2112
    .kernarg_segment_align: 8
    .kernarg_segment_size: 8
    .language:       OpenCL C
    .language_version:
      - 2
      - 0
    .max_flat_workgroup_size: 255
    .name:           _Z21inclusive_scan_kernelILj255ELN6hipcub18BlockScanAlgorithmE1EN10test_utils16custom_test_typeIjEEEvPT1_
    .private_segment_fixed_size: 0
    .sgpr_count:     18
    .sgpr_spill_count: 0
    .symbol:         _Z21inclusive_scan_kernelILj255ELN6hipcub18BlockScanAlgorithmE1EN10test_utils16custom_test_typeIjEEEvPT1_.kd
    .uniform_work_group_size: 1
    .uses_dynamic_stack: false
    .vgpr_count:     30
    .vgpr_spill_count: 0
    .wavefront_size: 32
    .workgroup_processor_mode: 1
  - .args:
      - .address_space:  global
        .offset:         0
        .size:           8
        .value_kind:     global_buffer
    .group_segment_fixed_size: 768
    .kernarg_segment_align: 8
    .kernarg_segment_size: 8
    .language:       OpenCL C
    .language_version:
      - 2
      - 0
    .max_flat_workgroup_size: 162
    .name:           _Z21inclusive_scan_kernelILj162ELN6hipcub18BlockScanAlgorithmE1EN10test_utils16custom_test_typeIsEEEvPT1_
    .private_segment_fixed_size: 0
    .sgpr_count:     18
    .sgpr_spill_count: 0
    .symbol:         _Z21inclusive_scan_kernelILj162ELN6hipcub18BlockScanAlgorithmE1EN10test_utils16custom_test_typeIsEEEvPT1_.kd
    .uniform_work_group_size: 1
    .uses_dynamic_stack: false
    .vgpr_count:     22
    .vgpr_spill_count: 0
    .wavefront_size: 32
    .workgroup_processor_mode: 1
  - .args:
      - .address_space:  global
        .offset:         0
        .size:           8
        .value_kind:     global_buffer
    .group_segment_fixed_size: 1056
    .kernarg_segment_align: 8
    .kernarg_segment_size: 8
    .language:       OpenCL C
    .language_version:
      - 2
      - 0
    .max_flat_workgroup_size: 37
    .name:           _Z21inclusive_scan_kernelILj37ELN6hipcub18BlockScanAlgorithmE1EN10test_utils16custom_test_typeIlEEEvPT1_
    .private_segment_fixed_size: 0
    .sgpr_count:     18
    .sgpr_spill_count: 0
    .symbol:         _Z21inclusive_scan_kernelILj37ELN6hipcub18BlockScanAlgorithmE1EN10test_utils16custom_test_typeIlEEEvPT1_.kd
    .uniform_work_group_size: 1
    .uses_dynamic_stack: false
    .vgpr_count:     30
    .vgpr_spill_count: 0
    .wavefront_size: 32
    .workgroup_processor_mode: 1
  - .args:
      - .address_space:  global
        .offset:         0
        .size:           8
        .value_kind:     global_buffer
    .group_segment_fixed_size: 1536
    .kernarg_segment_align: 8
    .kernarg_segment_size: 8
    .language:       OpenCL C
    .language_version:
      - 2
      - 0
    .max_flat_workgroup_size: 65
    .name:           _Z21inclusive_scan_kernelILj65ELN6hipcub18BlockScanAlgorithmE1EN10test_utils16custom_test_typeImEEEvPT1_
    .private_segment_fixed_size: 0
    .sgpr_count:     18
    .sgpr_spill_count: 0
    .symbol:         _Z21inclusive_scan_kernelILj65ELN6hipcub18BlockScanAlgorithmE1EN10test_utils16custom_test_typeImEEEvPT1_.kd
    .uniform_work_group_size: 1
    .uses_dynamic_stack: false
    .vgpr_count:     34
    .vgpr_spill_count: 0
    .wavefront_size: 32
    .workgroup_processor_mode: 1
  - .args:
      - .address_space:  global
        .offset:         0
        .size:           8
        .value_kind:     global_buffer
    .group_segment_fixed_size: 4224
    .kernarg_segment_align: 8
    .kernarg_segment_size: 8
    .language:       OpenCL C
    .language_version:
      - 2
      - 0
    .max_flat_workgroup_size: 512
    .name:           _Z21inclusive_scan_kernelILj512ELN6hipcub18BlockScanAlgorithmE1EN10test_utils16custom_test_typeIiEEEvPT1_
    .private_segment_fixed_size: 0
    .sgpr_count:     18
    .sgpr_spill_count: 0
    .symbol:         _Z21inclusive_scan_kernelILj512ELN6hipcub18BlockScanAlgorithmE1EN10test_utils16custom_test_typeIiEEEvPT1_.kd
    .uniform_work_group_size: 1
    .uses_dynamic_stack: false
    .vgpr_count:     46
    .vgpr_spill_count: 0
    .wavefront_size: 32
    .workgroup_processor_mode: 1
  - .args:
      - .address_space:  global
        .offset:         0
        .size:           8
        .value_kind:     global_buffer
    .group_segment_fixed_size: 2112
    .kernarg_segment_align: 8
    .kernarg_segment_size: 8
    .language:       OpenCL C
    .language_version:
      - 2
      - 0
    .max_flat_workgroup_size: 256
    .name:           _Z21inclusive_scan_kernelILj256ELN6hipcub18BlockScanAlgorithmE1EN10test_utils16custom_test_typeIiEEEvPT1_
    .private_segment_fixed_size: 0
    .sgpr_count:     18
    .sgpr_spill_count: 0
    .symbol:         _Z21inclusive_scan_kernelILj256ELN6hipcub18BlockScanAlgorithmE1EN10test_utils16custom_test_typeIiEEEvPT1_.kd
    .uniform_work_group_size: 1
    .uses_dynamic_stack: false
    .vgpr_count:     30
    .vgpr_spill_count: 0
    .wavefront_size: 32
    .workgroup_processor_mode: 1
  - .args:
      - .address_space:  global
        .offset:         0
        .size:           8
        .value_kind:     global_buffer
    .group_segment_fixed_size: 1056
    .kernarg_segment_align: 8
    .kernarg_segment_size: 8
    .language:       OpenCL C
    .language_version:
      - 2
      - 0
    .max_flat_workgroup_size: 128
    .name:           _Z21inclusive_scan_kernelILj128ELN6hipcub18BlockScanAlgorithmE1EN10test_utils16custom_test_typeIiEEEvPT1_
    .private_segment_fixed_size: 0
    .sgpr_count:     18
    .sgpr_spill_count: 0
    .symbol:         _Z21inclusive_scan_kernelILj128ELN6hipcub18BlockScanAlgorithmE1EN10test_utils16custom_test_typeIiEEEvPT1_.kd
    .uniform_work_group_size: 1
    .uses_dynamic_stack: false
    .vgpr_count:     22
    .vgpr_spill_count: 0
    .wavefront_size: 32
    .workgroup_processor_mode: 1
  - .args:
      - .address_space:  global
        .offset:         0
        .size:           8
        .value_kind:     global_buffer
    .group_segment_fixed_size: 528
    .kernarg_segment_align: 8
    .kernarg_segment_size: 8
    .language:       OpenCL C
    .language_version:
      - 2
      - 0
    .max_flat_workgroup_size: 64
    .name:           _Z21inclusive_scan_kernelILj64ELN6hipcub18BlockScanAlgorithmE1EN10test_utils16custom_test_typeIiEEEvPT1_
    .private_segment_fixed_size: 0
    .sgpr_count:     18
    .sgpr_spill_count: 0
    .symbol:         _Z21inclusive_scan_kernelILj64ELN6hipcub18BlockScanAlgorithmE1EN10test_utils16custom_test_typeIiEEEvPT1_.kd
    .uniform_work_group_size: 1
    .uses_dynamic_stack: false
    .vgpr_count:     18
    .vgpr_spill_count: 0
    .wavefront_size: 32
    .workgroup_processor_mode: 1
  - .args:
      - .address_space:  global
        .offset:         0
        .size:           8
        .value_kind:     global_buffer
    .group_segment_fixed_size: 192
    .kernarg_segment_align: 8
    .kernarg_segment_size: 8
    .language:       OpenCL C
    .language_version:
      - 2
      - 0
    .max_flat_workgroup_size: 377
    .name:           _Z21inclusive_scan_kernelILj377ELN6hipcub18BlockScanAlgorithmE0EN10test_utils16custom_test_typeIlEEEvPT1_
    .private_segment_fixed_size: 0
    .sgpr_count:     18
    .sgpr_spill_count: 0
    .symbol:         _Z21inclusive_scan_kernelILj377ELN6hipcub18BlockScanAlgorithmE0EN10test_utils16custom_test_typeIlEEEvPT1_.kd
    .uniform_work_group_size: 1
    .uses_dynamic_stack: false
    .vgpr_count:     19
    .vgpr_spill_count: 0
    .wavefront_size: 32
    .workgroup_processor_mode: 1
  - .args:
      - .address_space:  global
        .offset:         0
        .size:           8
        .value_kind:     global_buffer
    .group_segment_fixed_size: 128
    .kernarg_segment_align: 8
    .kernarg_segment_size: 8
    .language:       OpenCL C
    .language_version:
      - 2
      - 0
    .max_flat_workgroup_size: 256
    .name:           _Z21inclusive_scan_kernelILj256ELN6hipcub18BlockScanAlgorithmE0EN10test_utils16custom_test_typeIlEEEvPT1_
    .private_segment_fixed_size: 0
    .sgpr_count:     18
    .sgpr_spill_count: 0
    .symbol:         _Z21inclusive_scan_kernelILj256ELN6hipcub18BlockScanAlgorithmE0EN10test_utils16custom_test_typeIlEEEvPT1_.kd
    .uniform_work_group_size: 1
    .uses_dynamic_stack: false
    .vgpr_count:     20
    .vgpr_spill_count: 0
    .wavefront_size: 32
    .workgroup_processor_mode: 1
  - .args:
      - .address_space:  global
        .offset:         0
        .size:           8
        .value_kind:     global_buffer
    .group_segment_fixed_size: 32
    .kernarg_segment_align: 8
    .kernarg_segment_size: 8
    .language:       OpenCL C
    .language_version:
      - 2
      - 0
    .max_flat_workgroup_size: 64
    .name:           _Z21inclusive_scan_kernelILj64ELN6hipcub18BlockScanAlgorithmE0EN10test_utils16custom_test_typeIlEEEvPT1_
    .private_segment_fixed_size: 0
    .sgpr_count:     18
    .sgpr_spill_count: 0
    .symbol:         _Z21inclusive_scan_kernelILj64ELN6hipcub18BlockScanAlgorithmE0EN10test_utils16custom_test_typeIlEEEvPT1_.kd
    .uniform_work_group_size: 1
    .uses_dynamic_stack: false
    .vgpr_count:     18
    .vgpr_spill_count: 0
    .wavefront_size: 32
    .workgroup_processor_mode: 1
  - .args:
      - .address_space:  global
        .offset:         0
        .size:           8
        .value_kind:     global_buffer
    .group_segment_fixed_size: 96
    .kernarg_segment_align: 8
    .kernarg_segment_size: 8
    .language:       OpenCL C
    .language_version:
      - 2
      - 0
    .max_flat_workgroup_size: 377
    .name:           _Z21inclusive_scan_kernelILj377ELN6hipcub18BlockScanAlgorithmE0EN10test_utils16custom_test_typeIjEEEvPT1_
    .private_segment_fixed_size: 0
    .sgpr_count:     18
    .sgpr_spill_count: 0
    .symbol:         _Z21inclusive_scan_kernelILj377ELN6hipcub18BlockScanAlgorithmE0EN10test_utils16custom_test_typeIjEEEvPT1_.kd
    .uniform_work_group_size: 1
    .uses_dynamic_stack: false
    .vgpr_count:     11
    .vgpr_spill_count: 0
    .wavefront_size: 32
    .workgroup_processor_mode: 1
  - .args:
      - .address_space:  global
        .offset:         0
        .size:           8
        .value_kind:     global_buffer
    .group_segment_fixed_size: 64
    .kernarg_segment_align: 8
    .kernarg_segment_size: 8
    .language:       OpenCL C
    .language_version:
      - 2
      - 0
    .max_flat_workgroup_size: 256
    .name:           _Z21inclusive_scan_kernelILj256ELN6hipcub18BlockScanAlgorithmE0EN10test_utils16custom_test_typeIjEEEvPT1_
    .private_segment_fixed_size: 0
    .sgpr_count:     18
    .sgpr_spill_count: 0
    .symbol:         _Z21inclusive_scan_kernelILj256ELN6hipcub18BlockScanAlgorithmE0EN10test_utils16custom_test_typeIjEEEvPT1_.kd
    .uniform_work_group_size: 1
    .uses_dynamic_stack: false
    .vgpr_count:     12
    .vgpr_spill_count: 0
    .wavefront_size: 32
    .workgroup_processor_mode: 1
  - .args:
      - .address_space:  global
        .offset:         0
        .size:           8
        .value_kind:     global_buffer
    .group_segment_fixed_size: 16
    .kernarg_segment_align: 8
    .kernarg_segment_size: 8
    .language:       OpenCL C
    .language_version:
      - 2
      - 0
    .max_flat_workgroup_size: 64
    .name:           _Z21inclusive_scan_kernelILj64ELN6hipcub18BlockScanAlgorithmE0EN10test_utils16custom_test_typeIjEEEvPT1_
    .private_segment_fixed_size: 0
    .sgpr_count:     18
    .sgpr_spill_count: 0
    .symbol:         _Z21inclusive_scan_kernelILj64ELN6hipcub18BlockScanAlgorithmE0EN10test_utils16custom_test_typeIjEEEvPT1_.kd
    .uniform_work_group_size: 1
    .uses_dynamic_stack: false
    .vgpr_count:     12
    .vgpr_spill_count: 0
    .wavefront_size: 32
    .workgroup_processor_mode: 1
  - .args:
      - .address_space:  global
        .offset:         0
        .size:           8
        .value_kind:     global_buffer
    .group_segment_fixed_size: 64
    .kernarg_segment_align: 8
    .kernarg_segment_size: 8
    .language:       OpenCL C
    .language_version:
      - 2
      - 0
    .max_flat_workgroup_size: 255
    .name:           _Z21inclusive_scan_kernelILj255ELN6hipcub18BlockScanAlgorithmE0EN10test_utils16custom_test_typeIiEEEvPT1_
    .private_segment_fixed_size: 0
    .sgpr_count:     18
    .sgpr_spill_count: 0
    .symbol:         _Z21inclusive_scan_kernelILj255ELN6hipcub18BlockScanAlgorithmE0EN10test_utils16custom_test_typeIiEEEvPT1_.kd
    .uniform_work_group_size: 1
    .uses_dynamic_stack: false
    .vgpr_count:     12
    .vgpr_spill_count: 0
    .wavefront_size: 32
    .workgroup_processor_mode: 1
  - .args:
      - .address_space:  global
        .offset:         0
        .size:           8
        .value_kind:     global_buffer
    .group_segment_fixed_size: 48
    .kernarg_segment_align: 8
    .kernarg_segment_size: 8
    .language:       OpenCL C
    .language_version:
      - 2
      - 0
    .max_flat_workgroup_size: 162
    .name:           _Z21inclusive_scan_kernelILj162ELN6hipcub18BlockScanAlgorithmE0EN10test_utils16custom_test_typeIiEEEvPT1_
    .private_segment_fixed_size: 0
    .sgpr_count:     18
    .sgpr_spill_count: 0
    .symbol:         _Z21inclusive_scan_kernelILj162ELN6hipcub18BlockScanAlgorithmE0EN10test_utils16custom_test_typeIiEEEvPT1_.kd
    .uniform_work_group_size: 1
    .uses_dynamic_stack: false
    .vgpr_count:     12
    .vgpr_spill_count: 0
    .wavefront_size: 32
    .workgroup_processor_mode: 1
  - .args:
      - .address_space:  global
        .offset:         0
        .size:           8
        .value_kind:     global_buffer
    .group_segment_fixed_size: 16
    .kernarg_segment_align: 8
    .kernarg_segment_size: 8
    .language:       OpenCL C
    .language_version:
      - 2
      - 0
    .max_flat_workgroup_size: 37
    .name:           _Z21inclusive_scan_kernelILj37ELN6hipcub18BlockScanAlgorithmE0EN10test_utils16custom_test_typeIiEEEvPT1_
    .private_segment_fixed_size: 0
    .sgpr_count:     18
    .sgpr_spill_count: 0
    .symbol:         _Z21inclusive_scan_kernelILj37ELN6hipcub18BlockScanAlgorithmE0EN10test_utils16custom_test_typeIiEEEvPT1_.kd
    .uniform_work_group_size: 1
    .uses_dynamic_stack: false
    .vgpr_count:     12
    .vgpr_spill_count: 0
    .wavefront_size: 32
    .workgroup_processor_mode: 1
  - .args:
      - .address_space:  global
        .offset:         0
        .size:           8
        .value_kind:     global_buffer
    .group_segment_fixed_size: 24
    .kernarg_segment_align: 8
    .kernarg_segment_size: 8
    .language:       OpenCL C
    .language_version:
      - 2
      - 0
    .max_flat_workgroup_size: 65
    .name:           _Z21inclusive_scan_kernelILj65ELN6hipcub18BlockScanAlgorithmE0EN10test_utils16custom_test_typeIiEEEvPT1_
    .private_segment_fixed_size: 0
    .sgpr_count:     18
    .sgpr_spill_count: 0
    .symbol:         _Z21inclusive_scan_kernelILj65ELN6hipcub18BlockScanAlgorithmE0EN10test_utils16custom_test_typeIiEEEvPT1_.kd
    .uniform_work_group_size: 1
    .uses_dynamic_stack: false
    .vgpr_count:     12
    .vgpr_spill_count: 0
    .wavefront_size: 32
    .workgroup_processor_mode: 1
  - .args:
      - .address_space:  global
        .offset:         0
        .size:           8
        .value_kind:     global_buffer
    .group_segment_fixed_size: 128
    .kernarg_segment_align: 8
    .kernarg_segment_size: 8
    .language:       OpenCL C
    .language_version:
      - 2
      - 0
    .max_flat_workgroup_size: 512
    .name:           _Z21inclusive_scan_kernelILj512ELN6hipcub18BlockScanAlgorithmE0EN10test_utils16custom_test_typeIiEEEvPT1_
    .private_segment_fixed_size: 0
    .sgpr_count:     18
    .sgpr_spill_count: 0
    .symbol:         _Z21inclusive_scan_kernelILj512ELN6hipcub18BlockScanAlgorithmE0EN10test_utils16custom_test_typeIiEEEvPT1_.kd
    .uniform_work_group_size: 1
    .uses_dynamic_stack: false
    .vgpr_count:     11
    .vgpr_spill_count: 0
    .wavefront_size: 32
    .workgroup_processor_mode: 1
  - .args:
      - .address_space:  global
        .offset:         0
        .size:           8
        .value_kind:     global_buffer
    .group_segment_fixed_size: 64
    .kernarg_segment_align: 8
    .kernarg_segment_size: 8
    .language:       OpenCL C
    .language_version:
      - 2
      - 0
    .max_flat_workgroup_size: 256
    .name:           _Z21inclusive_scan_kernelILj256ELN6hipcub18BlockScanAlgorithmE0EN10test_utils16custom_test_typeIiEEEvPT1_
    .private_segment_fixed_size: 0
    .sgpr_count:     18
    .sgpr_spill_count: 0
    .symbol:         _Z21inclusive_scan_kernelILj256ELN6hipcub18BlockScanAlgorithmE0EN10test_utils16custom_test_typeIiEEEvPT1_.kd
    .uniform_work_group_size: 1
    .uses_dynamic_stack: false
    .vgpr_count:     12
    .vgpr_spill_count: 0
    .wavefront_size: 32
    .workgroup_processor_mode: 1
  - .args:
      - .address_space:  global
        .offset:         0
        .size:           8
        .value_kind:     global_buffer
    .group_segment_fixed_size: 32
    .kernarg_segment_align: 8
    .kernarg_segment_size: 8
    .language:       OpenCL C
    .language_version:
      - 2
      - 0
    .max_flat_workgroup_size: 128
    .name:           _Z21inclusive_scan_kernelILj128ELN6hipcub18BlockScanAlgorithmE0EN10test_utils16custom_test_typeIiEEEvPT1_
    .private_segment_fixed_size: 0
    .sgpr_count:     18
    .sgpr_spill_count: 0
    .symbol:         _Z21inclusive_scan_kernelILj128ELN6hipcub18BlockScanAlgorithmE0EN10test_utils16custom_test_typeIiEEEvPT1_.kd
    .uniform_work_group_size: 1
    .uses_dynamic_stack: false
    .vgpr_count:     12
    .vgpr_spill_count: 0
    .wavefront_size: 32
    .workgroup_processor_mode: 1
  - .args:
      - .address_space:  global
        .offset:         0
        .size:           8
        .value_kind:     global_buffer
    .group_segment_fixed_size: 16
    .kernarg_segment_align: 8
    .kernarg_segment_size: 8
    .language:       OpenCL C
    .language_version:
      - 2
      - 0
    .max_flat_workgroup_size: 64
    .name:           _Z21inclusive_scan_kernelILj64ELN6hipcub18BlockScanAlgorithmE0EN10test_utils16custom_test_typeIiEEEvPT1_
    .private_segment_fixed_size: 0
    .sgpr_count:     18
    .sgpr_spill_count: 0
    .symbol:         _Z21inclusive_scan_kernelILj64ELN6hipcub18BlockScanAlgorithmE0EN10test_utils16custom_test_typeIiEEEvPT1_.kd
    .uniform_work_group_size: 1
    .uses_dynamic_stack: false
    .vgpr_count:     12
    .vgpr_spill_count: 0
    .wavefront_size: 32
    .workgroup_processor_mode: 1
  - .args:
      - .address_space:  global
        .offset:         0
        .size:           8
        .value_kind:     global_buffer
    .group_segment_fixed_size: 2
    .kernarg_segment_align: 8
    .kernarg_segment_size: 8
    .language:       OpenCL C
    .language_version:
      - 2
      - 0
    .max_flat_workgroup_size: 16
    .name:           _Z27inclusive_scan_array_kernelILj16ELj5ELN6hipcub18BlockScanAlgorithmE1E12hip_bfloat16EvPT2_
    .private_segment_fixed_size: 0
    .sgpr_count:     18
    .sgpr_spill_count: 0
    .symbol:         _Z27inclusive_scan_array_kernelILj16ELj5ELN6hipcub18BlockScanAlgorithmE1E12hip_bfloat16EvPT2_.kd
    .uniform_work_group_size: 1
    .uses_dynamic_stack: false
    .vgpr_count:     25
    .vgpr_spill_count: 0
    .wavefront_size: 32
    .workgroup_processor_mode: 1
  - .args:
      - .address_space:  global
        .offset:         0
        .size:           8
        .value_kind:     global_buffer
    .group_segment_fixed_size: 192
    .kernarg_segment_align: 8
    .kernarg_segment_size: 8
    .language:       OpenCL C
    .language_version:
      - 2
      - 0
    .max_flat_workgroup_size: 65
    .name:           _Z27inclusive_scan_array_kernelILj65ELj5ELN6hipcub18BlockScanAlgorithmE1E6__halfEvPT2_
    .private_segment_fixed_size: 0
    .sgpr_count:     18
    .sgpr_spill_count: 0
    .symbol:         _Z27inclusive_scan_array_kernelILj65ELj5ELN6hipcub18BlockScanAlgorithmE1E6__halfEvPT2_.kd
    .uniform_work_group_size: 1
    .uses_dynamic_stack: false
    .vgpr_count:     27
    .vgpr_spill_count: 0
    .wavefront_size: 32
    .workgroup_processor_mode: 1
  - .args:
      - .address_space:  global
        .offset:         0
        .size:           8
        .value_kind:     global_buffer
    .group_segment_fixed_size: 1056
    .kernarg_segment_align: 8
    .kernarg_segment_size: 8
    .language:       OpenCL C
    .language_version:
      - 2
      - 0
    .max_flat_workgroup_size: 255
    .name:           _Z27inclusive_scan_array_kernelILj255ELj15ELN6hipcub18BlockScanAlgorithmE1EfEvPT2_
    .private_segment_fixed_size: 0
    .sgpr_count:     18
    .sgpr_spill_count: 0
    .symbol:         _Z27inclusive_scan_array_kernelILj255ELj15ELN6hipcub18BlockScanAlgorithmE1EfEvPT2_.kd
    .uniform_work_group_size: 1
    .uses_dynamic_stack: false
    .vgpr_count:     61
    .vgpr_spill_count: 0
    .wavefront_size: 32
    .workgroup_processor_mode: 1
  - .args:
      - .address_space:  global
        .offset:         0
        .size:           8
        .value_kind:     global_buffer
    .group_segment_fixed_size: 768
    .kernarg_segment_align: 8
    .kernarg_segment_size: 8
    .language:       OpenCL C
    .language_version:
      - 2
      - 0
    .max_flat_workgroup_size: 162
    .name:           _Z27inclusive_scan_array_kernelILj162ELj7ELN6hipcub18BlockScanAlgorithmE1EfEvPT2_
    .private_segment_fixed_size: 0
    .sgpr_count:     18
    .sgpr_spill_count: 0
    .symbol:         _Z27inclusive_scan_array_kernelILj162ELj7ELN6hipcub18BlockScanAlgorithmE1EfEvPT2_.kd
    .uniform_work_group_size: 1
    .uses_dynamic_stack: false
    .vgpr_count:     36
    .vgpr_spill_count: 0
    .wavefront_size: 32
    .workgroup_processor_mode: 1
  - .args:
      - .address_space:  global
        .offset:         0
        .size:           8
        .value_kind:     global_buffer
    .group_segment_fixed_size: 384
    .kernarg_segment_align: 8
    .kernarg_segment_size: 8
    .language:       OpenCL C
    .language_version:
      - 2
      - 0
    .max_flat_workgroup_size: 65
    .name:           _Z27inclusive_scan_array_kernelILj65ELj5ELN6hipcub18BlockScanAlgorithmE1EfEvPT2_
    .private_segment_fixed_size: 0
    .sgpr_count:     18
    .sgpr_spill_count: 0
    .symbol:         _Z27inclusive_scan_array_kernelILj65ELj5ELN6hipcub18BlockScanAlgorithmE1EfEvPT2_.kd
    .uniform_work_group_size: 1
    .uses_dynamic_stack: false
    .vgpr_count:     27
    .vgpr_spill_count: 0
    .wavefront_size: 32
    .workgroup_processor_mode: 1
  - .args:
      - .address_space:  global
        .offset:         0
        .size:           8
        .value_kind:     global_buffer
    .group_segment_fixed_size: 264
    .kernarg_segment_align: 8
    .kernarg_segment_size: 8
    .language:       OpenCL C
    .language_version:
      - 2
      - 0
    .max_flat_workgroup_size: 37
    .name:           _Z27inclusive_scan_array_kernelILj37ELj2ELN6hipcub18BlockScanAlgorithmE1EfEvPT2_
    .private_segment_fixed_size: 0
    .sgpr_count:     18
    .sgpr_spill_count: 0
    .symbol:         _Z27inclusive_scan_array_kernelILj37ELj2ELN6hipcub18BlockScanAlgorithmE1EfEvPT2_.kd
    .uniform_work_group_size: 1
    .uses_dynamic_stack: false
    .vgpr_count:     14
    .vgpr_spill_count: 0
    .wavefront_size: 32
    .workgroup_processor_mode: 1
  - .args:
      - .address_space:  global
        .offset:         0
        .size:           8
        .value_kind:     global_buffer
    .group_segment_fixed_size: 2112
    .kernarg_segment_align: 8
    .kernarg_segment_size: 8
    .language:       OpenCL C
    .language_version:
      - 2
      - 0
    .max_flat_workgroup_size: 512
    .name:           _Z27inclusive_scan_array_kernelILj512ELj4ELN6hipcub18BlockScanAlgorithmE1EjEvPT2_
    .private_segment_fixed_size: 0
    .sgpr_count:     18
    .sgpr_spill_count: 0
    .symbol:         _Z27inclusive_scan_array_kernelILj512ELj4ELN6hipcub18BlockScanAlgorithmE1EjEvPT2_.kd
    .uniform_work_group_size: 1
    .uses_dynamic_stack: false
    .vgpr_count:     31
    .vgpr_spill_count: 0
    .wavefront_size: 32
    .workgroup_processor_mode: 1
  - .args:
      - .address_space:  global
        .offset:         0
        .size:           8
        .value_kind:     global_buffer
    .group_segment_fixed_size: 1056
    .kernarg_segment_align: 8
    .kernarg_segment_size: 8
    .language:       OpenCL C
    .language_version:
      - 2
      - 0
    .max_flat_workgroup_size: 256
    .name:           _Z27inclusive_scan_array_kernelILj256ELj3ELN6hipcub18BlockScanAlgorithmE1EiEvPT2_
    .private_segment_fixed_size: 0
    .sgpr_count:     18
    .sgpr_spill_count: 0
    .symbol:         _Z27inclusive_scan_array_kernelILj256ELj3ELN6hipcub18BlockScanAlgorithmE1EiEvPT2_.kd
    .uniform_work_group_size: 1
    .uses_dynamic_stack: false
    .vgpr_count:     26
    .vgpr_spill_count: 0
    .wavefront_size: 32
    .workgroup_processor_mode: 1
  - .args:
      - .address_space:  global
        .offset:         0
        .size:           8
        .value_kind:     global_buffer
    .group_segment_fixed_size: 4
    .kernarg_segment_align: 8
    .kernarg_segment_size: 8
    .language:       OpenCL C
    .language_version:
      - 2
      - 0
    .max_flat_workgroup_size: 32
    .name:           _Z27inclusive_scan_array_kernelILj32ELj2ELN6hipcub18BlockScanAlgorithmE1EfEvPT2_
    .private_segment_fixed_size: 0
    .sgpr_count:     18
    .sgpr_spill_count: 0
    .symbol:         _Z27inclusive_scan_array_kernelILj32ELj2ELN6hipcub18BlockScanAlgorithmE1EfEvPT2_.kd
    .uniform_work_group_size: 1
    .uses_dynamic_stack: false
    .vgpr_count:     10
    .vgpr_spill_count: 0
    .wavefront_size: 32
    .workgroup_processor_mode: 1
  - .args:
      - .address_space:  global
        .offset:         0
        .size:           8
        .value_kind:     global_buffer
    .group_segment_fixed_size: 4
    .kernarg_segment_align: 8
    .kernarg_segment_size: 8
    .language:       OpenCL C
    .language_version:
      - 2
      - 0
    .max_flat_workgroup_size: 6
    .name:           _Z27inclusive_scan_array_kernelILj6ELj32ELN6hipcub18BlockScanAlgorithmE1EfEvPT2_
    .private_segment_fixed_size: 0
    .sgpr_count:     18
    .sgpr_spill_count: 0
    .symbol:         _Z27inclusive_scan_array_kernelILj6ELj32ELN6hipcub18BlockScanAlgorithmE1EfEvPT2_.kd
    .uniform_work_group_size: 1
    .uses_dynamic_stack: false
    .vgpr_count:     40
    .vgpr_spill_count: 0
    .wavefront_size: 32
    .workgroup_processor_mode: 1
  - .args:
      - .address_space:  global
        .offset:         0
        .size:           8
        .value_kind:     global_buffer
    .group_segment_fixed_size: 2
    .kernarg_segment_align: 8
    .kernarg_segment_size: 8
    .language:       OpenCL C
    .language_version:
      - 2
      - 0
    .max_flat_workgroup_size: 16
    .name:           _Z27inclusive_scan_array_kernelILj16ELj5ELN6hipcub18BlockScanAlgorithmE0E12hip_bfloat16EvPT2_
    .private_segment_fixed_size: 0
    .sgpr_count:     18
    .sgpr_spill_count: 0
    .symbol:         _Z27inclusive_scan_array_kernelILj16ELj5ELN6hipcub18BlockScanAlgorithmE0E12hip_bfloat16EvPT2_.kd
    .uniform_work_group_size: 1
    .uses_dynamic_stack: false
    .vgpr_count:     25
    .vgpr_spill_count: 0
    .wavefront_size: 32
    .workgroup_processor_mode: 1
  - .args:
      - .address_space:  global
        .offset:         0
        .size:           8
        .value_kind:     global_buffer
    .group_segment_fixed_size: 6
    .kernarg_segment_align: 8
    .kernarg_segment_size: 8
    .language:       OpenCL C
    .language_version:
      - 2
      - 0
    .max_flat_workgroup_size: 65
    .name:           _Z27inclusive_scan_array_kernelILj65ELj5ELN6hipcub18BlockScanAlgorithmE0E6__halfEvPT2_
    .private_segment_fixed_size: 0
    .sgpr_count:     18
    .sgpr_spill_count: 0
    .symbol:         _Z27inclusive_scan_array_kernelILj65ELj5ELN6hipcub18BlockScanAlgorithmE0E6__halfEvPT2_.kd
    .uniform_work_group_size: 1
    .uses_dynamic_stack: false
    .vgpr_count:     23
    .vgpr_spill_count: 0
    .wavefront_size: 32
    .workgroup_processor_mode: 1
  - .args:
      - .address_space:  global
        .offset:         0
        .size:           8
        .value_kind:     global_buffer
    .group_segment_fixed_size: 32
    .kernarg_segment_align: 8
    .kernarg_segment_size: 8
    .language:       OpenCL C
    .language_version:
      - 2
      - 0
    .max_flat_workgroup_size: 255
    .name:           _Z27inclusive_scan_array_kernelILj255ELj15ELN6hipcub18BlockScanAlgorithmE0EfEvPT2_
    .private_segment_fixed_size: 0
    .sgpr_count:     18
    .sgpr_spill_count: 0
    .symbol:         _Z27inclusive_scan_array_kernelILj255ELj15ELN6hipcub18BlockScanAlgorithmE0EfEvPT2_.kd
    .uniform_work_group_size: 1
    .uses_dynamic_stack: false
    .vgpr_count:     53
    .vgpr_spill_count: 0
    .wavefront_size: 32
    .workgroup_processor_mode: 1
  - .args:
      - .address_space:  global
        .offset:         0
        .size:           8
        .value_kind:     global_buffer
    .group_segment_fixed_size: 24
    .kernarg_segment_align: 8
    .kernarg_segment_size: 8
    .language:       OpenCL C
    .language_version:
      - 2
      - 0
    .max_flat_workgroup_size: 162
    .name:           _Z27inclusive_scan_array_kernelILj162ELj7ELN6hipcub18BlockScanAlgorithmE0EfEvPT2_
    .private_segment_fixed_size: 0
    .sgpr_count:     18
    .sgpr_spill_count: 0
    .symbol:         _Z27inclusive_scan_array_kernelILj162ELj7ELN6hipcub18BlockScanAlgorithmE0EfEvPT2_.kd
    .uniform_work_group_size: 1
    .uses_dynamic_stack: false
    .vgpr_count:     29
    .vgpr_spill_count: 0
    .wavefront_size: 32
    .workgroup_processor_mode: 1
  - .args:
      - .address_space:  global
        .offset:         0
        .size:           8
        .value_kind:     global_buffer
    .group_segment_fixed_size: 12
    .kernarg_segment_align: 8
    .kernarg_segment_size: 8
    .language:       OpenCL C
    .language_version:
      - 2
      - 0
    .max_flat_workgroup_size: 65
    .name:           _Z27inclusive_scan_array_kernelILj65ELj5ELN6hipcub18BlockScanAlgorithmE0EfEvPT2_
    .private_segment_fixed_size: 0
    .sgpr_count:     18
    .sgpr_spill_count: 0
    .symbol:         _Z27inclusive_scan_array_kernelILj65ELj5ELN6hipcub18BlockScanAlgorithmE0EfEvPT2_.kd
    .uniform_work_group_size: 1
    .uses_dynamic_stack: false
    .vgpr_count:     23
    .vgpr_spill_count: 0
    .wavefront_size: 32
    .workgroup_processor_mode: 1
  - .args:
      - .address_space:  global
        .offset:         0
        .size:           8
        .value_kind:     global_buffer
    .group_segment_fixed_size: 8
    .kernarg_segment_align: 8
    .kernarg_segment_size: 8
    .language:       OpenCL C
    .language_version:
      - 2
      - 0
    .max_flat_workgroup_size: 37
    .name:           _Z27inclusive_scan_array_kernelILj37ELj2ELN6hipcub18BlockScanAlgorithmE0EfEvPT2_
    .private_segment_fixed_size: 0
    .sgpr_count:     18
    .sgpr_spill_count: 0
    .symbol:         _Z27inclusive_scan_array_kernelILj37ELj2ELN6hipcub18BlockScanAlgorithmE0EfEvPT2_.kd
    .uniform_work_group_size: 1
    .uses_dynamic_stack: false
    .vgpr_count:     12
    .vgpr_spill_count: 0
    .wavefront_size: 32
    .workgroup_processor_mode: 1
  - .args:
      - .address_space:  global
        .offset:         0
        .size:           8
        .value_kind:     global_buffer
    .group_segment_fixed_size: 64
    .kernarg_segment_align: 8
    .kernarg_segment_size: 8
    .language:       OpenCL C
    .language_version:
      - 2
      - 0
    .max_flat_workgroup_size: 512
    .name:           _Z27inclusive_scan_array_kernelILj512ELj4ELN6hipcub18BlockScanAlgorithmE0EiEvPT2_
    .private_segment_fixed_size: 0
    .sgpr_count:     18
    .sgpr_spill_count: 0
    .symbol:         _Z27inclusive_scan_array_kernelILj512ELj4ELN6hipcub18BlockScanAlgorithmE0EiEvPT2_.kd
    .uniform_work_group_size: 1
    .uses_dynamic_stack: false
    .vgpr_count:     13
    .vgpr_spill_count: 0
    .wavefront_size: 32
    .workgroup_processor_mode: 1
  - .args:
      - .address_space:  global
        .offset:         0
        .size:           8
        .value_kind:     global_buffer
    .group_segment_fixed_size: 32
    .kernarg_segment_align: 8
    .kernarg_segment_size: 8
    .language:       OpenCL C
    .language_version:
      - 2
      - 0
    .max_flat_workgroup_size: 256
    .name:           _Z27inclusive_scan_array_kernelILj256ELj3ELN6hipcub18BlockScanAlgorithmE0EjEvPT2_
    .private_segment_fixed_size: 0
    .sgpr_count:     18
    .sgpr_spill_count: 0
    .symbol:         _Z27inclusive_scan_array_kernelILj256ELj3ELN6hipcub18BlockScanAlgorithmE0EjEvPT2_.kd
    .uniform_work_group_size: 1
    .uses_dynamic_stack: false
    .vgpr_count:     17
    .vgpr_spill_count: 0
    .wavefront_size: 32
    .workgroup_processor_mode: 1
  - .args:
      - .address_space:  global
        .offset:         0
        .size:           8
        .value_kind:     global_buffer
    .group_segment_fixed_size: 4
    .kernarg_segment_align: 8
    .kernarg_segment_size: 8
    .language:       OpenCL C
    .language_version:
      - 2
      - 0
    .max_flat_workgroup_size: 32
    .name:           _Z27inclusive_scan_array_kernelILj32ELj2ELN6hipcub18BlockScanAlgorithmE0EfEvPT2_
    .private_segment_fixed_size: 0
    .sgpr_count:     18
    .sgpr_spill_count: 0
    .symbol:         _Z27inclusive_scan_array_kernelILj32ELj2ELN6hipcub18BlockScanAlgorithmE0EfEvPT2_.kd
    .uniform_work_group_size: 1
    .uses_dynamic_stack: false
    .vgpr_count:     10
    .vgpr_spill_count: 0
    .wavefront_size: 32
    .workgroup_processor_mode: 1
  - .args:
      - .address_space:  global
        .offset:         0
        .size:           8
        .value_kind:     global_buffer
    .group_segment_fixed_size: 4
    .kernarg_segment_align: 8
    .kernarg_segment_size: 8
    .language:       OpenCL C
    .language_version:
      - 2
      - 0
    .max_flat_workgroup_size: 6
    .name:           _Z27inclusive_scan_array_kernelILj6ELj32ELN6hipcub18BlockScanAlgorithmE0EfEvPT2_
    .private_segment_fixed_size: 0
    .sgpr_count:     18
    .sgpr_spill_count: 0
    .symbol:         _Z27inclusive_scan_array_kernelILj6ELj32ELN6hipcub18BlockScanAlgorithmE0EfEvPT2_.kd
    .uniform_work_group_size: 1
    .uses_dynamic_stack: false
    .vgpr_count:     40
    .vgpr_spill_count: 0
    .wavefront_size: 32
    .workgroup_processor_mode: 1
  - .args:
      - .address_space:  global
        .offset:         0
        .size:           8
        .value_kind:     global_buffer
      - .address_space:  global
        .offset:         8
        .size:           8
        .value_kind:     global_buffer
    .group_segment_fixed_size: 2
    .kernarg_segment_align: 8
    .kernarg_segment_size: 16
    .language:       OpenCL C
    .language_version:
      - 2
      - 0
    .max_flat_workgroup_size: 16
    .name:           _Z34inclusive_scan_reduce_array_kernelILj16ELj5ELN6hipcub18BlockScanAlgorithmE1E12hip_bfloat16EvPT2_S4_
    .private_segment_fixed_size: 0
    .sgpr_count:     18
    .sgpr_spill_count: 0
    .symbol:         _Z34inclusive_scan_reduce_array_kernelILj16ELj5ELN6hipcub18BlockScanAlgorithmE1E12hip_bfloat16EvPT2_S4_.kd
    .uniform_work_group_size: 1
    .uses_dynamic_stack: false
    .vgpr_count:     25
    .vgpr_spill_count: 0
    .wavefront_size: 32
    .workgroup_processor_mode: 1
  - .args:
      - .address_space:  global
        .offset:         0
        .size:           8
        .value_kind:     global_buffer
      - .address_space:  global
        .offset:         8
        .size:           8
        .value_kind:     global_buffer
    .group_segment_fixed_size: 192
    .kernarg_segment_align: 8
    .kernarg_segment_size: 16
    .language:       OpenCL C
    .language_version:
      - 2
      - 0
    .max_flat_workgroup_size: 65
    .name:           _Z34inclusive_scan_reduce_array_kernelILj65ELj5ELN6hipcub18BlockScanAlgorithmE1E6__halfEvPT2_S4_
    .private_segment_fixed_size: 0
    .sgpr_count:     18
    .sgpr_spill_count: 0
    .symbol:         _Z34inclusive_scan_reduce_array_kernelILj65ELj5ELN6hipcub18BlockScanAlgorithmE1E6__halfEvPT2_S4_.kd
    .uniform_work_group_size: 1
    .uses_dynamic_stack: false
    .vgpr_count:     27
    .vgpr_spill_count: 0
    .wavefront_size: 32
    .workgroup_processor_mode: 1
  - .args:
      - .address_space:  global
        .offset:         0
        .size:           8
        .value_kind:     global_buffer
      - .address_space:  global
        .offset:         8
        .size:           8
        .value_kind:     global_buffer
    .group_segment_fixed_size: 1056
    .kernarg_segment_align: 8
    .kernarg_segment_size: 16
    .language:       OpenCL C
    .language_version:
      - 2
      - 0
    .max_flat_workgroup_size: 255
    .name:           _Z34inclusive_scan_reduce_array_kernelILj255ELj15ELN6hipcub18BlockScanAlgorithmE1EfEvPT2_S3_
    .private_segment_fixed_size: 0
    .sgpr_count:     18
    .sgpr_spill_count: 0
    .symbol:         _Z34inclusive_scan_reduce_array_kernelILj255ELj15ELN6hipcub18BlockScanAlgorithmE1EfEvPT2_S3_.kd
    .uniform_work_group_size: 1
    .uses_dynamic_stack: false
    .vgpr_count:     61
    .vgpr_spill_count: 0
    .wavefront_size: 32
    .workgroup_processor_mode: 1
  - .args:
      - .address_space:  global
        .offset:         0
        .size:           8
        .value_kind:     global_buffer
      - .address_space:  global
        .offset:         8
        .size:           8
        .value_kind:     global_buffer
    .group_segment_fixed_size: 768
    .kernarg_segment_align: 8
    .kernarg_segment_size: 16
    .language:       OpenCL C
    .language_version:
      - 2
      - 0
    .max_flat_workgroup_size: 162
    .name:           _Z34inclusive_scan_reduce_array_kernelILj162ELj7ELN6hipcub18BlockScanAlgorithmE1EfEvPT2_S3_
    .private_segment_fixed_size: 0
    .sgpr_count:     18
    .sgpr_spill_count: 0
    .symbol:         _Z34inclusive_scan_reduce_array_kernelILj162ELj7ELN6hipcub18BlockScanAlgorithmE1EfEvPT2_S3_.kd
    .uniform_work_group_size: 1
    .uses_dynamic_stack: false
    .vgpr_count:     36
    .vgpr_spill_count: 0
    .wavefront_size: 32
    .workgroup_processor_mode: 1
  - .args:
      - .address_space:  global
        .offset:         0
        .size:           8
        .value_kind:     global_buffer
      - .address_space:  global
        .offset:         8
        .size:           8
        .value_kind:     global_buffer
    .group_segment_fixed_size: 384
    .kernarg_segment_align: 8
    .kernarg_segment_size: 16
    .language:       OpenCL C
    .language_version:
      - 2
      - 0
    .max_flat_workgroup_size: 65
    .name:           _Z34inclusive_scan_reduce_array_kernelILj65ELj5ELN6hipcub18BlockScanAlgorithmE1EfEvPT2_S3_
    .private_segment_fixed_size: 0
    .sgpr_count:     18
    .sgpr_spill_count: 0
    .symbol:         _Z34inclusive_scan_reduce_array_kernelILj65ELj5ELN6hipcub18BlockScanAlgorithmE1EfEvPT2_S3_.kd
    .uniform_work_group_size: 1
    .uses_dynamic_stack: false
    .vgpr_count:     27
    .vgpr_spill_count: 0
    .wavefront_size: 32
    .workgroup_processor_mode: 1
  - .args:
      - .address_space:  global
        .offset:         0
        .size:           8
        .value_kind:     global_buffer
      - .address_space:  global
        .offset:         8
        .size:           8
        .value_kind:     global_buffer
    .group_segment_fixed_size: 264
    .kernarg_segment_align: 8
    .kernarg_segment_size: 16
    .language:       OpenCL C
    .language_version:
      - 2
      - 0
    .max_flat_workgroup_size: 37
    .name:           _Z34inclusive_scan_reduce_array_kernelILj37ELj2ELN6hipcub18BlockScanAlgorithmE1EfEvPT2_S3_
    .private_segment_fixed_size: 0
    .sgpr_count:     18
    .sgpr_spill_count: 0
    .symbol:         _Z34inclusive_scan_reduce_array_kernelILj37ELj2ELN6hipcub18BlockScanAlgorithmE1EfEvPT2_S3_.kd
    .uniform_work_group_size: 1
    .uses_dynamic_stack: false
    .vgpr_count:     14
    .vgpr_spill_count: 0
    .wavefront_size: 32
    .workgroup_processor_mode: 1
  - .args:
      - .address_space:  global
        .offset:         0
        .size:           8
        .value_kind:     global_buffer
      - .address_space:  global
        .offset:         8
        .size:           8
        .value_kind:     global_buffer
    .group_segment_fixed_size: 2112
    .kernarg_segment_align: 8
    .kernarg_segment_size: 16
    .language:       OpenCL C
    .language_version:
      - 2
      - 0
    .max_flat_workgroup_size: 512
    .name:           _Z34inclusive_scan_reduce_array_kernelILj512ELj4ELN6hipcub18BlockScanAlgorithmE1EjEvPT2_S3_
    .private_segment_fixed_size: 0
    .sgpr_count:     18
    .sgpr_spill_count: 0
    .symbol:         _Z34inclusive_scan_reduce_array_kernelILj512ELj4ELN6hipcub18BlockScanAlgorithmE1EjEvPT2_S3_.kd
    .uniform_work_group_size: 1
    .uses_dynamic_stack: false
    .vgpr_count:     31
    .vgpr_spill_count: 0
    .wavefront_size: 32
    .workgroup_processor_mode: 1
  - .args:
      - .address_space:  global
        .offset:         0
        .size:           8
        .value_kind:     global_buffer
      - .address_space:  global
        .offset:         8
        .size:           8
        .value_kind:     global_buffer
    .group_segment_fixed_size: 1056
    .kernarg_segment_align: 8
    .kernarg_segment_size: 16
    .language:       OpenCL C
    .language_version:
      - 2
      - 0
    .max_flat_workgroup_size: 256
    .name:           _Z34inclusive_scan_reduce_array_kernelILj256ELj3ELN6hipcub18BlockScanAlgorithmE1EiEvPT2_S3_
    .private_segment_fixed_size: 0
    .sgpr_count:     18
    .sgpr_spill_count: 0
    .symbol:         _Z34inclusive_scan_reduce_array_kernelILj256ELj3ELN6hipcub18BlockScanAlgorithmE1EiEvPT2_S3_.kd
    .uniform_work_group_size: 1
    .uses_dynamic_stack: false
    .vgpr_count:     26
    .vgpr_spill_count: 0
    .wavefront_size: 32
    .workgroup_processor_mode: 1
  - .args:
      - .address_space:  global
        .offset:         0
        .size:           8
        .value_kind:     global_buffer
      - .address_space:  global
        .offset:         8
        .size:           8
        .value_kind:     global_buffer
    .group_segment_fixed_size: 4
    .kernarg_segment_align: 8
    .kernarg_segment_size: 16
    .language:       OpenCL C
    .language_version:
      - 2
      - 0
    .max_flat_workgroup_size: 32
    .name:           _Z34inclusive_scan_reduce_array_kernelILj32ELj2ELN6hipcub18BlockScanAlgorithmE1EfEvPT2_S3_
    .private_segment_fixed_size: 0
    .sgpr_count:     18
    .sgpr_spill_count: 0
    .symbol:         _Z34inclusive_scan_reduce_array_kernelILj32ELj2ELN6hipcub18BlockScanAlgorithmE1EfEvPT2_S3_.kd
    .uniform_work_group_size: 1
    .uses_dynamic_stack: false
    .vgpr_count:     10
    .vgpr_spill_count: 0
    .wavefront_size: 32
    .workgroup_processor_mode: 1
  - .args:
      - .address_space:  global
        .offset:         0
        .size:           8
        .value_kind:     global_buffer
      - .address_space:  global
        .offset:         8
        .size:           8
        .value_kind:     global_buffer
    .group_segment_fixed_size: 4
    .kernarg_segment_align: 8
    .kernarg_segment_size: 16
    .language:       OpenCL C
    .language_version:
      - 2
      - 0
    .max_flat_workgroup_size: 6
    .name:           _Z34inclusive_scan_reduce_array_kernelILj6ELj32ELN6hipcub18BlockScanAlgorithmE1EfEvPT2_S3_
    .private_segment_fixed_size: 0
    .sgpr_count:     18
    .sgpr_spill_count: 0
    .symbol:         _Z34inclusive_scan_reduce_array_kernelILj6ELj32ELN6hipcub18BlockScanAlgorithmE1EfEvPT2_S3_.kd
    .uniform_work_group_size: 1
    .uses_dynamic_stack: false
    .vgpr_count:     40
    .vgpr_spill_count: 0
    .wavefront_size: 32
    .workgroup_processor_mode: 1
  - .args:
      - .address_space:  global
        .offset:         0
        .size:           8
        .value_kind:     global_buffer
      - .address_space:  global
        .offset:         8
        .size:           8
        .value_kind:     global_buffer
    .group_segment_fixed_size: 2
    .kernarg_segment_align: 8
    .kernarg_segment_size: 16
    .language:       OpenCL C
    .language_version:
      - 2
      - 0
    .max_flat_workgroup_size: 16
    .name:           _Z34inclusive_scan_reduce_array_kernelILj16ELj5ELN6hipcub18BlockScanAlgorithmE0E12hip_bfloat16EvPT2_S4_
    .private_segment_fixed_size: 0
    .sgpr_count:     18
    .sgpr_spill_count: 0
    .symbol:         _Z34inclusive_scan_reduce_array_kernelILj16ELj5ELN6hipcub18BlockScanAlgorithmE0E12hip_bfloat16EvPT2_S4_.kd
    .uniform_work_group_size: 1
    .uses_dynamic_stack: false
    .vgpr_count:     25
    .vgpr_spill_count: 0
    .wavefront_size: 32
    .workgroup_processor_mode: 1
  - .args:
      - .address_space:  global
        .offset:         0
        .size:           8
        .value_kind:     global_buffer
      - .address_space:  global
        .offset:         8
        .size:           8
        .value_kind:     global_buffer
    .group_segment_fixed_size: 6
    .kernarg_segment_align: 8
    .kernarg_segment_size: 16
    .language:       OpenCL C
    .language_version:
      - 2
      - 0
    .max_flat_workgroup_size: 65
    .name:           _Z34inclusive_scan_reduce_array_kernelILj65ELj5ELN6hipcub18BlockScanAlgorithmE0E6__halfEvPT2_S4_
    .private_segment_fixed_size: 0
    .sgpr_count:     18
    .sgpr_spill_count: 0
    .symbol:         _Z34inclusive_scan_reduce_array_kernelILj65ELj5ELN6hipcub18BlockScanAlgorithmE0E6__halfEvPT2_S4_.kd
    .uniform_work_group_size: 1
    .uses_dynamic_stack: false
    .vgpr_count:     23
    .vgpr_spill_count: 0
    .wavefront_size: 32
    .workgroup_processor_mode: 1
  - .args:
      - .address_space:  global
        .offset:         0
        .size:           8
        .value_kind:     global_buffer
      - .address_space:  global
        .offset:         8
        .size:           8
        .value_kind:     global_buffer
    .group_segment_fixed_size: 32
    .kernarg_segment_align: 8
    .kernarg_segment_size: 16
    .language:       OpenCL C
    .language_version:
      - 2
      - 0
    .max_flat_workgroup_size: 255
    .name:           _Z34inclusive_scan_reduce_array_kernelILj255ELj15ELN6hipcub18BlockScanAlgorithmE0EfEvPT2_S3_
    .private_segment_fixed_size: 0
    .sgpr_count:     18
    .sgpr_spill_count: 0
    .symbol:         _Z34inclusive_scan_reduce_array_kernelILj255ELj15ELN6hipcub18BlockScanAlgorithmE0EfEvPT2_S3_.kd
    .uniform_work_group_size: 1
    .uses_dynamic_stack: false
    .vgpr_count:     53
    .vgpr_spill_count: 0
    .wavefront_size: 32
    .workgroup_processor_mode: 1
  - .args:
      - .address_space:  global
        .offset:         0
        .size:           8
        .value_kind:     global_buffer
      - .address_space:  global
        .offset:         8
        .size:           8
        .value_kind:     global_buffer
    .group_segment_fixed_size: 24
    .kernarg_segment_align: 8
    .kernarg_segment_size: 16
    .language:       OpenCL C
    .language_version:
      - 2
      - 0
    .max_flat_workgroup_size: 162
    .name:           _Z34inclusive_scan_reduce_array_kernelILj162ELj7ELN6hipcub18BlockScanAlgorithmE0EfEvPT2_S3_
    .private_segment_fixed_size: 0
    .sgpr_count:     18
    .sgpr_spill_count: 0
    .symbol:         _Z34inclusive_scan_reduce_array_kernelILj162ELj7ELN6hipcub18BlockScanAlgorithmE0EfEvPT2_S3_.kd
    .uniform_work_group_size: 1
    .uses_dynamic_stack: false
    .vgpr_count:     29
    .vgpr_spill_count: 0
    .wavefront_size: 32
    .workgroup_processor_mode: 1
  - .args:
      - .address_space:  global
        .offset:         0
        .size:           8
        .value_kind:     global_buffer
      - .address_space:  global
        .offset:         8
        .size:           8
        .value_kind:     global_buffer
    .group_segment_fixed_size: 12
    .kernarg_segment_align: 8
    .kernarg_segment_size: 16
    .language:       OpenCL C
    .language_version:
      - 2
      - 0
    .max_flat_workgroup_size: 65
    .name:           _Z34inclusive_scan_reduce_array_kernelILj65ELj5ELN6hipcub18BlockScanAlgorithmE0EfEvPT2_S3_
    .private_segment_fixed_size: 0
    .sgpr_count:     18
    .sgpr_spill_count: 0
    .symbol:         _Z34inclusive_scan_reduce_array_kernelILj65ELj5ELN6hipcub18BlockScanAlgorithmE0EfEvPT2_S3_.kd
    .uniform_work_group_size: 1
    .uses_dynamic_stack: false
    .vgpr_count:     23
    .vgpr_spill_count: 0
    .wavefront_size: 32
    .workgroup_processor_mode: 1
  - .args:
      - .address_space:  global
        .offset:         0
        .size:           8
        .value_kind:     global_buffer
      - .address_space:  global
        .offset:         8
        .size:           8
        .value_kind:     global_buffer
    .group_segment_fixed_size: 8
    .kernarg_segment_align: 8
    .kernarg_segment_size: 16
    .language:       OpenCL C
    .language_version:
      - 2
      - 0
    .max_flat_workgroup_size: 37
    .name:           _Z34inclusive_scan_reduce_array_kernelILj37ELj2ELN6hipcub18BlockScanAlgorithmE0EfEvPT2_S3_
    .private_segment_fixed_size: 0
    .sgpr_count:     18
    .sgpr_spill_count: 0
    .symbol:         _Z34inclusive_scan_reduce_array_kernelILj37ELj2ELN6hipcub18BlockScanAlgorithmE0EfEvPT2_S3_.kd
    .uniform_work_group_size: 1
    .uses_dynamic_stack: false
    .vgpr_count:     12
    .vgpr_spill_count: 0
    .wavefront_size: 32
    .workgroup_processor_mode: 1
  - .args:
      - .address_space:  global
        .offset:         0
        .size:           8
        .value_kind:     global_buffer
      - .address_space:  global
        .offset:         8
        .size:           8
        .value_kind:     global_buffer
    .group_segment_fixed_size: 64
    .kernarg_segment_align: 8
    .kernarg_segment_size: 16
    .language:       OpenCL C
    .language_version:
      - 2
      - 0
    .max_flat_workgroup_size: 512
    .name:           _Z34inclusive_scan_reduce_array_kernelILj512ELj4ELN6hipcub18BlockScanAlgorithmE0EiEvPT2_S3_
    .private_segment_fixed_size: 0
    .sgpr_count:     18
    .sgpr_spill_count: 0
    .symbol:         _Z34inclusive_scan_reduce_array_kernelILj512ELj4ELN6hipcub18BlockScanAlgorithmE0EiEvPT2_S3_.kd
    .uniform_work_group_size: 1
    .uses_dynamic_stack: false
    .vgpr_count:     13
    .vgpr_spill_count: 0
    .wavefront_size: 32
    .workgroup_processor_mode: 1
  - .args:
      - .address_space:  global
        .offset:         0
        .size:           8
        .value_kind:     global_buffer
      - .address_space:  global
        .offset:         8
        .size:           8
        .value_kind:     global_buffer
    .group_segment_fixed_size: 32
    .kernarg_segment_align: 8
    .kernarg_segment_size: 16
    .language:       OpenCL C
    .language_version:
      - 2
      - 0
    .max_flat_workgroup_size: 256
    .name:           _Z34inclusive_scan_reduce_array_kernelILj256ELj3ELN6hipcub18BlockScanAlgorithmE0EjEvPT2_S3_
    .private_segment_fixed_size: 0
    .sgpr_count:     18
    .sgpr_spill_count: 0
    .symbol:         _Z34inclusive_scan_reduce_array_kernelILj256ELj3ELN6hipcub18BlockScanAlgorithmE0EjEvPT2_S3_.kd
    .uniform_work_group_size: 1
    .uses_dynamic_stack: false
    .vgpr_count:     17
    .vgpr_spill_count: 0
    .wavefront_size: 32
    .workgroup_processor_mode: 1
  - .args:
      - .address_space:  global
        .offset:         0
        .size:           8
        .value_kind:     global_buffer
      - .address_space:  global
        .offset:         8
        .size:           8
        .value_kind:     global_buffer
    .group_segment_fixed_size: 4
    .kernarg_segment_align: 8
    .kernarg_segment_size: 16
    .language:       OpenCL C
    .language_version:
      - 2
      - 0
    .max_flat_workgroup_size: 32
    .name:           _Z34inclusive_scan_reduce_array_kernelILj32ELj2ELN6hipcub18BlockScanAlgorithmE0EfEvPT2_S3_
    .private_segment_fixed_size: 0
    .sgpr_count:     18
    .sgpr_spill_count: 0
    .symbol:         _Z34inclusive_scan_reduce_array_kernelILj32ELj2ELN6hipcub18BlockScanAlgorithmE0EfEvPT2_S3_.kd
    .uniform_work_group_size: 1
    .uses_dynamic_stack: false
    .vgpr_count:     10
    .vgpr_spill_count: 0
    .wavefront_size: 32
    .workgroup_processor_mode: 1
  - .args:
      - .address_space:  global
        .offset:         0
        .size:           8
        .value_kind:     global_buffer
      - .address_space:  global
        .offset:         8
        .size:           8
        .value_kind:     global_buffer
    .group_segment_fixed_size: 4
    .kernarg_segment_align: 8
    .kernarg_segment_size: 16
    .language:       OpenCL C
    .language_version:
      - 2
      - 0
    .max_flat_workgroup_size: 6
    .name:           _Z34inclusive_scan_reduce_array_kernelILj6ELj32ELN6hipcub18BlockScanAlgorithmE0EfEvPT2_S3_
    .private_segment_fixed_size: 0
    .sgpr_count:     18
    .sgpr_spill_count: 0
    .symbol:         _Z34inclusive_scan_reduce_array_kernelILj6ELj32ELN6hipcub18BlockScanAlgorithmE0EfEvPT2_S3_.kd
    .uniform_work_group_size: 1
    .uses_dynamic_stack: false
    .vgpr_count:     40
    .vgpr_spill_count: 0
    .wavefront_size: 32
    .workgroup_processor_mode: 1
  - .args:
      - .address_space:  global
        .offset:         0
        .size:           8
        .value_kind:     global_buffer
      - .address_space:  global
        .offset:         8
        .size:           8
        .value_kind:     global_buffer
      - .offset:         16
        .size:           2
        .value_kind:     by_value
    .group_segment_fixed_size: 2
    .kernarg_segment_align: 8
    .kernarg_segment_size: 20
    .language:       OpenCL C
    .language_version:
      - 2
      - 0
    .max_flat_workgroup_size: 16
    .name:           _Z43inclusive_scan_array_prefix_callback_kernelILj16ELj5ELN6hipcub18BlockScanAlgorithmE1E12hip_bfloat16EvPT2_S4_S3_
    .private_segment_fixed_size: 0
    .sgpr_count:     18
    .sgpr_spill_count: 0
    .symbol:         _Z43inclusive_scan_array_prefix_callback_kernelILj16ELj5ELN6hipcub18BlockScanAlgorithmE1E12hip_bfloat16EvPT2_S4_S3_.kd
    .uniform_work_group_size: 1
    .uses_dynamic_stack: false
    .vgpr_count:     23
    .vgpr_spill_count: 0
    .wavefront_size: 32
    .workgroup_processor_mode: 1
  - .args:
      - .address_space:  global
        .offset:         0
        .size:           8
        .value_kind:     global_buffer
      - .address_space:  global
        .offset:         8
        .size:           8
        .value_kind:     global_buffer
      - .offset:         16
        .size:           2
        .value_kind:     by_value
    .group_segment_fixed_size: 192
    .kernarg_segment_align: 8
    .kernarg_segment_size: 20
    .language:       OpenCL C
    .language_version:
      - 2
      - 0
    .max_flat_workgroup_size: 65
    .name:           _Z43inclusive_scan_array_prefix_callback_kernelILj65ELj5ELN6hipcub18BlockScanAlgorithmE1E6__halfEvPT2_S4_S3_
    .private_segment_fixed_size: 0
    .sgpr_count:     18
    .sgpr_spill_count: 0
    .symbol:         _Z43inclusive_scan_array_prefix_callback_kernelILj65ELj5ELN6hipcub18BlockScanAlgorithmE1E6__halfEvPT2_S4_S3_.kd
    .uniform_work_group_size: 1
    .uses_dynamic_stack: false
    .vgpr_count:     27
    .vgpr_spill_count: 0
    .wavefront_size: 32
    .workgroup_processor_mode: 1
  - .args:
      - .address_space:  global
        .offset:         0
        .size:           8
        .value_kind:     global_buffer
      - .address_space:  global
        .offset:         8
        .size:           8
        .value_kind:     global_buffer
      - .offset:         16
        .size:           4
        .value_kind:     by_value
    .group_segment_fixed_size: 1056
    .kernarg_segment_align: 8
    .kernarg_segment_size: 20
    .language:       OpenCL C
    .language_version:
      - 2
      - 0
    .max_flat_workgroup_size: 255
    .name:           _Z43inclusive_scan_array_prefix_callback_kernelILj255ELj15ELN6hipcub18BlockScanAlgorithmE1EfEvPT2_S3_S2_
    .private_segment_fixed_size: 0
    .sgpr_count:     18
    .sgpr_spill_count: 0
    .symbol:         _Z43inclusive_scan_array_prefix_callback_kernelILj255ELj15ELN6hipcub18BlockScanAlgorithmE1EfEvPT2_S3_S2_.kd
    .uniform_work_group_size: 1
    .uses_dynamic_stack: false
    .vgpr_count:     61
    .vgpr_spill_count: 0
    .wavefront_size: 32
    .workgroup_processor_mode: 1
  - .args:
      - .address_space:  global
        .offset:         0
        .size:           8
        .value_kind:     global_buffer
      - .address_space:  global
        .offset:         8
        .size:           8
        .value_kind:     global_buffer
      - .offset:         16
        .size:           4
        .value_kind:     by_value
    .group_segment_fixed_size: 768
    .kernarg_segment_align: 8
    .kernarg_segment_size: 20
    .language:       OpenCL C
    .language_version:
      - 2
      - 0
    .max_flat_workgroup_size: 162
    .name:           _Z43inclusive_scan_array_prefix_callback_kernelILj162ELj7ELN6hipcub18BlockScanAlgorithmE1EfEvPT2_S3_S2_
    .private_segment_fixed_size: 0
    .sgpr_count:     18
    .sgpr_spill_count: 0
    .symbol:         _Z43inclusive_scan_array_prefix_callback_kernelILj162ELj7ELN6hipcub18BlockScanAlgorithmE1EfEvPT2_S3_S2_.kd
    .uniform_work_group_size: 1
    .uses_dynamic_stack: false
    .vgpr_count:     36
    .vgpr_spill_count: 0
    .wavefront_size: 32
    .workgroup_processor_mode: 1
  - .args:
      - .address_space:  global
        .offset:         0
        .size:           8
        .value_kind:     global_buffer
      - .address_space:  global
        .offset:         8
        .size:           8
        .value_kind:     global_buffer
      - .offset:         16
        .size:           4
        .value_kind:     by_value
    .group_segment_fixed_size: 384
    .kernarg_segment_align: 8
    .kernarg_segment_size: 20
    .language:       OpenCL C
    .language_version:
      - 2
      - 0
    .max_flat_workgroup_size: 65
    .name:           _Z43inclusive_scan_array_prefix_callback_kernelILj65ELj5ELN6hipcub18BlockScanAlgorithmE1EfEvPT2_S3_S2_
    .private_segment_fixed_size: 0
    .sgpr_count:     18
    .sgpr_spill_count: 0
    .symbol:         _Z43inclusive_scan_array_prefix_callback_kernelILj65ELj5ELN6hipcub18BlockScanAlgorithmE1EfEvPT2_S3_S2_.kd
    .uniform_work_group_size: 1
    .uses_dynamic_stack: false
    .vgpr_count:     27
    .vgpr_spill_count: 0
    .wavefront_size: 32
    .workgroup_processor_mode: 1
  - .args:
      - .address_space:  global
        .offset:         0
        .size:           8
        .value_kind:     global_buffer
      - .address_space:  global
        .offset:         8
        .size:           8
        .value_kind:     global_buffer
      - .offset:         16
        .size:           4
        .value_kind:     by_value
    .group_segment_fixed_size: 264
    .kernarg_segment_align: 8
    .kernarg_segment_size: 20
    .language:       OpenCL C
    .language_version:
      - 2
      - 0
    .max_flat_workgroup_size: 37
    .name:           _Z43inclusive_scan_array_prefix_callback_kernelILj37ELj2ELN6hipcub18BlockScanAlgorithmE1EfEvPT2_S3_S2_
    .private_segment_fixed_size: 0
    .sgpr_count:     18
    .sgpr_spill_count: 0
    .symbol:         _Z43inclusive_scan_array_prefix_callback_kernelILj37ELj2ELN6hipcub18BlockScanAlgorithmE1EfEvPT2_S3_S2_.kd
    .uniform_work_group_size: 1
    .uses_dynamic_stack: false
    .vgpr_count:     14
    .vgpr_spill_count: 0
    .wavefront_size: 32
    .workgroup_processor_mode: 1
  - .args:
      - .address_space:  global
        .offset:         0
        .size:           8
        .value_kind:     global_buffer
      - .address_space:  global
        .offset:         8
        .size:           8
        .value_kind:     global_buffer
      - .offset:         16
        .size:           4
        .value_kind:     by_value
    .group_segment_fixed_size: 2112
    .kernarg_segment_align: 8
    .kernarg_segment_size: 20
    .language:       OpenCL C
    .language_version:
      - 2
      - 0
    .max_flat_workgroup_size: 512
    .name:           _Z43inclusive_scan_array_prefix_callback_kernelILj512ELj4ELN6hipcub18BlockScanAlgorithmE1EjEvPT2_S3_S2_
    .private_segment_fixed_size: 0
    .sgpr_count:     18
    .sgpr_spill_count: 0
    .symbol:         _Z43inclusive_scan_array_prefix_callback_kernelILj512ELj4ELN6hipcub18BlockScanAlgorithmE1EjEvPT2_S3_S2_.kd
    .uniform_work_group_size: 1
    .uses_dynamic_stack: false
    .vgpr_count:     31
    .vgpr_spill_count: 0
    .wavefront_size: 32
    .workgroup_processor_mode: 1
  - .args:
      - .address_space:  global
        .offset:         0
        .size:           8
        .value_kind:     global_buffer
      - .address_space:  global
        .offset:         8
        .size:           8
        .value_kind:     global_buffer
      - .offset:         16
        .size:           4
        .value_kind:     by_value
    .group_segment_fixed_size: 1056
    .kernarg_segment_align: 8
    .kernarg_segment_size: 20
    .language:       OpenCL C
    .language_version:
      - 2
      - 0
    .max_flat_workgroup_size: 256
    .name:           _Z43inclusive_scan_array_prefix_callback_kernelILj256ELj3ELN6hipcub18BlockScanAlgorithmE1EiEvPT2_S3_S2_
    .private_segment_fixed_size: 0
    .sgpr_count:     18
    .sgpr_spill_count: 0
    .symbol:         _Z43inclusive_scan_array_prefix_callback_kernelILj256ELj3ELN6hipcub18BlockScanAlgorithmE1EiEvPT2_S3_S2_.kd
    .uniform_work_group_size: 1
    .uses_dynamic_stack: false
    .vgpr_count:     26
    .vgpr_spill_count: 0
    .wavefront_size: 32
    .workgroup_processor_mode: 1
  - .args:
      - .address_space:  global
        .offset:         0
        .size:           8
        .value_kind:     global_buffer
      - .address_space:  global
        .offset:         8
        .size:           8
        .value_kind:     global_buffer
      - .offset:         16
        .size:           4
        .value_kind:     by_value
    .group_segment_fixed_size: 4
    .kernarg_segment_align: 8
    .kernarg_segment_size: 20
    .language:       OpenCL C
    .language_version:
      - 2
      - 0
    .max_flat_workgroup_size: 32
    .name:           _Z43inclusive_scan_array_prefix_callback_kernelILj32ELj2ELN6hipcub18BlockScanAlgorithmE1EfEvPT2_S3_S2_
    .private_segment_fixed_size: 0
    .sgpr_count:     18
    .sgpr_spill_count: 0
    .symbol:         _Z43inclusive_scan_array_prefix_callback_kernelILj32ELj2ELN6hipcub18BlockScanAlgorithmE1EfEvPT2_S3_S2_.kd
    .uniform_work_group_size: 1
    .uses_dynamic_stack: false
    .vgpr_count:     10
    .vgpr_spill_count: 0
    .wavefront_size: 32
    .workgroup_processor_mode: 1
  - .args:
      - .address_space:  global
        .offset:         0
        .size:           8
        .value_kind:     global_buffer
      - .address_space:  global
        .offset:         8
        .size:           8
        .value_kind:     global_buffer
      - .offset:         16
        .size:           4
        .value_kind:     by_value
    .group_segment_fixed_size: 4
    .kernarg_segment_align: 8
    .kernarg_segment_size: 20
    .language:       OpenCL C
    .language_version:
      - 2
      - 0
    .max_flat_workgroup_size: 6
    .name:           _Z43inclusive_scan_array_prefix_callback_kernelILj6ELj32ELN6hipcub18BlockScanAlgorithmE1EfEvPT2_S3_S2_
    .private_segment_fixed_size: 0
    .sgpr_count:     18
    .sgpr_spill_count: 0
    .symbol:         _Z43inclusive_scan_array_prefix_callback_kernelILj6ELj32ELN6hipcub18BlockScanAlgorithmE1EfEvPT2_S3_S2_.kd
    .uniform_work_group_size: 1
    .uses_dynamic_stack: false
    .vgpr_count:     40
    .vgpr_spill_count: 0
    .wavefront_size: 32
    .workgroup_processor_mode: 1
  - .args:
      - .address_space:  global
        .offset:         0
        .size:           8
        .value_kind:     global_buffer
      - .address_space:  global
        .offset:         8
        .size:           8
        .value_kind:     global_buffer
      - .offset:         16
        .size:           2
        .value_kind:     by_value
    .group_segment_fixed_size: 2
    .kernarg_segment_align: 8
    .kernarg_segment_size: 20
    .language:       OpenCL C
    .language_version:
      - 2
      - 0
    .max_flat_workgroup_size: 16
    .name:           _Z43inclusive_scan_array_prefix_callback_kernelILj16ELj5ELN6hipcub18BlockScanAlgorithmE0E12hip_bfloat16EvPT2_S4_S3_
    .private_segment_fixed_size: 0
    .sgpr_count:     18
    .sgpr_spill_count: 0
    .symbol:         _Z43inclusive_scan_array_prefix_callback_kernelILj16ELj5ELN6hipcub18BlockScanAlgorithmE0E12hip_bfloat16EvPT2_S4_S3_.kd
    .uniform_work_group_size: 1
    .uses_dynamic_stack: false
    .vgpr_count:     23
    .vgpr_spill_count: 0
    .wavefront_size: 32
    .workgroup_processor_mode: 1
  - .args:
      - .address_space:  global
        .offset:         0
        .size:           8
        .value_kind:     global_buffer
      - .address_space:  global
        .offset:         8
        .size:           8
        .value_kind:     global_buffer
      - .offset:         16
        .size:           2
        .value_kind:     by_value
    .group_segment_fixed_size: 6
    .kernarg_segment_align: 8
    .kernarg_segment_size: 20
    .language:       OpenCL C
    .language_version:
      - 2
      - 0
    .max_flat_workgroup_size: 65
    .name:           _Z43inclusive_scan_array_prefix_callback_kernelILj65ELj5ELN6hipcub18BlockScanAlgorithmE0E6__halfEvPT2_S4_S3_
    .private_segment_fixed_size: 0
    .sgpr_count:     18
    .sgpr_spill_count: 0
    .symbol:         _Z43inclusive_scan_array_prefix_callback_kernelILj65ELj5ELN6hipcub18BlockScanAlgorithmE0E6__halfEvPT2_S4_S3_.kd
    .uniform_work_group_size: 1
    .uses_dynamic_stack: false
    .vgpr_count:     23
    .vgpr_spill_count: 0
    .wavefront_size: 32
    .workgroup_processor_mode: 1
  - .args:
      - .address_space:  global
        .offset:         0
        .size:           8
        .value_kind:     global_buffer
      - .address_space:  global
        .offset:         8
        .size:           8
        .value_kind:     global_buffer
      - .offset:         16
        .size:           4
        .value_kind:     by_value
    .group_segment_fixed_size: 32
    .kernarg_segment_align: 8
    .kernarg_segment_size: 20
    .language:       OpenCL C
    .language_version:
      - 2
      - 0
    .max_flat_workgroup_size: 255
    .name:           _Z43inclusive_scan_array_prefix_callback_kernelILj255ELj15ELN6hipcub18BlockScanAlgorithmE0EfEvPT2_S3_S2_
    .private_segment_fixed_size: 0
    .sgpr_count:     18
    .sgpr_spill_count: 0
    .symbol:         _Z43inclusive_scan_array_prefix_callback_kernelILj255ELj15ELN6hipcub18BlockScanAlgorithmE0EfEvPT2_S3_S2_.kd
    .uniform_work_group_size: 1
    .uses_dynamic_stack: false
    .vgpr_count:     53
    .vgpr_spill_count: 0
    .wavefront_size: 32
    .workgroup_processor_mode: 1
  - .args:
      - .address_space:  global
        .offset:         0
        .size:           8
        .value_kind:     global_buffer
      - .address_space:  global
        .offset:         8
        .size:           8
        .value_kind:     global_buffer
      - .offset:         16
        .size:           4
        .value_kind:     by_value
    .group_segment_fixed_size: 24
    .kernarg_segment_align: 8
    .kernarg_segment_size: 20
    .language:       OpenCL C
    .language_version:
      - 2
      - 0
    .max_flat_workgroup_size: 162
    .name:           _Z43inclusive_scan_array_prefix_callback_kernelILj162ELj7ELN6hipcub18BlockScanAlgorithmE0EfEvPT2_S3_S2_
    .private_segment_fixed_size: 0
    .sgpr_count:     18
    .sgpr_spill_count: 0
    .symbol:         _Z43inclusive_scan_array_prefix_callback_kernelILj162ELj7ELN6hipcub18BlockScanAlgorithmE0EfEvPT2_S3_S2_.kd
    .uniform_work_group_size: 1
    .uses_dynamic_stack: false
    .vgpr_count:     29
    .vgpr_spill_count: 0
    .wavefront_size: 32
    .workgroup_processor_mode: 1
  - .args:
      - .address_space:  global
        .offset:         0
        .size:           8
        .value_kind:     global_buffer
      - .address_space:  global
        .offset:         8
        .size:           8
        .value_kind:     global_buffer
      - .offset:         16
        .size:           4
        .value_kind:     by_value
    .group_segment_fixed_size: 12
    .kernarg_segment_align: 8
    .kernarg_segment_size: 20
    .language:       OpenCL C
    .language_version:
      - 2
      - 0
    .max_flat_workgroup_size: 65
    .name:           _Z43inclusive_scan_array_prefix_callback_kernelILj65ELj5ELN6hipcub18BlockScanAlgorithmE0EfEvPT2_S3_S2_
    .private_segment_fixed_size: 0
    .sgpr_count:     18
    .sgpr_spill_count: 0
    .symbol:         _Z43inclusive_scan_array_prefix_callback_kernelILj65ELj5ELN6hipcub18BlockScanAlgorithmE0EfEvPT2_S3_S2_.kd
    .uniform_work_group_size: 1
    .uses_dynamic_stack: false
    .vgpr_count:     23
    .vgpr_spill_count: 0
    .wavefront_size: 32
    .workgroup_processor_mode: 1
  - .args:
      - .address_space:  global
        .offset:         0
        .size:           8
        .value_kind:     global_buffer
      - .address_space:  global
        .offset:         8
        .size:           8
        .value_kind:     global_buffer
      - .offset:         16
        .size:           4
        .value_kind:     by_value
    .group_segment_fixed_size: 8
    .kernarg_segment_align: 8
    .kernarg_segment_size: 20
    .language:       OpenCL C
    .language_version:
      - 2
      - 0
    .max_flat_workgroup_size: 37
    .name:           _Z43inclusive_scan_array_prefix_callback_kernelILj37ELj2ELN6hipcub18BlockScanAlgorithmE0EfEvPT2_S3_S2_
    .private_segment_fixed_size: 0
    .sgpr_count:     18
    .sgpr_spill_count: 0
    .symbol:         _Z43inclusive_scan_array_prefix_callback_kernelILj37ELj2ELN6hipcub18BlockScanAlgorithmE0EfEvPT2_S3_S2_.kd
    .uniform_work_group_size: 1
    .uses_dynamic_stack: false
    .vgpr_count:     12
    .vgpr_spill_count: 0
    .wavefront_size: 32
    .workgroup_processor_mode: 1
  - .args:
      - .address_space:  global
        .offset:         0
        .size:           8
        .value_kind:     global_buffer
      - .address_space:  global
        .offset:         8
        .size:           8
        .value_kind:     global_buffer
      - .offset:         16
        .size:           4
        .value_kind:     by_value
    .group_segment_fixed_size: 64
    .kernarg_segment_align: 8
    .kernarg_segment_size: 20
    .language:       OpenCL C
    .language_version:
      - 2
      - 0
    .max_flat_workgroup_size: 512
    .name:           _Z43inclusive_scan_array_prefix_callback_kernelILj512ELj4ELN6hipcub18BlockScanAlgorithmE0EiEvPT2_S3_S2_
    .private_segment_fixed_size: 0
    .sgpr_count:     18
    .sgpr_spill_count: 0
    .symbol:         _Z43inclusive_scan_array_prefix_callback_kernelILj512ELj4ELN6hipcub18BlockScanAlgorithmE0EiEvPT2_S3_S2_.kd
    .uniform_work_group_size: 1
    .uses_dynamic_stack: false
    .vgpr_count:     13
    .vgpr_spill_count: 0
    .wavefront_size: 32
    .workgroup_processor_mode: 1
  - .args:
      - .address_space:  global
        .offset:         0
        .size:           8
        .value_kind:     global_buffer
      - .address_space:  global
        .offset:         8
        .size:           8
        .value_kind:     global_buffer
      - .offset:         16
        .size:           4
        .value_kind:     by_value
    .group_segment_fixed_size: 32
    .kernarg_segment_align: 8
    .kernarg_segment_size: 20
    .language:       OpenCL C
    .language_version:
      - 2
      - 0
    .max_flat_workgroup_size: 256
    .name:           _Z43inclusive_scan_array_prefix_callback_kernelILj256ELj3ELN6hipcub18BlockScanAlgorithmE0EjEvPT2_S3_S2_
    .private_segment_fixed_size: 0
    .sgpr_count:     18
    .sgpr_spill_count: 0
    .symbol:         _Z43inclusive_scan_array_prefix_callback_kernelILj256ELj3ELN6hipcub18BlockScanAlgorithmE0EjEvPT2_S3_S2_.kd
    .uniform_work_group_size: 1
    .uses_dynamic_stack: false
    .vgpr_count:     17
    .vgpr_spill_count: 0
    .wavefront_size: 32
    .workgroup_processor_mode: 1
  - .args:
      - .address_space:  global
        .offset:         0
        .size:           8
        .value_kind:     global_buffer
      - .address_space:  global
        .offset:         8
        .size:           8
        .value_kind:     global_buffer
      - .offset:         16
        .size:           4
        .value_kind:     by_value
    .group_segment_fixed_size: 4
    .kernarg_segment_align: 8
    .kernarg_segment_size: 20
    .language:       OpenCL C
    .language_version:
      - 2
      - 0
    .max_flat_workgroup_size: 32
    .name:           _Z43inclusive_scan_array_prefix_callback_kernelILj32ELj2ELN6hipcub18BlockScanAlgorithmE0EfEvPT2_S3_S2_
    .private_segment_fixed_size: 0
    .sgpr_count:     18
    .sgpr_spill_count: 0
    .symbol:         _Z43inclusive_scan_array_prefix_callback_kernelILj32ELj2ELN6hipcub18BlockScanAlgorithmE0EfEvPT2_S3_S2_.kd
    .uniform_work_group_size: 1
    .uses_dynamic_stack: false
    .vgpr_count:     10
    .vgpr_spill_count: 0
    .wavefront_size: 32
    .workgroup_processor_mode: 1
  - .args:
      - .address_space:  global
        .offset:         0
        .size:           8
        .value_kind:     global_buffer
      - .address_space:  global
        .offset:         8
        .size:           8
        .value_kind:     global_buffer
      - .offset:         16
        .size:           4
        .value_kind:     by_value
    .group_segment_fixed_size: 4
    .kernarg_segment_align: 8
    .kernarg_segment_size: 20
    .language:       OpenCL C
    .language_version:
      - 2
      - 0
    .max_flat_workgroup_size: 6
    .name:           _Z43inclusive_scan_array_prefix_callback_kernelILj6ELj32ELN6hipcub18BlockScanAlgorithmE0EfEvPT2_S3_S2_
    .private_segment_fixed_size: 0
    .sgpr_count:     18
    .sgpr_spill_count: 0
    .symbol:         _Z43inclusive_scan_array_prefix_callback_kernelILj6ELj32ELN6hipcub18BlockScanAlgorithmE0EfEvPT2_S3_S2_.kd
    .uniform_work_group_size: 1
    .uses_dynamic_stack: false
    .vgpr_count:     40
    .vgpr_spill_count: 0
    .wavefront_size: 32
    .workgroup_processor_mode: 1
  - .args:
      - .address_space:  global
        .offset:         0
        .size:           8
        .value_kind:     global_buffer
      - .offset:         8
        .size:           2
        .value_kind:     by_value
    .group_segment_fixed_size: 2
    .kernarg_segment_align: 8
    .kernarg_segment_size: 12
    .language:       OpenCL C
    .language_version:
      - 2
      - 0
    .max_flat_workgroup_size: 16
    .name:           _Z27exclusive_scan_array_kernelILj16ELj5ELN6hipcub18BlockScanAlgorithmE1E12hip_bfloat16EvPT2_S3_
    .private_segment_fixed_size: 0
    .sgpr_count:     18
    .sgpr_spill_count: 0
    .symbol:         _Z27exclusive_scan_array_kernelILj16ELj5ELN6hipcub18BlockScanAlgorithmE1E12hip_bfloat16EvPT2_S3_.kd
    .uniform_work_group_size: 1
    .uses_dynamic_stack: false
    .vgpr_count:     22
    .vgpr_spill_count: 0
    .wavefront_size: 32
    .workgroup_processor_mode: 1
  - .args:
      - .address_space:  global
        .offset:         0
        .size:           8
        .value_kind:     global_buffer
      - .offset:         8
        .size:           2
        .value_kind:     by_value
    .group_segment_fixed_size: 192
    .kernarg_segment_align: 8
    .kernarg_segment_size: 12
    .language:       OpenCL C
    .language_version:
      - 2
      - 0
    .max_flat_workgroup_size: 65
    .name:           _Z27exclusive_scan_array_kernelILj65ELj5ELN6hipcub18BlockScanAlgorithmE1E6__halfEvPT2_S3_
    .private_segment_fixed_size: 0
    .sgpr_count:     18
    .sgpr_spill_count: 0
    .symbol:         _Z27exclusive_scan_array_kernelILj65ELj5ELN6hipcub18BlockScanAlgorithmE1E6__halfEvPT2_S3_.kd
    .uniform_work_group_size: 1
    .uses_dynamic_stack: false
    .vgpr_count:     26
    .vgpr_spill_count: 0
    .wavefront_size: 32
    .workgroup_processor_mode: 1
  - .args:
      - .address_space:  global
        .offset:         0
        .size:           8
        .value_kind:     global_buffer
      - .offset:         8
        .size:           4
        .value_kind:     by_value
    .group_segment_fixed_size: 1056
    .kernarg_segment_align: 8
    .kernarg_segment_size: 12
    .language:       OpenCL C
    .language_version:
      - 2
      - 0
    .max_flat_workgroup_size: 255
    .name:           _Z27exclusive_scan_array_kernelILj255ELj15ELN6hipcub18BlockScanAlgorithmE1EfEvPT2_S2_
    .private_segment_fixed_size: 0
    .sgpr_count:     18
    .sgpr_spill_count: 0
    .symbol:         _Z27exclusive_scan_array_kernelILj255ELj15ELN6hipcub18BlockScanAlgorithmE1EfEvPT2_S2_.kd
    .uniform_work_group_size: 1
    .uses_dynamic_stack: false
    .vgpr_count:     60
    .vgpr_spill_count: 0
    .wavefront_size: 32
    .workgroup_processor_mode: 1
  - .args:
      - .address_space:  global
        .offset:         0
        .size:           8
        .value_kind:     global_buffer
      - .offset:         8
        .size:           4
        .value_kind:     by_value
    .group_segment_fixed_size: 768
    .kernarg_segment_align: 8
    .kernarg_segment_size: 12
    .language:       OpenCL C
    .language_version:
      - 2
      - 0
    .max_flat_workgroup_size: 162
    .name:           _Z27exclusive_scan_array_kernelILj162ELj7ELN6hipcub18BlockScanAlgorithmE1EfEvPT2_S2_
    .private_segment_fixed_size: 0
    .sgpr_count:     18
    .sgpr_spill_count: 0
    .symbol:         _Z27exclusive_scan_array_kernelILj162ELj7ELN6hipcub18BlockScanAlgorithmE1EfEvPT2_S2_.kd
    .uniform_work_group_size: 1
    .uses_dynamic_stack: false
    .vgpr_count:     35
    .vgpr_spill_count: 0
    .wavefront_size: 32
    .workgroup_processor_mode: 1
  - .args:
      - .address_space:  global
        .offset:         0
        .size:           8
        .value_kind:     global_buffer
      - .offset:         8
        .size:           4
        .value_kind:     by_value
    .group_segment_fixed_size: 384
    .kernarg_segment_align: 8
    .kernarg_segment_size: 12
    .language:       OpenCL C
    .language_version:
      - 2
      - 0
    .max_flat_workgroup_size: 65
    .name:           _Z27exclusive_scan_array_kernelILj65ELj5ELN6hipcub18BlockScanAlgorithmE1EfEvPT2_S2_
    .private_segment_fixed_size: 0
    .sgpr_count:     18
    .sgpr_spill_count: 0
    .symbol:         _Z27exclusive_scan_array_kernelILj65ELj5ELN6hipcub18BlockScanAlgorithmE1EfEvPT2_S2_.kd
    .uniform_work_group_size: 1
    .uses_dynamic_stack: false
    .vgpr_count:     26
    .vgpr_spill_count: 0
    .wavefront_size: 32
    .workgroup_processor_mode: 1
  - .args:
      - .address_space:  global
        .offset:         0
        .size:           8
        .value_kind:     global_buffer
      - .offset:         8
        .size:           4
        .value_kind:     by_value
    .group_segment_fixed_size: 264
    .kernarg_segment_align: 8
    .kernarg_segment_size: 12
    .language:       OpenCL C
    .language_version:
      - 2
      - 0
    .max_flat_workgroup_size: 37
    .name:           _Z27exclusive_scan_array_kernelILj37ELj2ELN6hipcub18BlockScanAlgorithmE1EfEvPT2_S2_
    .private_segment_fixed_size: 0
    .sgpr_count:     18
    .sgpr_spill_count: 0
    .symbol:         _Z27exclusive_scan_array_kernelILj37ELj2ELN6hipcub18BlockScanAlgorithmE1EfEvPT2_S2_.kd
    .uniform_work_group_size: 1
    .uses_dynamic_stack: false
    .vgpr_count:     13
    .vgpr_spill_count: 0
    .wavefront_size: 32
    .workgroup_processor_mode: 1
  - .args:
      - .address_space:  global
        .offset:         0
        .size:           8
        .value_kind:     global_buffer
      - .offset:         8
        .size:           4
        .value_kind:     by_value
    .group_segment_fixed_size: 2112
    .kernarg_segment_align: 8
    .kernarg_segment_size: 12
    .language:       OpenCL C
    .language_version:
      - 2
      - 0
    .max_flat_workgroup_size: 512
    .name:           _Z27exclusive_scan_array_kernelILj512ELj4ELN6hipcub18BlockScanAlgorithmE1EjEvPT2_S2_
    .private_segment_fixed_size: 0
    .sgpr_count:     18
    .sgpr_spill_count: 0
    .symbol:         _Z27exclusive_scan_array_kernelILj512ELj4ELN6hipcub18BlockScanAlgorithmE1EjEvPT2_S2_.kd
    .uniform_work_group_size: 1
    .uses_dynamic_stack: false
    .vgpr_count:     29
    .vgpr_spill_count: 0
    .wavefront_size: 32
    .workgroup_processor_mode: 1
  - .args:
      - .address_space:  global
        .offset:         0
        .size:           8
        .value_kind:     global_buffer
      - .offset:         8
        .size:           4
        .value_kind:     by_value
    .group_segment_fixed_size: 1056
    .kernarg_segment_align: 8
    .kernarg_segment_size: 12
    .language:       OpenCL C
    .language_version:
      - 2
      - 0
    .max_flat_workgroup_size: 256
    .name:           _Z27exclusive_scan_array_kernelILj256ELj3ELN6hipcub18BlockScanAlgorithmE1EiEvPT2_S2_
    .private_segment_fixed_size: 0
    .sgpr_count:     18
    .sgpr_spill_count: 0
    .symbol:         _Z27exclusive_scan_array_kernelILj256ELj3ELN6hipcub18BlockScanAlgorithmE1EiEvPT2_S2_.kd
    .uniform_work_group_size: 1
    .uses_dynamic_stack: false
    .vgpr_count:     24
    .vgpr_spill_count: 0
    .wavefront_size: 32
    .workgroup_processor_mode: 1
  - .args:
      - .address_space:  global
        .offset:         0
        .size:           8
        .value_kind:     global_buffer
      - .offset:         8
        .size:           4
        .value_kind:     by_value
    .group_segment_fixed_size: 4
    .kernarg_segment_align: 8
    .kernarg_segment_size: 12
    .language:       OpenCL C
    .language_version:
      - 2
      - 0
    .max_flat_workgroup_size: 32
    .name:           _Z27exclusive_scan_array_kernelILj32ELj2ELN6hipcub18BlockScanAlgorithmE1EfEvPT2_S2_
    .private_segment_fixed_size: 0
    .sgpr_count:     18
    .sgpr_spill_count: 0
    .symbol:         _Z27exclusive_scan_array_kernelILj32ELj2ELN6hipcub18BlockScanAlgorithmE1EfEvPT2_S2_.kd
    .uniform_work_group_size: 1
    .uses_dynamic_stack: false
    .vgpr_count:     9
    .vgpr_spill_count: 0
    .wavefront_size: 32
    .workgroup_processor_mode: 1
  - .args:
      - .address_space:  global
        .offset:         0
        .size:           8
        .value_kind:     global_buffer
      - .offset:         8
        .size:           4
        .value_kind:     by_value
    .group_segment_fixed_size: 4
    .kernarg_segment_align: 8
    .kernarg_segment_size: 12
    .language:       OpenCL C
    .language_version:
      - 2
      - 0
    .max_flat_workgroup_size: 6
    .name:           _Z27exclusive_scan_array_kernelILj6ELj32ELN6hipcub18BlockScanAlgorithmE1EfEvPT2_S2_
    .private_segment_fixed_size: 0
    .sgpr_count:     18
    .sgpr_spill_count: 0
    .symbol:         _Z27exclusive_scan_array_kernelILj6ELj32ELN6hipcub18BlockScanAlgorithmE1EfEvPT2_S2_.kd
    .uniform_work_group_size: 1
    .uses_dynamic_stack: false
    .vgpr_count:     39
    .vgpr_spill_count: 0
    .wavefront_size: 32
    .workgroup_processor_mode: 1
  - .args:
      - .address_space:  global
        .offset:         0
        .size:           8
        .value_kind:     global_buffer
      - .offset:         8
        .size:           2
        .value_kind:     by_value
    .group_segment_fixed_size: 2
    .kernarg_segment_align: 8
    .kernarg_segment_size: 12
    .language:       OpenCL C
    .language_version:
      - 2
      - 0
    .max_flat_workgroup_size: 16
    .name:           _Z27exclusive_scan_array_kernelILj16ELj5ELN6hipcub18BlockScanAlgorithmE0E12hip_bfloat16EvPT2_S3_
    .private_segment_fixed_size: 0
    .sgpr_count:     18
    .sgpr_spill_count: 0
    .symbol:         _Z27exclusive_scan_array_kernelILj16ELj5ELN6hipcub18BlockScanAlgorithmE0E12hip_bfloat16EvPT2_S3_.kd
    .uniform_work_group_size: 1
    .uses_dynamic_stack: false
    .vgpr_count:     22
    .vgpr_spill_count: 0
    .wavefront_size: 32
    .workgroup_processor_mode: 1
  - .args:
      - .address_space:  global
        .offset:         0
        .size:           8
        .value_kind:     global_buffer
      - .offset:         8
        .size:           2
        .value_kind:     by_value
    .group_segment_fixed_size: 6
    .kernarg_segment_align: 8
    .kernarg_segment_size: 12
    .language:       OpenCL C
    .language_version:
      - 2
      - 0
    .max_flat_workgroup_size: 65
    .name:           _Z27exclusive_scan_array_kernelILj65ELj5ELN6hipcub18BlockScanAlgorithmE0E6__halfEvPT2_S3_
    .private_segment_fixed_size: 0
    .sgpr_count:     18
    .sgpr_spill_count: 0
    .symbol:         _Z27exclusive_scan_array_kernelILj65ELj5ELN6hipcub18BlockScanAlgorithmE0E6__halfEvPT2_S3_.kd
    .uniform_work_group_size: 1
    .uses_dynamic_stack: false
    .vgpr_count:     22
    .vgpr_spill_count: 0
    .wavefront_size: 32
    .workgroup_processor_mode: 1
  - .args:
      - .address_space:  global
        .offset:         0
        .size:           8
        .value_kind:     global_buffer
      - .offset:         8
        .size:           4
        .value_kind:     by_value
    .group_segment_fixed_size: 32
    .kernarg_segment_align: 8
    .kernarg_segment_size: 12
    .language:       OpenCL C
    .language_version:
      - 2
      - 0
    .max_flat_workgroup_size: 255
    .name:           _Z27exclusive_scan_array_kernelILj255ELj15ELN6hipcub18BlockScanAlgorithmE0EfEvPT2_S2_
    .private_segment_fixed_size: 0
    .sgpr_count:     18
    .sgpr_spill_count: 0
    .symbol:         _Z27exclusive_scan_array_kernelILj255ELj15ELN6hipcub18BlockScanAlgorithmE0EfEvPT2_S2_.kd
    .uniform_work_group_size: 1
    .uses_dynamic_stack: false
    .vgpr_count:     52
    .vgpr_spill_count: 0
    .wavefront_size: 32
    .workgroup_processor_mode: 1
  - .args:
      - .address_space:  global
        .offset:         0
        .size:           8
        .value_kind:     global_buffer
      - .offset:         8
        .size:           4
        .value_kind:     by_value
    .group_segment_fixed_size: 24
    .kernarg_segment_align: 8
    .kernarg_segment_size: 12
    .language:       OpenCL C
    .language_version:
      - 2
      - 0
    .max_flat_workgroup_size: 162
    .name:           _Z27exclusive_scan_array_kernelILj162ELj7ELN6hipcub18BlockScanAlgorithmE0EfEvPT2_S2_
    .private_segment_fixed_size: 0
    .sgpr_count:     18
    .sgpr_spill_count: 0
    .symbol:         _Z27exclusive_scan_array_kernelILj162ELj7ELN6hipcub18BlockScanAlgorithmE0EfEvPT2_S2_.kd
    .uniform_work_group_size: 1
    .uses_dynamic_stack: false
    .vgpr_count:     28
    .vgpr_spill_count: 0
    .wavefront_size: 32
    .workgroup_processor_mode: 1
  - .args:
      - .address_space:  global
        .offset:         0
        .size:           8
        .value_kind:     global_buffer
      - .offset:         8
        .size:           4
        .value_kind:     by_value
    .group_segment_fixed_size: 12
    .kernarg_segment_align: 8
    .kernarg_segment_size: 12
    .language:       OpenCL C
    .language_version:
      - 2
      - 0
    .max_flat_workgroup_size: 65
    .name:           _Z27exclusive_scan_array_kernelILj65ELj5ELN6hipcub18BlockScanAlgorithmE0EfEvPT2_S2_
    .private_segment_fixed_size: 0
    .sgpr_count:     18
    .sgpr_spill_count: 0
    .symbol:         _Z27exclusive_scan_array_kernelILj65ELj5ELN6hipcub18BlockScanAlgorithmE0EfEvPT2_S2_.kd
    .uniform_work_group_size: 1
    .uses_dynamic_stack: false
    .vgpr_count:     22
    .vgpr_spill_count: 0
    .wavefront_size: 32
    .workgroup_processor_mode: 1
  - .args:
      - .address_space:  global
        .offset:         0
        .size:           8
        .value_kind:     global_buffer
      - .offset:         8
        .size:           4
        .value_kind:     by_value
    .group_segment_fixed_size: 8
    .kernarg_segment_align: 8
    .kernarg_segment_size: 12
    .language:       OpenCL C
    .language_version:
      - 2
      - 0
    .max_flat_workgroup_size: 37
    .name:           _Z27exclusive_scan_array_kernelILj37ELj2ELN6hipcub18BlockScanAlgorithmE0EfEvPT2_S2_
    .private_segment_fixed_size: 0
    .sgpr_count:     18
    .sgpr_spill_count: 0
    .symbol:         _Z27exclusive_scan_array_kernelILj37ELj2ELN6hipcub18BlockScanAlgorithmE0EfEvPT2_S2_.kd
    .uniform_work_group_size: 1
    .uses_dynamic_stack: false
    .vgpr_count:     11
    .vgpr_spill_count: 0
    .wavefront_size: 32
    .workgroup_processor_mode: 1
  - .args:
      - .address_space:  global
        .offset:         0
        .size:           8
        .value_kind:     global_buffer
      - .offset:         8
        .size:           4
        .value_kind:     by_value
    .group_segment_fixed_size: 64
    .kernarg_segment_align: 8
    .kernarg_segment_size: 12
    .language:       OpenCL C
    .language_version:
      - 2
      - 0
    .max_flat_workgroup_size: 512
    .name:           _Z27exclusive_scan_array_kernelILj512ELj4ELN6hipcub18BlockScanAlgorithmE0EiEvPT2_S2_
    .private_segment_fixed_size: 0
    .sgpr_count:     18
    .sgpr_spill_count: 0
    .symbol:         _Z27exclusive_scan_array_kernelILj512ELj4ELN6hipcub18BlockScanAlgorithmE0EiEvPT2_S2_.kd
    .uniform_work_group_size: 1
    .uses_dynamic_stack: false
    .vgpr_count:     12
    .vgpr_spill_count: 0
    .wavefront_size: 32
    .workgroup_processor_mode: 1
  - .args:
      - .address_space:  global
        .offset:         0
        .size:           8
        .value_kind:     global_buffer
      - .offset:         8
        .size:           4
        .value_kind:     by_value
    .group_segment_fixed_size: 32
    .kernarg_segment_align: 8
    .kernarg_segment_size: 12
    .language:       OpenCL C
    .language_version:
      - 2
      - 0
    .max_flat_workgroup_size: 256
    .name:           _Z27exclusive_scan_array_kernelILj256ELj3ELN6hipcub18BlockScanAlgorithmE0EjEvPT2_S2_
    .private_segment_fixed_size: 0
    .sgpr_count:     18
    .sgpr_spill_count: 0
    .symbol:         _Z27exclusive_scan_array_kernelILj256ELj3ELN6hipcub18BlockScanAlgorithmE0EjEvPT2_S2_.kd
    .uniform_work_group_size: 1
    .uses_dynamic_stack: false
    .vgpr_count:     16
    .vgpr_spill_count: 0
    .wavefront_size: 32
    .workgroup_processor_mode: 1
  - .args:
      - .address_space:  global
        .offset:         0
        .size:           8
        .value_kind:     global_buffer
      - .offset:         8
        .size:           4
        .value_kind:     by_value
    .group_segment_fixed_size: 4
    .kernarg_segment_align: 8
    .kernarg_segment_size: 12
    .language:       OpenCL C
    .language_version:
      - 2
      - 0
    .max_flat_workgroup_size: 32
    .name:           _Z27exclusive_scan_array_kernelILj32ELj2ELN6hipcub18BlockScanAlgorithmE0EfEvPT2_S2_
    .private_segment_fixed_size: 0
    .sgpr_count:     18
    .sgpr_spill_count: 0
    .symbol:         _Z27exclusive_scan_array_kernelILj32ELj2ELN6hipcub18BlockScanAlgorithmE0EfEvPT2_S2_.kd
    .uniform_work_group_size: 1
    .uses_dynamic_stack: false
    .vgpr_count:     9
    .vgpr_spill_count: 0
    .wavefront_size: 32
    .workgroup_processor_mode: 1
  - .args:
      - .address_space:  global
        .offset:         0
        .size:           8
        .value_kind:     global_buffer
      - .offset:         8
        .size:           4
        .value_kind:     by_value
    .group_segment_fixed_size: 4
    .kernarg_segment_align: 8
    .kernarg_segment_size: 12
    .language:       OpenCL C
    .language_version:
      - 2
      - 0
    .max_flat_workgroup_size: 6
    .name:           _Z27exclusive_scan_array_kernelILj6ELj32ELN6hipcub18BlockScanAlgorithmE0EfEvPT2_S2_
    .private_segment_fixed_size: 0
    .sgpr_count:     18
    .sgpr_spill_count: 0
    .symbol:         _Z27exclusive_scan_array_kernelILj6ELj32ELN6hipcub18BlockScanAlgorithmE0EfEvPT2_S2_.kd
    .uniform_work_group_size: 1
    .uses_dynamic_stack: false
    .vgpr_count:     39
    .vgpr_spill_count: 0
    .wavefront_size: 32
    .workgroup_processor_mode: 1
  - .args:
      - .address_space:  global
        .offset:         0
        .size:           8
        .value_kind:     global_buffer
      - .address_space:  global
        .offset:         8
        .size:           8
        .value_kind:     global_buffer
      - .offset:         16
        .size:           2
        .value_kind:     by_value
    .group_segment_fixed_size: 2
    .kernarg_segment_align: 8
    .kernarg_segment_size: 20
    .language:       OpenCL C
    .language_version:
      - 2
      - 0
    .max_flat_workgroup_size: 16
    .name:           _Z34exclusive_scan_reduce_array_kernelILj16ELj5ELN6hipcub18BlockScanAlgorithmE1E12hip_bfloat16EvPT2_S4_S3_
    .private_segment_fixed_size: 0
    .sgpr_count:     18
    .sgpr_spill_count: 0
    .symbol:         _Z34exclusive_scan_reduce_array_kernelILj16ELj5ELN6hipcub18BlockScanAlgorithmE1E12hip_bfloat16EvPT2_S4_S3_.kd
    .uniform_work_group_size: 1
    .uses_dynamic_stack: false
    .vgpr_count:     22
    .vgpr_spill_count: 0
    .wavefront_size: 32
    .workgroup_processor_mode: 1
  - .args:
      - .address_space:  global
        .offset:         0
        .size:           8
        .value_kind:     global_buffer
      - .address_space:  global
        .offset:         8
        .size:           8
        .value_kind:     global_buffer
      - .offset:         16
        .size:           2
        .value_kind:     by_value
    .group_segment_fixed_size: 192
    .kernarg_segment_align: 8
    .kernarg_segment_size: 20
    .language:       OpenCL C
    .language_version:
      - 2
      - 0
    .max_flat_workgroup_size: 65
    .name:           _Z34exclusive_scan_reduce_array_kernelILj65ELj5ELN6hipcub18BlockScanAlgorithmE1E6__halfEvPT2_S4_S3_
    .private_segment_fixed_size: 0
    .sgpr_count:     18
    .sgpr_spill_count: 0
    .symbol:         _Z34exclusive_scan_reduce_array_kernelILj65ELj5ELN6hipcub18BlockScanAlgorithmE1E6__halfEvPT2_S4_S3_.kd
    .uniform_work_group_size: 1
    .uses_dynamic_stack: false
    .vgpr_count:     26
    .vgpr_spill_count: 0
    .wavefront_size: 32
    .workgroup_processor_mode: 1
  - .args:
      - .address_space:  global
        .offset:         0
        .size:           8
        .value_kind:     global_buffer
      - .address_space:  global
        .offset:         8
        .size:           8
        .value_kind:     global_buffer
      - .offset:         16
        .size:           4
        .value_kind:     by_value
    .group_segment_fixed_size: 1056
    .kernarg_segment_align: 8
    .kernarg_segment_size: 20
    .language:       OpenCL C
    .language_version:
      - 2
      - 0
    .max_flat_workgroup_size: 255
    .name:           _Z34exclusive_scan_reduce_array_kernelILj255ELj15ELN6hipcub18BlockScanAlgorithmE1EfEvPT2_S3_S2_
    .private_segment_fixed_size: 0
    .sgpr_count:     18
    .sgpr_spill_count: 0
    .symbol:         _Z34exclusive_scan_reduce_array_kernelILj255ELj15ELN6hipcub18BlockScanAlgorithmE1EfEvPT2_S3_S2_.kd
    .uniform_work_group_size: 1
    .uses_dynamic_stack: false
    .vgpr_count:     60
    .vgpr_spill_count: 0
    .wavefront_size: 32
    .workgroup_processor_mode: 1
  - .args:
      - .address_space:  global
        .offset:         0
        .size:           8
        .value_kind:     global_buffer
      - .address_space:  global
        .offset:         8
        .size:           8
        .value_kind:     global_buffer
      - .offset:         16
        .size:           4
        .value_kind:     by_value
    .group_segment_fixed_size: 768
    .kernarg_segment_align: 8
    .kernarg_segment_size: 20
    .language:       OpenCL C
    .language_version:
      - 2
      - 0
    .max_flat_workgroup_size: 162
    .name:           _Z34exclusive_scan_reduce_array_kernelILj162ELj7ELN6hipcub18BlockScanAlgorithmE1EfEvPT2_S3_S2_
    .private_segment_fixed_size: 0
    .sgpr_count:     18
    .sgpr_spill_count: 0
    .symbol:         _Z34exclusive_scan_reduce_array_kernelILj162ELj7ELN6hipcub18BlockScanAlgorithmE1EfEvPT2_S3_S2_.kd
    .uniform_work_group_size: 1
    .uses_dynamic_stack: false
    .vgpr_count:     35
    .vgpr_spill_count: 0
    .wavefront_size: 32
    .workgroup_processor_mode: 1
  - .args:
      - .address_space:  global
        .offset:         0
        .size:           8
        .value_kind:     global_buffer
      - .address_space:  global
        .offset:         8
        .size:           8
        .value_kind:     global_buffer
      - .offset:         16
        .size:           4
        .value_kind:     by_value
    .group_segment_fixed_size: 384
    .kernarg_segment_align: 8
    .kernarg_segment_size: 20
    .language:       OpenCL C
    .language_version:
      - 2
      - 0
    .max_flat_workgroup_size: 65
    .name:           _Z34exclusive_scan_reduce_array_kernelILj65ELj5ELN6hipcub18BlockScanAlgorithmE1EfEvPT2_S3_S2_
    .private_segment_fixed_size: 0
    .sgpr_count:     18
    .sgpr_spill_count: 0
    .symbol:         _Z34exclusive_scan_reduce_array_kernelILj65ELj5ELN6hipcub18BlockScanAlgorithmE1EfEvPT2_S3_S2_.kd
    .uniform_work_group_size: 1
    .uses_dynamic_stack: false
    .vgpr_count:     26
    .vgpr_spill_count: 0
    .wavefront_size: 32
    .workgroup_processor_mode: 1
  - .args:
      - .address_space:  global
        .offset:         0
        .size:           8
        .value_kind:     global_buffer
      - .address_space:  global
        .offset:         8
        .size:           8
        .value_kind:     global_buffer
      - .offset:         16
        .size:           4
        .value_kind:     by_value
    .group_segment_fixed_size: 264
    .kernarg_segment_align: 8
    .kernarg_segment_size: 20
    .language:       OpenCL C
    .language_version:
      - 2
      - 0
    .max_flat_workgroup_size: 37
    .name:           _Z34exclusive_scan_reduce_array_kernelILj37ELj2ELN6hipcub18BlockScanAlgorithmE1EfEvPT2_S3_S2_
    .private_segment_fixed_size: 0
    .sgpr_count:     18
    .sgpr_spill_count: 0
    .symbol:         _Z34exclusive_scan_reduce_array_kernelILj37ELj2ELN6hipcub18BlockScanAlgorithmE1EfEvPT2_S3_S2_.kd
    .uniform_work_group_size: 1
    .uses_dynamic_stack: false
    .vgpr_count:     13
    .vgpr_spill_count: 0
    .wavefront_size: 32
    .workgroup_processor_mode: 1
  - .args:
      - .address_space:  global
        .offset:         0
        .size:           8
        .value_kind:     global_buffer
      - .address_space:  global
        .offset:         8
        .size:           8
        .value_kind:     global_buffer
      - .offset:         16
        .size:           4
        .value_kind:     by_value
    .group_segment_fixed_size: 2112
    .kernarg_segment_align: 8
    .kernarg_segment_size: 20
    .language:       OpenCL C
    .language_version:
      - 2
      - 0
    .max_flat_workgroup_size: 512
    .name:           _Z34exclusive_scan_reduce_array_kernelILj512ELj4ELN6hipcub18BlockScanAlgorithmE1EjEvPT2_S3_S2_
    .private_segment_fixed_size: 0
    .sgpr_count:     18
    .sgpr_spill_count: 0
    .symbol:         _Z34exclusive_scan_reduce_array_kernelILj512ELj4ELN6hipcub18BlockScanAlgorithmE1EjEvPT2_S3_S2_.kd
    .uniform_work_group_size: 1
    .uses_dynamic_stack: false
    .vgpr_count:     29
    .vgpr_spill_count: 0
    .wavefront_size: 32
    .workgroup_processor_mode: 1
  - .args:
      - .address_space:  global
        .offset:         0
        .size:           8
        .value_kind:     global_buffer
      - .address_space:  global
        .offset:         8
        .size:           8
        .value_kind:     global_buffer
      - .offset:         16
        .size:           4
        .value_kind:     by_value
    .group_segment_fixed_size: 1056
    .kernarg_segment_align: 8
    .kernarg_segment_size: 20
    .language:       OpenCL C
    .language_version:
      - 2
      - 0
    .max_flat_workgroup_size: 256
    .name:           _Z34exclusive_scan_reduce_array_kernelILj256ELj3ELN6hipcub18BlockScanAlgorithmE1EiEvPT2_S3_S2_
    .private_segment_fixed_size: 0
    .sgpr_count:     18
    .sgpr_spill_count: 0
    .symbol:         _Z34exclusive_scan_reduce_array_kernelILj256ELj3ELN6hipcub18BlockScanAlgorithmE1EiEvPT2_S3_S2_.kd
    .uniform_work_group_size: 1
    .uses_dynamic_stack: false
    .vgpr_count:     24
    .vgpr_spill_count: 0
    .wavefront_size: 32
    .workgroup_processor_mode: 1
  - .args:
      - .address_space:  global
        .offset:         0
        .size:           8
        .value_kind:     global_buffer
      - .address_space:  global
        .offset:         8
        .size:           8
        .value_kind:     global_buffer
      - .offset:         16
        .size:           4
        .value_kind:     by_value
    .group_segment_fixed_size: 4
    .kernarg_segment_align: 8
    .kernarg_segment_size: 20
    .language:       OpenCL C
    .language_version:
      - 2
      - 0
    .max_flat_workgroup_size: 32
    .name:           _Z34exclusive_scan_reduce_array_kernelILj32ELj2ELN6hipcub18BlockScanAlgorithmE1EfEvPT2_S3_S2_
    .private_segment_fixed_size: 0
    .sgpr_count:     18
    .sgpr_spill_count: 0
    .symbol:         _Z34exclusive_scan_reduce_array_kernelILj32ELj2ELN6hipcub18BlockScanAlgorithmE1EfEvPT2_S3_S2_.kd
    .uniform_work_group_size: 1
    .uses_dynamic_stack: false
    .vgpr_count:     9
    .vgpr_spill_count: 0
    .wavefront_size: 32
    .workgroup_processor_mode: 1
  - .args:
      - .address_space:  global
        .offset:         0
        .size:           8
        .value_kind:     global_buffer
      - .address_space:  global
        .offset:         8
        .size:           8
        .value_kind:     global_buffer
      - .offset:         16
        .size:           4
        .value_kind:     by_value
    .group_segment_fixed_size: 4
    .kernarg_segment_align: 8
    .kernarg_segment_size: 20
    .language:       OpenCL C
    .language_version:
      - 2
      - 0
    .max_flat_workgroup_size: 6
    .name:           _Z34exclusive_scan_reduce_array_kernelILj6ELj32ELN6hipcub18BlockScanAlgorithmE1EfEvPT2_S3_S2_
    .private_segment_fixed_size: 0
    .sgpr_count:     18
    .sgpr_spill_count: 0
    .symbol:         _Z34exclusive_scan_reduce_array_kernelILj6ELj32ELN6hipcub18BlockScanAlgorithmE1EfEvPT2_S3_S2_.kd
    .uniform_work_group_size: 1
    .uses_dynamic_stack: false
    .vgpr_count:     39
    .vgpr_spill_count: 0
    .wavefront_size: 32
    .workgroup_processor_mode: 1
  - .args:
      - .address_space:  global
        .offset:         0
        .size:           8
        .value_kind:     global_buffer
      - .address_space:  global
        .offset:         8
        .size:           8
        .value_kind:     global_buffer
      - .offset:         16
        .size:           2
        .value_kind:     by_value
    .group_segment_fixed_size: 2
    .kernarg_segment_align: 8
    .kernarg_segment_size: 20
    .language:       OpenCL C
    .language_version:
      - 2
      - 0
    .max_flat_workgroup_size: 16
    .name:           _Z34exclusive_scan_reduce_array_kernelILj16ELj5ELN6hipcub18BlockScanAlgorithmE0E12hip_bfloat16EvPT2_S4_S3_
    .private_segment_fixed_size: 0
    .sgpr_count:     18
    .sgpr_spill_count: 0
    .symbol:         _Z34exclusive_scan_reduce_array_kernelILj16ELj5ELN6hipcub18BlockScanAlgorithmE0E12hip_bfloat16EvPT2_S4_S3_.kd
    .uniform_work_group_size: 1
    .uses_dynamic_stack: false
    .vgpr_count:     22
    .vgpr_spill_count: 0
    .wavefront_size: 32
    .workgroup_processor_mode: 1
  - .args:
      - .address_space:  global
        .offset:         0
        .size:           8
        .value_kind:     global_buffer
      - .address_space:  global
        .offset:         8
        .size:           8
        .value_kind:     global_buffer
      - .offset:         16
        .size:           2
        .value_kind:     by_value
    .group_segment_fixed_size: 6
    .kernarg_segment_align: 8
    .kernarg_segment_size: 20
    .language:       OpenCL C
    .language_version:
      - 2
      - 0
    .max_flat_workgroup_size: 65
    .name:           _Z34exclusive_scan_reduce_array_kernelILj65ELj5ELN6hipcub18BlockScanAlgorithmE0E6__halfEvPT2_S4_S3_
    .private_segment_fixed_size: 0
    .sgpr_count:     18
    .sgpr_spill_count: 0
    .symbol:         _Z34exclusive_scan_reduce_array_kernelILj65ELj5ELN6hipcub18BlockScanAlgorithmE0E6__halfEvPT2_S4_S3_.kd
    .uniform_work_group_size: 1
    .uses_dynamic_stack: false
    .vgpr_count:     22
    .vgpr_spill_count: 0
    .wavefront_size: 32
    .workgroup_processor_mode: 1
  - .args:
      - .address_space:  global
        .offset:         0
        .size:           8
        .value_kind:     global_buffer
      - .address_space:  global
        .offset:         8
        .size:           8
        .value_kind:     global_buffer
      - .offset:         16
        .size:           4
        .value_kind:     by_value
    .group_segment_fixed_size: 32
    .kernarg_segment_align: 8
    .kernarg_segment_size: 20
    .language:       OpenCL C
    .language_version:
      - 2
      - 0
    .max_flat_workgroup_size: 255
    .name:           _Z34exclusive_scan_reduce_array_kernelILj255ELj15ELN6hipcub18BlockScanAlgorithmE0EfEvPT2_S3_S2_
    .private_segment_fixed_size: 0
    .sgpr_count:     18
    .sgpr_spill_count: 0
    .symbol:         _Z34exclusive_scan_reduce_array_kernelILj255ELj15ELN6hipcub18BlockScanAlgorithmE0EfEvPT2_S3_S2_.kd
    .uniform_work_group_size: 1
    .uses_dynamic_stack: false
    .vgpr_count:     52
    .vgpr_spill_count: 0
    .wavefront_size: 32
    .workgroup_processor_mode: 1
  - .args:
      - .address_space:  global
        .offset:         0
        .size:           8
        .value_kind:     global_buffer
      - .address_space:  global
        .offset:         8
        .size:           8
        .value_kind:     global_buffer
      - .offset:         16
        .size:           4
        .value_kind:     by_value
    .group_segment_fixed_size: 24
    .kernarg_segment_align: 8
    .kernarg_segment_size: 20
    .language:       OpenCL C
    .language_version:
      - 2
      - 0
    .max_flat_workgroup_size: 162
    .name:           _Z34exclusive_scan_reduce_array_kernelILj162ELj7ELN6hipcub18BlockScanAlgorithmE0EfEvPT2_S3_S2_
    .private_segment_fixed_size: 0
    .sgpr_count:     18
    .sgpr_spill_count: 0
    .symbol:         _Z34exclusive_scan_reduce_array_kernelILj162ELj7ELN6hipcub18BlockScanAlgorithmE0EfEvPT2_S3_S2_.kd
    .uniform_work_group_size: 1
    .uses_dynamic_stack: false
    .vgpr_count:     28
    .vgpr_spill_count: 0
    .wavefront_size: 32
    .workgroup_processor_mode: 1
  - .args:
      - .address_space:  global
        .offset:         0
        .size:           8
        .value_kind:     global_buffer
      - .address_space:  global
        .offset:         8
        .size:           8
        .value_kind:     global_buffer
      - .offset:         16
        .size:           4
        .value_kind:     by_value
    .group_segment_fixed_size: 12
    .kernarg_segment_align: 8
    .kernarg_segment_size: 20
    .language:       OpenCL C
    .language_version:
      - 2
      - 0
    .max_flat_workgroup_size: 65
    .name:           _Z34exclusive_scan_reduce_array_kernelILj65ELj5ELN6hipcub18BlockScanAlgorithmE0EfEvPT2_S3_S2_
    .private_segment_fixed_size: 0
    .sgpr_count:     18
    .sgpr_spill_count: 0
    .symbol:         _Z34exclusive_scan_reduce_array_kernelILj65ELj5ELN6hipcub18BlockScanAlgorithmE0EfEvPT2_S3_S2_.kd
    .uniform_work_group_size: 1
    .uses_dynamic_stack: false
    .vgpr_count:     22
    .vgpr_spill_count: 0
    .wavefront_size: 32
    .workgroup_processor_mode: 1
  - .args:
      - .address_space:  global
        .offset:         0
        .size:           8
        .value_kind:     global_buffer
      - .address_space:  global
        .offset:         8
        .size:           8
        .value_kind:     global_buffer
      - .offset:         16
        .size:           4
        .value_kind:     by_value
    .group_segment_fixed_size: 8
    .kernarg_segment_align: 8
    .kernarg_segment_size: 20
    .language:       OpenCL C
    .language_version:
      - 2
      - 0
    .max_flat_workgroup_size: 37
    .name:           _Z34exclusive_scan_reduce_array_kernelILj37ELj2ELN6hipcub18BlockScanAlgorithmE0EfEvPT2_S3_S2_
    .private_segment_fixed_size: 0
    .sgpr_count:     18
    .sgpr_spill_count: 0
    .symbol:         _Z34exclusive_scan_reduce_array_kernelILj37ELj2ELN6hipcub18BlockScanAlgorithmE0EfEvPT2_S3_S2_.kd
    .uniform_work_group_size: 1
    .uses_dynamic_stack: false
    .vgpr_count:     11
    .vgpr_spill_count: 0
    .wavefront_size: 32
    .workgroup_processor_mode: 1
  - .args:
      - .address_space:  global
        .offset:         0
        .size:           8
        .value_kind:     global_buffer
      - .address_space:  global
        .offset:         8
        .size:           8
        .value_kind:     global_buffer
      - .offset:         16
        .size:           4
        .value_kind:     by_value
    .group_segment_fixed_size: 64
    .kernarg_segment_align: 8
    .kernarg_segment_size: 20
    .language:       OpenCL C
    .language_version:
      - 2
      - 0
    .max_flat_workgroup_size: 512
    .name:           _Z34exclusive_scan_reduce_array_kernelILj512ELj4ELN6hipcub18BlockScanAlgorithmE0EiEvPT2_S3_S2_
    .private_segment_fixed_size: 0
    .sgpr_count:     18
    .sgpr_spill_count: 0
    .symbol:         _Z34exclusive_scan_reduce_array_kernelILj512ELj4ELN6hipcub18BlockScanAlgorithmE0EiEvPT2_S3_S2_.kd
    .uniform_work_group_size: 1
    .uses_dynamic_stack: false
    .vgpr_count:     12
    .vgpr_spill_count: 0
    .wavefront_size: 32
    .workgroup_processor_mode: 1
  - .args:
      - .address_space:  global
        .offset:         0
        .size:           8
        .value_kind:     global_buffer
      - .address_space:  global
        .offset:         8
        .size:           8
        .value_kind:     global_buffer
      - .offset:         16
        .size:           4
        .value_kind:     by_value
    .group_segment_fixed_size: 32
    .kernarg_segment_align: 8
    .kernarg_segment_size: 20
    .language:       OpenCL C
    .language_version:
      - 2
      - 0
    .max_flat_workgroup_size: 256
    .name:           _Z34exclusive_scan_reduce_array_kernelILj256ELj3ELN6hipcub18BlockScanAlgorithmE0EjEvPT2_S3_S2_
    .private_segment_fixed_size: 0
    .sgpr_count:     18
    .sgpr_spill_count: 0
    .symbol:         _Z34exclusive_scan_reduce_array_kernelILj256ELj3ELN6hipcub18BlockScanAlgorithmE0EjEvPT2_S3_S2_.kd
    .uniform_work_group_size: 1
    .uses_dynamic_stack: false
    .vgpr_count:     16
    .vgpr_spill_count: 0
    .wavefront_size: 32
    .workgroup_processor_mode: 1
  - .args:
      - .address_space:  global
        .offset:         0
        .size:           8
        .value_kind:     global_buffer
      - .address_space:  global
        .offset:         8
        .size:           8
        .value_kind:     global_buffer
      - .offset:         16
        .size:           4
        .value_kind:     by_value
    .group_segment_fixed_size: 4
    .kernarg_segment_align: 8
    .kernarg_segment_size: 20
    .language:       OpenCL C
    .language_version:
      - 2
      - 0
    .max_flat_workgroup_size: 32
    .name:           _Z34exclusive_scan_reduce_array_kernelILj32ELj2ELN6hipcub18BlockScanAlgorithmE0EfEvPT2_S3_S2_
    .private_segment_fixed_size: 0
    .sgpr_count:     18
    .sgpr_spill_count: 0
    .symbol:         _Z34exclusive_scan_reduce_array_kernelILj32ELj2ELN6hipcub18BlockScanAlgorithmE0EfEvPT2_S3_S2_.kd
    .uniform_work_group_size: 1
    .uses_dynamic_stack: false
    .vgpr_count:     9
    .vgpr_spill_count: 0
    .wavefront_size: 32
    .workgroup_processor_mode: 1
  - .args:
      - .address_space:  global
        .offset:         0
        .size:           8
        .value_kind:     global_buffer
      - .address_space:  global
        .offset:         8
        .size:           8
        .value_kind:     global_buffer
      - .offset:         16
        .size:           4
        .value_kind:     by_value
    .group_segment_fixed_size: 4
    .kernarg_segment_align: 8
    .kernarg_segment_size: 20
    .language:       OpenCL C
    .language_version:
      - 2
      - 0
    .max_flat_workgroup_size: 6
    .name:           _Z34exclusive_scan_reduce_array_kernelILj6ELj32ELN6hipcub18BlockScanAlgorithmE0EfEvPT2_S3_S2_
    .private_segment_fixed_size: 0
    .sgpr_count:     18
    .sgpr_spill_count: 0
    .symbol:         _Z34exclusive_scan_reduce_array_kernelILj6ELj32ELN6hipcub18BlockScanAlgorithmE0EfEvPT2_S3_S2_.kd
    .uniform_work_group_size: 1
    .uses_dynamic_stack: false
    .vgpr_count:     39
    .vgpr_spill_count: 0
    .wavefront_size: 32
    .workgroup_processor_mode: 1
  - .args:
      - .address_space:  global
        .offset:         0
        .size:           8
        .value_kind:     global_buffer
      - .address_space:  global
        .offset:         8
        .size:           8
        .value_kind:     global_buffer
      - .offset:         16
        .size:           2
        .value_kind:     by_value
    .group_segment_fixed_size: 2
    .kernarg_segment_align: 8
    .kernarg_segment_size: 20
    .language:       OpenCL C
    .language_version:
      - 2
      - 0
    .max_flat_workgroup_size: 16
    .name:           _Z43exclusive_scan_prefix_callback_array_kernelILj16ELj5ELN6hipcub18BlockScanAlgorithmE1E12hip_bfloat16EvPT2_S4_S3_
    .private_segment_fixed_size: 0
    .sgpr_count:     18
    .sgpr_spill_count: 0
    .symbol:         _Z43exclusive_scan_prefix_callback_array_kernelILj16ELj5ELN6hipcub18BlockScanAlgorithmE1E12hip_bfloat16EvPT2_S4_S3_.kd
    .uniform_work_group_size: 1
    .uses_dynamic_stack: false
    .vgpr_count:     22
    .vgpr_spill_count: 0
    .wavefront_size: 32
    .workgroup_processor_mode: 1
  - .args:
      - .address_space:  global
        .offset:         0
        .size:           8
        .value_kind:     global_buffer
      - .address_space:  global
        .offset:         8
        .size:           8
        .value_kind:     global_buffer
      - .offset:         16
        .size:           2
        .value_kind:     by_value
    .group_segment_fixed_size: 192
    .kernarg_segment_align: 8
    .kernarg_segment_size: 20
    .language:       OpenCL C
    .language_version:
      - 2
      - 0
    .max_flat_workgroup_size: 65
    .name:           _Z43exclusive_scan_prefix_callback_array_kernelILj65ELj5ELN6hipcub18BlockScanAlgorithmE1E6__halfEvPT2_S4_S3_
    .private_segment_fixed_size: 0
    .sgpr_count:     18
    .sgpr_spill_count: 0
    .symbol:         _Z43exclusive_scan_prefix_callback_array_kernelILj65ELj5ELN6hipcub18BlockScanAlgorithmE1E6__halfEvPT2_S4_S3_.kd
    .uniform_work_group_size: 1
    .uses_dynamic_stack: false
    .vgpr_count:     26
    .vgpr_spill_count: 0
    .wavefront_size: 32
    .workgroup_processor_mode: 1
  - .args:
      - .address_space:  global
        .offset:         0
        .size:           8
        .value_kind:     global_buffer
      - .address_space:  global
        .offset:         8
        .size:           8
        .value_kind:     global_buffer
      - .offset:         16
        .size:           4
        .value_kind:     by_value
    .group_segment_fixed_size: 1056
    .kernarg_segment_align: 8
    .kernarg_segment_size: 20
    .language:       OpenCL C
    .language_version:
      - 2
      - 0
    .max_flat_workgroup_size: 255
    .name:           _Z43exclusive_scan_prefix_callback_array_kernelILj255ELj15ELN6hipcub18BlockScanAlgorithmE1EfEvPT2_S3_S2_
    .private_segment_fixed_size: 0
    .sgpr_count:     18
    .sgpr_spill_count: 0
    .symbol:         _Z43exclusive_scan_prefix_callback_array_kernelILj255ELj15ELN6hipcub18BlockScanAlgorithmE1EfEvPT2_S3_S2_.kd
    .uniform_work_group_size: 1
    .uses_dynamic_stack: false
    .vgpr_count:     60
    .vgpr_spill_count: 0
    .wavefront_size: 32
    .workgroup_processor_mode: 1
  - .args:
      - .address_space:  global
        .offset:         0
        .size:           8
        .value_kind:     global_buffer
      - .address_space:  global
        .offset:         8
        .size:           8
        .value_kind:     global_buffer
      - .offset:         16
        .size:           4
        .value_kind:     by_value
    .group_segment_fixed_size: 768
    .kernarg_segment_align: 8
    .kernarg_segment_size: 20
    .language:       OpenCL C
    .language_version:
      - 2
      - 0
    .max_flat_workgroup_size: 162
    .name:           _Z43exclusive_scan_prefix_callback_array_kernelILj162ELj7ELN6hipcub18BlockScanAlgorithmE1EfEvPT2_S3_S2_
    .private_segment_fixed_size: 0
    .sgpr_count:     18
    .sgpr_spill_count: 0
    .symbol:         _Z43exclusive_scan_prefix_callback_array_kernelILj162ELj7ELN6hipcub18BlockScanAlgorithmE1EfEvPT2_S3_S2_.kd
    .uniform_work_group_size: 1
    .uses_dynamic_stack: false
    .vgpr_count:     35
    .vgpr_spill_count: 0
    .wavefront_size: 32
    .workgroup_processor_mode: 1
  - .args:
      - .address_space:  global
        .offset:         0
        .size:           8
        .value_kind:     global_buffer
      - .address_space:  global
        .offset:         8
        .size:           8
        .value_kind:     global_buffer
      - .offset:         16
        .size:           4
        .value_kind:     by_value
    .group_segment_fixed_size: 384
    .kernarg_segment_align: 8
    .kernarg_segment_size: 20
    .language:       OpenCL C
    .language_version:
      - 2
      - 0
    .max_flat_workgroup_size: 65
    .name:           _Z43exclusive_scan_prefix_callback_array_kernelILj65ELj5ELN6hipcub18BlockScanAlgorithmE1EfEvPT2_S3_S2_
    .private_segment_fixed_size: 0
    .sgpr_count:     18
    .sgpr_spill_count: 0
    .symbol:         _Z43exclusive_scan_prefix_callback_array_kernelILj65ELj5ELN6hipcub18BlockScanAlgorithmE1EfEvPT2_S3_S2_.kd
    .uniform_work_group_size: 1
    .uses_dynamic_stack: false
    .vgpr_count:     26
    .vgpr_spill_count: 0
    .wavefront_size: 32
    .workgroup_processor_mode: 1
  - .args:
      - .address_space:  global
        .offset:         0
        .size:           8
        .value_kind:     global_buffer
      - .address_space:  global
        .offset:         8
        .size:           8
        .value_kind:     global_buffer
      - .offset:         16
        .size:           4
        .value_kind:     by_value
    .group_segment_fixed_size: 264
    .kernarg_segment_align: 8
    .kernarg_segment_size: 20
    .language:       OpenCL C
    .language_version:
      - 2
      - 0
    .max_flat_workgroup_size: 37
    .name:           _Z43exclusive_scan_prefix_callback_array_kernelILj37ELj2ELN6hipcub18BlockScanAlgorithmE1EfEvPT2_S3_S2_
    .private_segment_fixed_size: 0
    .sgpr_count:     18
    .sgpr_spill_count: 0
    .symbol:         _Z43exclusive_scan_prefix_callback_array_kernelILj37ELj2ELN6hipcub18BlockScanAlgorithmE1EfEvPT2_S3_S2_.kd
    .uniform_work_group_size: 1
    .uses_dynamic_stack: false
    .vgpr_count:     13
    .vgpr_spill_count: 0
    .wavefront_size: 32
    .workgroup_processor_mode: 1
  - .args:
      - .address_space:  global
        .offset:         0
        .size:           8
        .value_kind:     global_buffer
      - .address_space:  global
        .offset:         8
        .size:           8
        .value_kind:     global_buffer
      - .offset:         16
        .size:           4
        .value_kind:     by_value
    .group_segment_fixed_size: 2112
    .kernarg_segment_align: 8
    .kernarg_segment_size: 20
    .language:       OpenCL C
    .language_version:
      - 2
      - 0
    .max_flat_workgroup_size: 512
    .name:           _Z43exclusive_scan_prefix_callback_array_kernelILj512ELj4ELN6hipcub18BlockScanAlgorithmE1EjEvPT2_S3_S2_
    .private_segment_fixed_size: 0
    .sgpr_count:     18
    .sgpr_spill_count: 0
    .symbol:         _Z43exclusive_scan_prefix_callback_array_kernelILj512ELj4ELN6hipcub18BlockScanAlgorithmE1EjEvPT2_S3_S2_.kd
    .uniform_work_group_size: 1
    .uses_dynamic_stack: false
    .vgpr_count:     30
    .vgpr_spill_count: 0
    .wavefront_size: 32
    .workgroup_processor_mode: 1
  - .args:
      - .address_space:  global
        .offset:         0
        .size:           8
        .value_kind:     global_buffer
      - .address_space:  global
        .offset:         8
        .size:           8
        .value_kind:     global_buffer
      - .offset:         16
        .size:           4
        .value_kind:     by_value
    .group_segment_fixed_size: 1056
    .kernarg_segment_align: 8
    .kernarg_segment_size: 20
    .language:       OpenCL C
    .language_version:
      - 2
      - 0
    .max_flat_workgroup_size: 256
    .name:           _Z43exclusive_scan_prefix_callback_array_kernelILj256ELj3ELN6hipcub18BlockScanAlgorithmE1EiEvPT2_S3_S2_
    .private_segment_fixed_size: 0
    .sgpr_count:     18
    .sgpr_spill_count: 0
    .symbol:         _Z43exclusive_scan_prefix_callback_array_kernelILj256ELj3ELN6hipcub18BlockScanAlgorithmE1EiEvPT2_S3_S2_.kd
    .uniform_work_group_size: 1
    .uses_dynamic_stack: false
    .vgpr_count:     25
    .vgpr_spill_count: 0
    .wavefront_size: 32
    .workgroup_processor_mode: 1
  - .args:
      - .address_space:  global
        .offset:         0
        .size:           8
        .value_kind:     global_buffer
      - .address_space:  global
        .offset:         8
        .size:           8
        .value_kind:     global_buffer
      - .offset:         16
        .size:           4
        .value_kind:     by_value
    .group_segment_fixed_size: 4
    .kernarg_segment_align: 8
    .kernarg_segment_size: 20
    .language:       OpenCL C
    .language_version:
      - 2
      - 0
    .max_flat_workgroup_size: 32
    .name:           _Z43exclusive_scan_prefix_callback_array_kernelILj32ELj2ELN6hipcub18BlockScanAlgorithmE1EfEvPT2_S3_S2_
    .private_segment_fixed_size: 0
    .sgpr_count:     18
    .sgpr_spill_count: 0
    .symbol:         _Z43exclusive_scan_prefix_callback_array_kernelILj32ELj2ELN6hipcub18BlockScanAlgorithmE1EfEvPT2_S3_S2_.kd
    .uniform_work_group_size: 1
    .uses_dynamic_stack: false
    .vgpr_count:     9
    .vgpr_spill_count: 0
    .wavefront_size: 32
    .workgroup_processor_mode: 1
  - .args:
      - .address_space:  global
        .offset:         0
        .size:           8
        .value_kind:     global_buffer
      - .address_space:  global
        .offset:         8
        .size:           8
        .value_kind:     global_buffer
      - .offset:         16
        .size:           4
        .value_kind:     by_value
    .group_segment_fixed_size: 4
    .kernarg_segment_align: 8
    .kernarg_segment_size: 20
    .language:       OpenCL C
    .language_version:
      - 2
      - 0
    .max_flat_workgroup_size: 6
    .name:           _Z43exclusive_scan_prefix_callback_array_kernelILj6ELj32ELN6hipcub18BlockScanAlgorithmE1EfEvPT2_S3_S2_
    .private_segment_fixed_size: 0
    .sgpr_count:     18
    .sgpr_spill_count: 0
    .symbol:         _Z43exclusive_scan_prefix_callback_array_kernelILj6ELj32ELN6hipcub18BlockScanAlgorithmE1EfEvPT2_S3_S2_.kd
    .uniform_work_group_size: 1
    .uses_dynamic_stack: false
    .vgpr_count:     40
    .vgpr_spill_count: 0
    .wavefront_size: 32
    .workgroup_processor_mode: 1
  - .args:
      - .address_space:  global
        .offset:         0
        .size:           8
        .value_kind:     global_buffer
      - .address_space:  global
        .offset:         8
        .size:           8
        .value_kind:     global_buffer
      - .offset:         16
        .size:           2
        .value_kind:     by_value
    .group_segment_fixed_size: 2
    .kernarg_segment_align: 8
    .kernarg_segment_size: 20
    .language:       OpenCL C
    .language_version:
      - 2
      - 0
    .max_flat_workgroup_size: 16
    .name:           _Z43exclusive_scan_prefix_callback_array_kernelILj16ELj5ELN6hipcub18BlockScanAlgorithmE0E12hip_bfloat16EvPT2_S4_S3_
    .private_segment_fixed_size: 0
    .sgpr_count:     18
    .sgpr_spill_count: 0
    .symbol:         _Z43exclusive_scan_prefix_callback_array_kernelILj16ELj5ELN6hipcub18BlockScanAlgorithmE0E12hip_bfloat16EvPT2_S4_S3_.kd
    .uniform_work_group_size: 1
    .uses_dynamic_stack: false
    .vgpr_count:     22
    .vgpr_spill_count: 0
    .wavefront_size: 32
    .workgroup_processor_mode: 1
  - .args:
      - .address_space:  global
        .offset:         0
        .size:           8
        .value_kind:     global_buffer
      - .address_space:  global
        .offset:         8
        .size:           8
        .value_kind:     global_buffer
      - .offset:         16
        .size:           2
        .value_kind:     by_value
    .group_segment_fixed_size: 6
    .kernarg_segment_align: 8
    .kernarg_segment_size: 20
    .language:       OpenCL C
    .language_version:
      - 2
      - 0
    .max_flat_workgroup_size: 65
    .name:           _Z43exclusive_scan_prefix_callback_array_kernelILj65ELj5ELN6hipcub18BlockScanAlgorithmE0E6__halfEvPT2_S4_S3_
    .private_segment_fixed_size: 0
    .sgpr_count:     18
    .sgpr_spill_count: 0
    .symbol:         _Z43exclusive_scan_prefix_callback_array_kernelILj65ELj5ELN6hipcub18BlockScanAlgorithmE0E6__halfEvPT2_S4_S3_.kd
    .uniform_work_group_size: 1
    .uses_dynamic_stack: false
    .vgpr_count:     22
    .vgpr_spill_count: 0
    .wavefront_size: 32
    .workgroup_processor_mode: 1
  - .args:
      - .address_space:  global
        .offset:         0
        .size:           8
        .value_kind:     global_buffer
      - .address_space:  global
        .offset:         8
        .size:           8
        .value_kind:     global_buffer
      - .offset:         16
        .size:           4
        .value_kind:     by_value
    .group_segment_fixed_size: 32
    .kernarg_segment_align: 8
    .kernarg_segment_size: 20
    .language:       OpenCL C
    .language_version:
      - 2
      - 0
    .max_flat_workgroup_size: 255
    .name:           _Z43exclusive_scan_prefix_callback_array_kernelILj255ELj15ELN6hipcub18BlockScanAlgorithmE0EfEvPT2_S3_S2_
    .private_segment_fixed_size: 0
    .sgpr_count:     18
    .sgpr_spill_count: 0
    .symbol:         _Z43exclusive_scan_prefix_callback_array_kernelILj255ELj15ELN6hipcub18BlockScanAlgorithmE0EfEvPT2_S3_S2_.kd
    .uniform_work_group_size: 1
    .uses_dynamic_stack: false
    .vgpr_count:     52
    .vgpr_spill_count: 0
    .wavefront_size: 32
    .workgroup_processor_mode: 1
  - .args:
      - .address_space:  global
        .offset:         0
        .size:           8
        .value_kind:     global_buffer
      - .address_space:  global
        .offset:         8
        .size:           8
        .value_kind:     global_buffer
      - .offset:         16
        .size:           4
        .value_kind:     by_value
    .group_segment_fixed_size: 24
    .kernarg_segment_align: 8
    .kernarg_segment_size: 20
    .language:       OpenCL C
    .language_version:
      - 2
      - 0
    .max_flat_workgroup_size: 162
    .name:           _Z43exclusive_scan_prefix_callback_array_kernelILj162ELj7ELN6hipcub18BlockScanAlgorithmE0EfEvPT2_S3_S2_
    .private_segment_fixed_size: 0
    .sgpr_count:     18
    .sgpr_spill_count: 0
    .symbol:         _Z43exclusive_scan_prefix_callback_array_kernelILj162ELj7ELN6hipcub18BlockScanAlgorithmE0EfEvPT2_S3_S2_.kd
    .uniform_work_group_size: 1
    .uses_dynamic_stack: false
    .vgpr_count:     28
    .vgpr_spill_count: 0
    .wavefront_size: 32
    .workgroup_processor_mode: 1
  - .args:
      - .address_space:  global
        .offset:         0
        .size:           8
        .value_kind:     global_buffer
      - .address_space:  global
        .offset:         8
        .size:           8
        .value_kind:     global_buffer
      - .offset:         16
        .size:           4
        .value_kind:     by_value
    .group_segment_fixed_size: 12
    .kernarg_segment_align: 8
    .kernarg_segment_size: 20
    .language:       OpenCL C
    .language_version:
      - 2
      - 0
    .max_flat_workgroup_size: 65
    .name:           _Z43exclusive_scan_prefix_callback_array_kernelILj65ELj5ELN6hipcub18BlockScanAlgorithmE0EfEvPT2_S3_S2_
    .private_segment_fixed_size: 0
    .sgpr_count:     18
    .sgpr_spill_count: 0
    .symbol:         _Z43exclusive_scan_prefix_callback_array_kernelILj65ELj5ELN6hipcub18BlockScanAlgorithmE0EfEvPT2_S3_S2_.kd
    .uniform_work_group_size: 1
    .uses_dynamic_stack: false
    .vgpr_count:     22
    .vgpr_spill_count: 0
    .wavefront_size: 32
    .workgroup_processor_mode: 1
  - .args:
      - .address_space:  global
        .offset:         0
        .size:           8
        .value_kind:     global_buffer
      - .address_space:  global
        .offset:         8
        .size:           8
        .value_kind:     global_buffer
      - .offset:         16
        .size:           4
        .value_kind:     by_value
    .group_segment_fixed_size: 8
    .kernarg_segment_align: 8
    .kernarg_segment_size: 20
    .language:       OpenCL C
    .language_version:
      - 2
      - 0
    .max_flat_workgroup_size: 37
    .name:           _Z43exclusive_scan_prefix_callback_array_kernelILj37ELj2ELN6hipcub18BlockScanAlgorithmE0EfEvPT2_S3_S2_
    .private_segment_fixed_size: 0
    .sgpr_count:     18
    .sgpr_spill_count: 0
    .symbol:         _Z43exclusive_scan_prefix_callback_array_kernelILj37ELj2ELN6hipcub18BlockScanAlgorithmE0EfEvPT2_S3_S2_.kd
    .uniform_work_group_size: 1
    .uses_dynamic_stack: false
    .vgpr_count:     11
    .vgpr_spill_count: 0
    .wavefront_size: 32
    .workgroup_processor_mode: 1
  - .args:
      - .address_space:  global
        .offset:         0
        .size:           8
        .value_kind:     global_buffer
      - .address_space:  global
        .offset:         8
        .size:           8
        .value_kind:     global_buffer
      - .offset:         16
        .size:           4
        .value_kind:     by_value
    .group_segment_fixed_size: 64
    .kernarg_segment_align: 8
    .kernarg_segment_size: 20
    .language:       OpenCL C
    .language_version:
      - 2
      - 0
    .max_flat_workgroup_size: 512
    .name:           _Z43exclusive_scan_prefix_callback_array_kernelILj512ELj4ELN6hipcub18BlockScanAlgorithmE0EiEvPT2_S3_S2_
    .private_segment_fixed_size: 0
    .sgpr_count:     18
    .sgpr_spill_count: 0
    .symbol:         _Z43exclusive_scan_prefix_callback_array_kernelILj512ELj4ELN6hipcub18BlockScanAlgorithmE0EiEvPT2_S3_S2_.kd
    .uniform_work_group_size: 1
    .uses_dynamic_stack: false
    .vgpr_count:     12
    .vgpr_spill_count: 0
    .wavefront_size: 32
    .workgroup_processor_mode: 1
  - .args:
      - .address_space:  global
        .offset:         0
        .size:           8
        .value_kind:     global_buffer
      - .address_space:  global
        .offset:         8
        .size:           8
        .value_kind:     global_buffer
      - .offset:         16
        .size:           4
        .value_kind:     by_value
    .group_segment_fixed_size: 32
    .kernarg_segment_align: 8
    .kernarg_segment_size: 20
    .language:       OpenCL C
    .language_version:
      - 2
      - 0
    .max_flat_workgroup_size: 256
    .name:           _Z43exclusive_scan_prefix_callback_array_kernelILj256ELj3ELN6hipcub18BlockScanAlgorithmE0EjEvPT2_S3_S2_
    .private_segment_fixed_size: 0
    .sgpr_count:     18
    .sgpr_spill_count: 0
    .symbol:         _Z43exclusive_scan_prefix_callback_array_kernelILj256ELj3ELN6hipcub18BlockScanAlgorithmE0EjEvPT2_S3_S2_.kd
    .uniform_work_group_size: 1
    .uses_dynamic_stack: false
    .vgpr_count:     16
    .vgpr_spill_count: 0
    .wavefront_size: 32
    .workgroup_processor_mode: 1
  - .args:
      - .address_space:  global
        .offset:         0
        .size:           8
        .value_kind:     global_buffer
      - .address_space:  global
        .offset:         8
        .size:           8
        .value_kind:     global_buffer
      - .offset:         16
        .size:           4
        .value_kind:     by_value
    .group_segment_fixed_size: 4
    .kernarg_segment_align: 8
    .kernarg_segment_size: 20
    .language:       OpenCL C
    .language_version:
      - 2
      - 0
    .max_flat_workgroup_size: 32
    .name:           _Z43exclusive_scan_prefix_callback_array_kernelILj32ELj2ELN6hipcub18BlockScanAlgorithmE0EfEvPT2_S3_S2_
    .private_segment_fixed_size: 0
    .sgpr_count:     18
    .sgpr_spill_count: 0
    .symbol:         _Z43exclusive_scan_prefix_callback_array_kernelILj32ELj2ELN6hipcub18BlockScanAlgorithmE0EfEvPT2_S3_S2_.kd
    .uniform_work_group_size: 1
    .uses_dynamic_stack: false
    .vgpr_count:     9
    .vgpr_spill_count: 0
    .wavefront_size: 32
    .workgroup_processor_mode: 1
  - .args:
      - .address_space:  global
        .offset:         0
        .size:           8
        .value_kind:     global_buffer
      - .address_space:  global
        .offset:         8
        .size:           8
        .value_kind:     global_buffer
      - .offset:         16
        .size:           4
        .value_kind:     by_value
    .group_segment_fixed_size: 4
    .kernarg_segment_align: 8
    .kernarg_segment_size: 20
    .language:       OpenCL C
    .language_version:
      - 2
      - 0
    .max_flat_workgroup_size: 6
    .name:           _Z43exclusive_scan_prefix_callback_array_kernelILj6ELj32ELN6hipcub18BlockScanAlgorithmE0EfEvPT2_S3_S2_
    .private_segment_fixed_size: 0
    .sgpr_count:     18
    .sgpr_spill_count: 0
    .symbol:         _Z43exclusive_scan_prefix_callback_array_kernelILj6ELj32ELN6hipcub18BlockScanAlgorithmE0EfEvPT2_S3_S2_.kd
    .uniform_work_group_size: 1
    .uses_dynamic_stack: false
    .vgpr_count:     40
    .vgpr_spill_count: 0
    .wavefront_size: 32
    .workgroup_processor_mode: 1
amdhsa.target:   amdgcn-amd-amdhsa--gfx1100
amdhsa.version:
  - 1
  - 2
...

	.end_amdgpu_metadata
